;; amdgpu-corpus repo=ggml-org/llama.cpp kind=compiled arch=gfx90a opt=O3
	.text
	.amdgcn_target "amdgcn-amd-amdhsa--gfx90a"
	.amdhsa_code_object_version 6
	.section	.text._ZL18flash_attn_ext_f16ILi64ELi64ELi64ELi1ELb0ELb0EEvPKcS1_S1_S1_S1_PKiPfP15HIP_vector_typeIfLj2EEffffjfiS5_IjLj3EEiiiiiiiiiiiliiliiiiil,"axG",@progbits,_ZL18flash_attn_ext_f16ILi64ELi64ELi64ELi1ELb0ELb0EEvPKcS1_S1_S1_S1_PKiPfP15HIP_vector_typeIfLj2EEffffjfiS5_IjLj3EEiiiiiiiiiiiliiliiiiil,comdat
	.globl	_ZL18flash_attn_ext_f16ILi64ELi64ELi64ELi1ELb0ELb0EEvPKcS1_S1_S1_S1_PKiPfP15HIP_vector_typeIfLj2EEffffjfiS5_IjLj3EEiiiiiiiiiiiliiliiiiil ; -- Begin function _ZL18flash_attn_ext_f16ILi64ELi64ELi64ELi1ELb0ELb0EEvPKcS1_S1_S1_S1_PKiPfP15HIP_vector_typeIfLj2EEffffjfiS5_IjLj3EEiiiiiiiiiiiliiliiiiil
	.p2align	8
	.type	_ZL18flash_attn_ext_f16ILi64ELi64ELi64ELi1ELb0ELb0EEvPKcS1_S1_S1_S1_PKiPfP15HIP_vector_typeIfLj2EEffffjfiS5_IjLj3EEiiiiiiiiiiiliiliiiiil,@function
_ZL18flash_attn_ext_f16ILi64ELi64ELi64ELi1ELb0ELb0EEvPKcS1_S1_S1_S1_PKiPfP15HIP_vector_typeIfLj2EEffffjfiS5_IjLj3EEiiiiiiiiiiiliiliiiiil: ; @_ZL18flash_attn_ext_f16ILi64ELi64ELi64ELi1ELb0ELb0EEvPKcS1_S1_S1_S1_PKiPfP15HIP_vector_typeIfLj2EEffffjfiS5_IjLj3EEiiiiiiiiiiiliiliiiiil
; %bb.0:
	s_load_dwordx2 s[14:15], s[4:5], 0x80
	s_load_dwordx4 s[96:99], s[4:5], 0x64
	s_add_u32 flat_scratch_lo, s6, s9
	s_addc_u32 flat_scratch_hi, s7, 0
	s_add_u32 s0, s0, s9
	s_addc_u32 s1, s1, 0
	s_waitcnt lgkmcnt(0)
	s_abs_i32 s7, s15
	v_mov_b32_e32 v58, v0
	v_cvt_f32_u32_e32 v0, s7
	s_sub_i32 s10, 0, s7
	s_abs_i32 s9, s97
	s_mov_b32 s23, s8
	v_rcp_iflag_f32_e32 v0, v0
	s_xor_b32 s8, s97, s15
	s_ashr_i32 s8, s8, 31
                                        ; implicit-def: $vgpr126 : SGPR spill to VGPR lane
	s_load_dword s24, s[4:5], 0xd0
	v_mul_f32_e32 v0, 0x4f7ffffe, v0
	v_cvt_u32_f32_e32 v0, v0
	s_mov_b32 s6, 0
	v_cvt_f32_ubyte0_e32 v2, 0
	s_waitcnt lgkmcnt(0)
	v_cvt_f32_u32_e32 v1, s24
	v_readfirstlane_b32 s11, v0
	s_mul_i32 s10, s10, s11
	s_mul_hi_u32 s10, s11, s10
	s_add_i32 s11, s11, s10
	s_mul_hi_u32 s10, s9, s11
	s_mul_i32 s11, s10, s7
	s_sub_i32 s9, s9, s11
	s_add_i32 s12, s10, 1
	s_sub_i32 s11, s9, s7
	s_cmp_ge_u32 s9, s7
	s_cselect_b32 s10, s12, s10
	s_cselect_b32 s9, s11, s9
	s_add_i32 s11, s10, 1
	s_cmp_ge_u32 s9, s7
	s_cselect_b32 s7, s11, s10
	s_add_i32 s9, s14, 63
	s_xor_b32 s7, s7, s8
	s_ashr_i32 s10, s9, 31
	s_sub_i32 s8, s7, s8
	s_lshr_b32 s7, s10, 26
	s_add_i32 s9, s9, s7
	s_add_i32 s7, s96, 63
	s_lshr_b32 s7, s7, 6
	s_ashr_i32 s9, s9, 6
	v_writelane_b32 v126, s7, 0
	v_writelane_b32 v126, s9, 1
	s_mul_i32 s7, s7, s9
	v_writelane_b32 v126, s8, 2
	v_writelane_b32 v126, s7, 3
	s_mul_i32 s7, s7, s8
	s_mov_b32 s8, s14
	v_writelane_b32 v126, s8, 4
	v_writelane_b32 v126, s9, 5
	;; [unrolled: 1-line block ×3, first 2 shown]
	s_mul_i32 s7, s7, s15
	s_mul_i32 s10, s7, s98
	s_ashr_i32 s11, s10, 31
	v_writelane_b32 v126, s7, 7
	s_mul_i32 s7, s11, s23
	s_mul_hi_u32 s8, s10, s23
	s_add_i32 s7, s8, s7
	s_add_u32 s8, s4, 0xd0
	s_addc_u32 s9, s5, 0
	v_writelane_b32 v126, s8, 8
	s_mul_i32 s12, s10, s23
	v_writelane_b32 v126, s9, 9
	s_cmp_lg_u64 s[6:7], 0
	s_cbranch_scc0 .LBB0_2
; %bb.1:
	v_madmk_f32 v0, v2, 0x4f800000, v1
	v_rcp_f32_e32 v0, v0
	s_sub_u32 s6, 0, s24
	s_subb_u32 s13, 0, 0
	s_mov_b64 s[8:9], 0
	v_mul_f32_e32 v0, 0x5f7ffffc, v0
	v_mul_f32_e32 v3, 0x2f800000, v0
	v_trunc_f32_e32 v3, v3
	v_madmk_f32 v0, v3, 0xcf800000, v0
	v_cvt_u32_f32_e32 v3, v3
	v_cvt_u32_f32_e32 v0, v0
	v_readfirstlane_b32 s14, v3
	v_readfirstlane_b32 s15, v0
	s_mul_hi_u32 s17, s6, s15
	s_mul_i32 s18, s6, s14
	s_mul_i32 s16, s13, s15
	s_add_i32 s17, s17, s18
	s_add_i32 s17, s17, s16
	s_mul_i32 s19, s6, s15
	s_mul_hi_u32 s16, s15, s17
	s_mul_i32 s18, s15, s17
	s_mul_hi_u32 s15, s15, s19
	s_add_u32 s15, s15, s18
	s_addc_u32 s16, 0, s16
	s_mul_hi_u32 s20, s14, s19
	s_mul_i32 s19, s14, s19
	s_add_u32 s15, s15, s19
	s_mul_hi_u32 s18, s14, s17
	s_addc_u32 s15, s16, s20
	s_addc_u32 s16, s18, 0
	s_mul_i32 s17, s14, s17
	s_add_u32 s15, s15, s17
	s_addc_u32 s16, 0, s16
	v_add_co_u32_e32 v0, vcc, s15, v0
	s_cmp_lg_u64 vcc, 0
	s_addc_u32 s14, s14, s16
	v_readfirstlane_b32 s16, v0
	s_mul_i32 s15, s6, s14
	s_mul_hi_u32 s17, s6, s16
	s_add_i32 s15, s17, s15
	s_mul_i32 s13, s13, s16
	s_add_i32 s15, s15, s13
	s_mul_i32 s6, s6, s16
	s_mul_hi_u32 s17, s14, s6
	s_mul_i32 s18, s14, s6
	s_mul_i32 s20, s16, s15
	s_mul_hi_u32 s6, s16, s6
	s_mul_hi_u32 s19, s16, s15
	s_add_u32 s6, s6, s20
	s_addc_u32 s16, 0, s19
	s_add_u32 s6, s6, s18
	s_mul_hi_u32 s13, s14, s15
	s_addc_u32 s6, s16, s17
	s_addc_u32 s13, s13, 0
	s_mul_i32 s15, s14, s15
	s_add_u32 s6, s6, s15
	s_addc_u32 s13, 0, s13
	v_add_co_u32_e32 v0, vcc, s6, v0
	s_cmp_lg_u64 vcc, 0
	s_addc_u32 s13, s14, s13
	s_ashr_i32 s14, s7, 31
	s_add_u32 s6, s12, s14
	s_mov_b32 s15, s14
	s_addc_u32 s7, s7, s14
	s_xor_b64 s[6:7], s[6:7], s[14:15]
	v_readfirstlane_b32 s18, v0
	s_mul_i32 s17, s6, s13
	s_mul_hi_u32 s19, s6, s18
	s_mul_hi_u32 s16, s6, s13
	s_add_u32 s17, s19, s17
	s_addc_u32 s16, 0, s16
	s_mul_hi_u32 s20, s7, s18
	s_mul_i32 s18, s7, s18
	s_add_u32 s17, s17, s18
	s_mul_hi_u32 s19, s7, s13
	s_addc_u32 s16, s16, s20
	s_addc_u32 s17, s19, 0
	s_mul_i32 s13, s7, s13
	s_add_u32 s13, s16, s13
	s_addc_u32 s16, 0, s17
	s_add_u32 s17, s13, 1
	s_addc_u32 s18, s16, 0
	s_add_u32 s19, s13, 2
	s_mul_i32 s21, s24, s16
	s_mul_hi_u32 s22, s24, s13
	s_addc_u32 s20, s16, 0
	s_add_i32 s22, s22, s21
	s_mul_i32 s21, s24, s13
	v_mov_b32_e32 v0, s21
	v_sub_co_u32_e32 v0, vcc, s6, v0
	s_cmp_lg_u64 vcc, 0
	s_subb_u32 s6, s7, s22
	v_subrev_co_u32_e32 v3, vcc, s24, v0
	s_cmp_lg_u64 vcc, 0
	s_subb_u32 s7, s6, 0
	v_readfirstlane_b32 s21, v3
	s_cmp_ge_u32 s21, s24
	s_cselect_b32 s21, -1, 0
	s_cmp_eq_u32 s7, 0
	s_cselect_b32 s7, s21, -1
	s_cmp_lg_u32 s7, 0
	s_cselect_b32 s7, s20, s18
	v_readfirstlane_b32 s18, v0
	s_cselect_b32 s17, s19, s17
	s_cmp_ge_u32 s18, s24
	s_cselect_b32 s18, -1, 0
	s_cmp_eq_u32 s6, 0
	s_cselect_b32 s6, s18, -1
	s_cmp_lg_u32 s6, 0
	s_cselect_b32 s7, s7, s16
	s_cselect_b32 s6, s17, s13
	s_xor_b64 s[6:7], s[6:7], s[14:15]
	s_sub_u32 s42, s6, s14
	s_branch .LBB0_3
.LBB0_2:
	s_mov_b64 s[8:9], -1
                                        ; implicit-def: $sgpr42_sgpr43
.LBB0_3:
	s_load_dwordx2 s[6:7], s[4:5], 0x74
	v_cvt_f32_u32_e32 v0, s24
	s_andn2_b64 vcc, exec, s[8:9]
	s_waitcnt lgkmcnt(0)
	v_writelane_b32 v126, s6, 10
	v_writelane_b32 v126, s7, 11
	s_cbranch_vccnz .LBB0_5
; %bb.4:
	v_rcp_iflag_f32_e32 v3, v0
	s_sub_i32 s6, 0, s24
	v_mul_f32_e32 v3, 0x4f7ffffe, v3
	v_cvt_u32_f32_e32 v3, v3
	v_readfirstlane_b32 s7, v3
	s_mul_i32 s6, s6, s7
	s_mul_hi_u32 s6, s7, s6
	s_add_i32 s7, s7, s6
	s_mul_hi_u32 s6, s12, s7
	s_mul_i32 s8, s6, s24
	s_sub_i32 s8, s12, s8
	s_add_i32 s7, s6, 1
	s_sub_i32 s9, s8, s24
	s_cmp_ge_u32 s8, s24
	s_cselect_b32 s6, s7, s6
	s_cselect_b32 s8, s9, s8
	s_add_i32 s7, s6, 1
	s_cmp_ge_u32 s8, s24
	s_cselect_b32 s42, s7, s6
.LBB0_5:
	s_add_i32 s6, s23, 1
	s_mul_i32 s7, s11, s6
	s_mul_hi_u32 s8, s10, s6
	s_add_i32 s9, s8, s7
	s_mov_b32 s8, 0
	s_cmp_lg_u64 s[8:9], 0
	s_mul_i32 s8, s10, s6
	s_cbranch_scc0 .LBB0_7
; %bb.6:
	v_madmk_f32 v1, v2, 0x4f800000, v1
	v_rcp_f32_e32 v1, v1
	s_sub_u32 s10, 0, s24
	s_subb_u32 s11, 0, 0
	s_mov_b64 s[6:7], 0
	v_mul_f32_e32 v1, 0x5f7ffffc, v1
	v_mul_f32_e32 v2, 0x2f800000, v1
	v_trunc_f32_e32 v2, v2
	v_madmk_f32 v1, v2, 0xcf800000, v1
	v_cvt_u32_f32_e32 v2, v2
	v_cvt_u32_f32_e32 v1, v1
	v_readfirstlane_b32 s12, v2
	v_readfirstlane_b32 s13, v1
	s_mul_hi_u32 s15, s10, s13
	s_mul_i32 s16, s10, s12
	s_mul_i32 s14, s11, s13
	s_add_i32 s15, s15, s16
	s_add_i32 s15, s15, s14
	s_mul_i32 s17, s10, s13
	s_mul_hi_u32 s14, s13, s15
	s_mul_i32 s16, s13, s15
	s_mul_hi_u32 s13, s13, s17
	s_add_u32 s13, s13, s16
	s_addc_u32 s14, 0, s14
	s_mul_hi_u32 s18, s12, s17
	s_mul_i32 s17, s12, s17
	s_add_u32 s13, s13, s17
	s_mul_hi_u32 s16, s12, s15
	s_addc_u32 s13, s14, s18
	s_addc_u32 s14, s16, 0
	s_mul_i32 s15, s12, s15
	s_add_u32 s13, s13, s15
	s_addc_u32 s14, 0, s14
	v_add_co_u32_e32 v1, vcc, s13, v1
	s_cmp_lg_u64 vcc, 0
	s_addc_u32 s12, s12, s14
	v_readfirstlane_b32 s14, v1
	s_mul_i32 s13, s10, s12
	s_mul_hi_u32 s15, s10, s14
	s_add_i32 s13, s15, s13
	s_mul_i32 s11, s11, s14
	s_add_i32 s13, s13, s11
	s_mul_i32 s10, s10, s14
	s_mul_hi_u32 s15, s12, s10
	s_mul_i32 s16, s12, s10
	s_mul_i32 s18, s14, s13
	s_mul_hi_u32 s10, s14, s10
	s_mul_hi_u32 s17, s14, s13
	s_add_u32 s10, s10, s18
	s_addc_u32 s14, 0, s17
	s_add_u32 s10, s10, s16
	s_mul_hi_u32 s11, s12, s13
	s_addc_u32 s10, s14, s15
	s_addc_u32 s11, s11, 0
	s_mul_i32 s13, s12, s13
	s_add_u32 s10, s10, s13
	s_addc_u32 s11, 0, s11
	v_add_co_u32_e32 v1, vcc, s10, v1
	s_cmp_lg_u64 vcc, 0
	s_addc_u32 s14, s12, s11
	s_ashr_i32 s10, s9, 31
	s_add_u32 s12, s8, s10
	s_mov_b32 s11, s10
	s_addc_u32 s13, s9, s10
	s_xor_b64 s[12:13], s[12:13], s[10:11]
	v_readfirstlane_b32 s16, v1
	s_mul_i32 s15, s12, s14
	s_mul_hi_u32 s17, s12, s16
	s_mul_hi_u32 s9, s12, s14
	s_add_u32 s15, s17, s15
	s_addc_u32 s9, 0, s9
	s_mul_hi_u32 s18, s13, s16
	s_mul_i32 s16, s13, s16
	s_add_u32 s15, s15, s16
	s_mul_hi_u32 s17, s13, s14
	s_addc_u32 s9, s9, s18
	s_addc_u32 s15, s17, 0
	s_mul_i32 s14, s13, s14
	s_add_u32 s9, s9, s14
	s_addc_u32 s14, 0, s15
	s_add_u32 s15, s9, 1
	s_addc_u32 s16, s14, 0
	s_add_u32 s17, s9, 2
	s_mul_i32 s19, s24, s14
	s_mul_hi_u32 s20, s24, s9
	s_addc_u32 s18, s14, 0
	s_add_i32 s20, s20, s19
	s_mul_i32 s19, s24, s9
	v_mov_b32_e32 v1, s19
	v_sub_co_u32_e32 v1, vcc, s12, v1
	s_cmp_lg_u64 vcc, 0
	s_subb_u32 s12, s13, s20
	v_subrev_co_u32_e32 v2, vcc, s24, v1
	s_cmp_lg_u64 vcc, 0
	s_subb_u32 s13, s12, 0
	v_readfirstlane_b32 s19, v2
	s_cmp_ge_u32 s19, s24
	s_cselect_b32 s19, -1, 0
	s_cmp_eq_u32 s13, 0
	s_cselect_b32 s13, s19, -1
	s_cmp_lg_u32 s13, 0
	s_cselect_b32 s13, s18, s16
	v_readfirstlane_b32 s16, v1
	s_cselect_b32 s15, s17, s15
	s_cmp_ge_u32 s16, s24
	s_cselect_b32 s16, -1, 0
	s_cmp_eq_u32 s12, 0
	s_cselect_b32 s12, s16, -1
	s_cmp_lg_u32 s12, 0
	s_cselect_b32 s13, s13, s14
	s_cselect_b32 s12, s15, s9
	s_xor_b64 s[12:13], s[12:13], s[10:11]
	s_sub_u32 s10, s12, s10
	v_writelane_b32 v126, s10, 15
	v_writelane_b32 v126, s11, 16
	s_branch .LBB0_8
.LBB0_7:
	s_mov_b64 s[6:7], -1
                                        ; implicit-def: $sgpr10_sgpr11
                                        ; kill: killed $sgpr10_sgpr11
.LBB0_8:
	s_load_dwordx2 s[10:11], s[4:5], 0x5c
	v_writelane_b32 v126, s23, 12
	s_andn2_b64 vcc, exec, s[6:7]
	s_waitcnt lgkmcnt(0)
	v_writelane_b32 v126, s10, 13
	v_writelane_b32 v126, s11, 14
	s_cbranch_vccnz .LBB0_10
; %bb.9:
	v_rcp_iflag_f32_e32 v0, v0
	s_sub_i32 s6, 0, s24
	v_mul_f32_e32 v0, 0x4f7ffffe, v0
	v_cvt_u32_f32_e32 v0, v0
	v_readfirstlane_b32 s7, v0
	s_mul_i32 s6, s6, s7
	s_mul_hi_u32 s6, s7, s6
	s_add_i32 s7, s7, s6
	s_mul_hi_u32 s6, s8, s7
	s_mul_i32 s9, s6, s24
	s_sub_i32 s8, s8, s9
	s_add_i32 s7, s6, 1
	s_sub_i32 s9, s8, s24
	s_cmp_ge_u32 s8, s24
	s_cselect_b32 s6, s7, s6
	s_cselect_b32 s8, s9, s8
	s_add_i32 s7, s6, 1
	s_cmp_ge_u32 s8, s24
	s_cselect_b32 s6, s7, s6
	v_writelane_b32 v126, s6, 15
	v_writelane_b32 v126, s7, 16
.LBB0_10:
	s_load_dwordx16 s[72:87], s[4:5], 0x0
	s_load_dwordx4 s[16:19], s[4:5], 0x40
	s_load_dword s6, s[4:5], 0x50
	v_writelane_b32 v126, s24, 17
	s_ashr_i32 s92, s99, 3
	s_mov_b32 s53, 0
	v_bfe_u32 v105, v58, 10, 10
	s_waitcnt lgkmcnt(0)
	v_writelane_b32 v126, s6, 18
	s_load_dwordx2 s[6:7], s[4:5], 0x8c
	s_load_dwordx4 s[8:11], s[4:5], 0x98
	s_load_dwordx2 s[12:13], s[4:5], 0xa8
	s_load_dwordx2 s[22:23], s[4:5], 0xb8
	s_nop 0
	s_load_dwordx2 s[4:5], s[4:5], 0xc8
	v_mbcnt_lo_u32_b32 v64, -1, 0
	s_waitcnt lgkmcnt(0)
	s_ashr_i32 s94, s6, 2
	s_ashr_i32 s46, s10, 2
	v_writelane_b32 v126, s12, 19
	v_writelane_b32 v126, s13, 20
	;; [unrolled: 1-line block ×4, first 2 shown]
	v_readlane_b32 s13, v126, 1
	s_abs_i32 s12, s13
	v_cvt_f32_u32_e32 v0, s12
	s_mov_b32 s5, s7
	v_writelane_b32 v126, s4, 23
	v_writelane_b32 v126, s5, 24
	v_rcp_iflag_f32_e32 v0, v0
	s_mov_b64 s[4:5], s[8:9]
	s_mov_b32 s7, s11
	v_writelane_b32 v126, s4, 25
	v_mul_f32_e32 v0, 0x4f7ffffe, v0
	v_cvt_u32_f32_e32 v0, v0
	v_writelane_b32 v126, s5, 26
	v_writelane_b32 v126, s6, 27
	;; [unrolled: 1-line block ×3, first 2 shown]
	s_sub_i32 s6, 0, s12
	v_readfirstlane_b32 s7, v0
	s_mul_i32 s6, s6, s7
	s_ashr_i32 s5, s13, 31
	s_mul_hi_u32 s6, s7, s6
	v_writelane_b32 v126, s5, 29
	s_abs_i32 s5, s42
	s_add_i32 s6, s7, s6
	v_writelane_b32 v126, s6, 30
	s_mul_hi_u32 s6, s5, s6
	s_mul_i32 s6, s6, s12
	s_sub_i32 s5, s5, s6
	s_ashr_i32 s88, s23, 1
	s_ashr_i32 s4, s42, 31
	s_sub_i32 s6, s5, s12
	s_cmp_ge_u32 s5, s12
	s_cselect_b32 s5, s6, s5
	s_sub_i32 s6, s5, s12
	s_cmp_ge_u32 s5, s12
	s_cselect_b32 s5, s6, s5
	v_writelane_b32 v126, s12, 31
	s_xor_b32 s5, s5, s4
	s_sub_i32 s62, s5, s4
	v_readlane_b32 s4, v126, 15
	s_mov_b32 s8, s4
	s_sub_i32 s4, s4, s42
	s_add_i32 s6, s4, s62
	s_min_i32 s23, s13, s6
	s_cmp_gt_i32 s8, s42
	v_readlane_b32 s5, v126, 16
	s_cselect_b64 s[40:41], -1, 0
	s_cmp_le_i32 s8, s42
	v_cvt_f16_f32_e32 v0, s16
	s_cselect_b64 s[4:5], -1, 0
	s_cmp_gt_i32 s13, s6
	s_cselect_b64 s[6:7], -1, 0
	s_or_b64 s[4:5], s[6:7], s[4:5]
	s_and_b64 vcc, exec, s[4:5]
	v_pack_b32_f16 v65, v0, v0
	buffer_store_dword v105, off, s[0:3], 0 offset:324 ; 4-byte Folded Spill
	s_cbranch_vccz .LBB0_13
; %bb.11:
	s_andn2_b64 vcc, exec, s[40:41]
	s_cbranch_vccz .LBB0_270
.LBB0_12:
	s_endpgm
.LBB0_13:
	s_cmp_lg_u64 s[78:79], 0
	v_writelane_b32 v126, s23, 32
	s_cselect_b64 s[4:5], -1, 0
	v_writelane_b32 v126, s4, 33
	v_writelane_b32 v126, s5, 34
	s_mul_i32 s4, s96, s97
	s_cmp_eq_u64 s[80:81], 0
	v_writelane_b32 v126, s4, 35
	s_cselect_b64 s[4:5], -1, 0
	v_writelane_b32 v126, s4, 36
	v_writelane_b32 v126, s5, 37
	s_mov_b64 s[6:7], s[18:19]
	s_mov_b32 s5, s17
	v_writelane_b32 v126, s4, 38
	v_writelane_b32 v126, s5, 39
	;; [unrolled: 1-line block ×4, first 2 shown]
	v_cmp_nle_f32_e64 s[4:5], s17, 0
	v_writelane_b32 v126, s4, 42
	s_cmp_lg_u64 s[82:83], 0
	v_writelane_b32 v126, s5, 43
	s_cselect_b64 s[4:5], -1, 0
	v_and_b32_e32 v66, 0x3ff, v58
	v_writelane_b32 v126, s4, 44
	v_lshrrev_b32_e32 v2, 3, v66
	v_writelane_b32 v126, s5, 45
	v_lshrrev_b32_e32 v0, 5, v66
	s_movk_i32 s4, 0x900
	v_and_b32_e32 v1, 15, v66
	v_lshlrev_b32_e32 v7, 2, v2
	v_lshl_add_u32 v67, v105, 1, v0
	v_mad_u32_u24 v0, v105, s4, 0
	v_mul_u32_u24_e32 v6, 0x90, v1
	v_and_b32_e32 v8, 0x78, v7
	v_lshrrev_b32_e32 v10, 2, v66
	v_lshlrev_b32_e32 v11, 4, v105
	s_movk_i32 s8, 0x90
	v_add3_u32 v69, v0, v6, v8
	v_add3_u32 v99, 0, v6, v8
	v_and_b32_e32 v72, 60, v10
	v_or_b32_e32 v6, v11, v1
	v_mad_u32_u24 v6, v6, s8, 0
	s_movk_i32 s8, 0x100
	v_mul_u32_u24_e32 v12, 0x48, v72
	v_cmp_gt_u32_e64 s[12:13], s8, v66
	s_movk_i32 s8, 0xc0
	v_or_b32_e32 v12, v12, v1
	v_cmp_gt_u32_e64 s[14:15], s8, v66
	v_lshlrev_b32_e32 v12, 1, v12
	s_add_i32 s8, 0, 0x900
	v_add_u32_e32 v93, s8, v12
	s_add_i32 s8, 0, 0x1200
	v_add_u32_e32 v107, s8, v12
	s_add_i32 s8, 0, 0x1b00
	v_add_u32_e32 v113, s8, v12
	s_add_i32 s8, 0, 0x920
	v_add_u32_e32 v103, s8, v12
	s_add_i32 s8, 0, 0x1220
	v_add_u32_e32 v34, s8, v12
	s_add_i32 s8, 0, 0x1b20
	v_add_u32_e32 v94, s8, v12
	s_add_i32 s8, 0, 0x940
	v_add_u32_e32 v26, s8, v12
	s_add_i32 s8, 0, 0x1240
	v_mul_i32_i24_e32 v3, 0xfffff790, v105
	v_lshlrev_b32_e32 v30, 1, v66
	v_add_u32_e32 v92, s8, v12
	s_add_i32 s8, 0, 0x1b40
	v_add3_u32 v96, v0, v3, v30
	v_add_u32_e32 v0, 4, v105
	v_add_u32_e32 v28, s8, v12
	s_add_i32 s8, 0, 0x60
	buffer_store_dword v0, off, s[0:3], 0 offset:68 ; 4-byte Folded Spill
	v_add_u32_e32 v0, 8, v105
	v_add_u32_e32 v95, s8, v12
	s_add_i32 s8, 0, 0x960
	buffer_store_dword v0, off, s[0:3], 0 offset:72 ; 4-byte Folded Spill
	;; [unrolled: 4-line block ×4, first 2 shown]
	v_add_u32_e32 v0, 20, v105
	v_add_u32_e32 v98, s8, v12
	v_cmp_gt_u32_e64 s[8:9], 16, v66
	buffer_store_dword v0, off, s[0:3], 0 offset:84 ; 4-byte Folded Spill
	v_add_u32_e32 v0, 24, v105
	v_writelane_b32 v126, s8, 46
	buffer_store_dword v0, off, s[0:3], 0 offset:88 ; 4-byte Folded Spill
	v_add_u32_e32 v0, 28, v105
	v_writelane_b32 v126, s9, 47
	buffer_store_dword v0, off, s[0:3], 0 offset:92 ; 4-byte Folded Spill
	v_add_u32_e32 v0, 32, v105
	v_readlane_b32 s8, v126, 12
	buffer_store_dword v0, off, s[0:3], 0 offset:96 ; 4-byte Folded Spill
	v_add_u32_e32 v0, 36, v105
	v_or_b32_e32 v79, 3, v10
	s_lshl_b32 s52, s8, 6
	s_ashr_i32 s89, s88, 31
	buffer_store_dword v0, off, s[0:3], 0 offset:100 ; 4-byte Folded Spill
	v_add_u32_e32 v0, 40, v105
	s_ashr_i32 s95, s94, 31
	s_ashr_i32 s47, s46, 31
	v_mul_u32_u24_e32 v13, 0x90, v72
	v_mul_u32_u24_e32 v10, 0x90, v79
	v_lshlrev_b32_e32 v1, 1, v1
	s_lshl_b64 s[8:9], s[52:53], 3
	buffer_store_dword v0, off, s[0:3], 0 offset:104 ; 4-byte Folded Spill
	v_add_u32_e32 v0, 44, v105
	v_add3_u32 v111, 0, v13, v1
	v_add3_u32 v117, 0, v10, v1
	s_add_u32 s8, s86, s8
	v_or_b32_e32 v1, v11, v66
	buffer_store_dword v0, off, s[0:3], 0 offset:108 ; 4-byte Folded Spill
	v_add_u32_e32 v0, 48, v105
	v_or_b32_e32 v7, 4, v7
	s_addc_u32 s9, s87, s9
	v_lshlrev_b32_e32 v1, 3, v1
	v_and_b32_e32 v68, 31, v66
	buffer_store_dword v0, off, s[0:3], 0 offset:112 ; 4-byte Folded Spill
	v_add_u32_e32 v0, 52, v105
	v_add_u32_e32 v7, v6, v7
	;; [unrolled: 1-line block ×4, first 2 shown]
	v_add3_u32 v115, 0, 32, v12
	v_add3_u32 v101, 0, 64, v12
	v_add_co_u32_e32 v12, vcc, s8, v1
	v_mov_b32_e32 v1, s9
	buffer_store_dword v0, off, s[0:3], 0 offset:116 ; 4-byte Folded Spill
	v_add_u32_e32 v0, 56, v105
	buffer_store_dword v7, off, s[0:3], 0 offset:20 ; 4-byte Folded Spill
	v_lshl_add_u32 v7, v73, 1, v6
	v_add_u32_e32 v75, 32, v72
	v_addc_co_u32_e32 v13, vcc, 0, v1, vcc
	v_add_u32_e32 v1, v11, v66
	v_mad_u32_u24 v11, v67, 36, v68
	buffer_store_dword v0, off, s[0:3], 0 offset:120 ; 4-byte Folded Spill
	v_add_u32_e32 v0, 60, v105
	v_lshl_add_u32 v8, v72, 1, v6
	buffer_store_dword v7, off, s[0:3], 0 offset:24 ; 4-byte Folded Spill
	v_lshl_add_u32 v7, v75, 1, v6
	v_lshl_add_u32 v59, v11, 2, 0
	v_add_u32_e32 v11, 8, v67
	buffer_store_dword v0, off, s[0:3], 0 offset:124 ; 4-byte Folded Spill
	buffer_store_dword v8, off, s[0:3], 0 offset:16 ; 4-byte Folded Spill
	;; [unrolled: 1-line block ×4, first 2 shown]
	s_nop 0
	buffer_store_dword v13, off, s[0:3], 0 offset:276 ; 4-byte Folded Spill
	buffer_store_dword v11, off, s[0:3], 0 offset:40 ; 4-byte Folded Spill
	v_add_u32_e32 v11, 24, v67
	buffer_store_dword v11, off, s[0:3], 0 offset:48 ; 4-byte Folded Spill
	v_add_u32_e32 v11, 40, v67
	s_lshl_b32 s8, s97, 5
	buffer_store_dword v11, off, s[0:3], 0 offset:56 ; 4-byte Folded Spill
	v_add_u32_e32 v11, 56, v67
	v_writelane_b32 v126, s8, 48
	v_add_u32_e32 v12, 16, v67
	buffer_store_dword v11, off, s[0:3], 0 offset:64 ; 4-byte Folded Spill
	v_and_b32_e32 v11, 15, v67
	s_movk_i32 s8, 0x7f0
	buffer_store_dword v12, off, s[0:3], 0 offset:44 ; 4-byte Folded Spill
	v_and_or_b32 v12, v12, s8, v11
	v_mul_u32_u24_e32 v13, 36, v12
	v_mad_u32_u24 v12, v12, 36, v68
	v_add_u32_e32 v14, 32, v67
	v_lshl_add_u32 v12, v12, 2, 0
	buffer_store_dword v12, off, s[0:3], 0 offset:316 ; 4-byte Folded Spill
	buffer_store_dword v14, off, s[0:3], 0 offset:52 ; 4-byte Folded Spill
	v_and_or_b32 v12, v14, s8, v11
	v_mul_u32_u24_e32 v10, 36, v67
	v_mul_u32_u24_e32 v14, 36, v12
	v_mad_u32_u24 v12, v12, 36, v68
	v_add_u32_e32 v15, 48, v67
	v_lshl_add_u32 v12, v12, 2, 0
	v_lshl_add_u32 v10, v10, 2, 0
	buffer_store_dword v12, off, s[0:3], 0 offset:328 ; 4-byte Folded Spill
	buffer_store_dword v15, off, s[0:3], 0 offset:60 ; 4-byte Folded Spill
	v_and_or_b32 v11, v15, s8, v11
	buffer_store_dword v10, off, s[0:3], 0 offset:268 ; 4-byte Folded Spill
	v_lshl_add_u32 v10, v13, 2, 0
	v_mul_u32_u24_e32 v12, 36, v11
	buffer_store_dword v10, off, s[0:3], 0 offset:320 ; 4-byte Folded Spill
	v_lshl_add_u32 v10, v14, 2, 0
	v_readlane_b32 s8, v126, 7
	buffer_store_dword v10, off, s[0:3], 0 offset:332 ; 4-byte Folded Spill
	v_lshl_add_u32 v10, v12, 2, 0
	s_ashr_i32 s9, s8, 31
	s_abs_i32 s8, s8
	buffer_store_dword v10, off, s[0:3], 0 offset:340 ; 4-byte Folded Spill
	v_cvt_f32_u32_e32 v10, s8
	v_writelane_b32 v126, s9, 49
	v_writelane_b32 v126, s8, 50
	s_sub_i32 s8, 0, s8
	v_rcp_iflag_f32_e32 v10, v10
	s_mov_b32 s38, s22
	v_lshl_add_u32 v70, v105, 3, v2
	v_mul_lo_u32 v8, s46, v70
	v_mul_f32_e32 v10, 0x4f7ffffe, v10
	v_cvt_u32_f32_e32 v10, v10
	v_ashrrev_i32_e32 v9, 31, v8
	v_add_u32_e32 v77, 48, v72
	v_lshlrev_b64 v[38:39], 2, v[8:9]
	v_readfirstlane_b32 s9, v10
	s_mul_i32 s8, s8, s9
	s_mul_hi_u32 s8, s9, s8
	s_add_i32 s8, s9, s8
	v_writelane_b32 v126, s8, 51
	v_readlane_b32 s8, v126, 6
	s_ashr_i32 s9, s8, 31
	s_abs_i32 s8, s8
	v_cvt_f32_u32_e32 v10, s8
	v_writelane_b32 v126, s9, 52
	v_writelane_b32 v126, s8, 53
	s_sub_i32 s8, 0, s8
	v_rcp_iflag_f32_e32 v10, v10
	v_lshl_add_u32 v119, v77, 1, v6
	v_lshl_add_u32 v6, s46, 5, v8
	v_add_co_u32_e32 v8, vcc, s76, v38
	v_mul_f32_e32 v10, 0x4f7ffffe, v10
	v_cvt_u32_f32_e32 v10, v10
	v_ashrrev_i32_e32 v7, 31, v6
	buffer_store_dword v8, off, s[0:3], 0 offset:280 ; 4-byte Folded Spill
	v_mov_b32_e32 v8, s77
	v_readfirstlane_b32 s9, v10
	s_mul_i32 s8, s8, s9
	s_mul_hi_u32 s8, s9, s8
	s_add_i32 s8, s9, s8
	v_writelane_b32 v126, s8, 54
	v_readlane_b32 s8, v126, 3
	s_ashr_i32 s9, s8, 31
	s_abs_i32 s8, s8
	v_cvt_f32_u32_e32 v10, s8
	v_writelane_b32 v126, s9, 55
	v_writelane_b32 v126, s8, 56
	s_sub_i32 s8, 0, s8
	v_rcp_iflag_f32_e32 v10, v10
	v_addc_co_u32_e32 v8, vcc, v8, v39, vcc
	v_lshlrev_b64 v[40:41], 2, v[6:7]
	v_mul_f32_e32 v10, 0x4f7ffffe, v10
	v_cvt_u32_f32_e32 v10, v10
	v_lshlrev_b32_e32 v2, 2, v66
	v_mul_lo_u32 v4, s94, v70
	v_add_co_u32_e32 v6, vcc, s76, v40
	v_readfirstlane_b32 s9, v10
	s_mul_i32 s8, s8, s9
	s_mul_hi_u32 s8, s9, s8
	s_add_i32 s8, s9, s8
	v_writelane_b32 v126, s8, 57
	s_mov_b32 s8, s38
	v_writelane_b32 v126, s8, 58
	v_writelane_b32 v126, s9, 59
	s_abs_i32 s8, s38
	v_cvt_f32_u32_e32 v10, s8
	v_and_b32_e32 v2, 28, v2
	v_ashrrev_i32_e32 v5, 31, v4
	buffer_store_dword v6, off, s[0:3], 0 offset:288 ; 4-byte Folded Spill
	v_rcp_iflag_f32_e32 v10, v10
	v_mov_b32_e32 v6, s77
	v_mul_u32_u24_e32 v0, 0x90, v70
	v_mov_b32_e32 v118, v2
	v_lshlrev_b32_e32 v2, 2, v2
	v_mul_f32_e32 v10, 0x4f7ffffe, v10
	v_addc_co_u32_e32 v6, vcc, v6, v41, vcc
	v_lshlrev_b64 v[42:43], 2, v[4:5]
	v_add3_u32 v35, 0, v0, v2
	v_lshl_add_u32 v2, s94, 5, v4
	v_cvt_u32_f32_e32 v10, v10
	v_add_co_u32_e32 v4, vcc, s74, v42
	v_ashrrev_i32_e32 v3, 31, v2
	buffer_store_dword v4, off, s[0:3], 0 offset:296 ; 4-byte Folded Spill
	v_mov_b32_e32 v4, s75
	v_mad_u32_u24 v11, v11, 36, v68
	v_addc_co_u32_e32 v4, vcc, v4, v43, vcc
	v_lshlrev_b64 v[44:45], 2, v[2:3]
	v_lshl_add_u32 v11, v11, 2, 0
	v_writelane_b32 v126, s8, 60
	s_sub_i32 s8, 0, s8
	v_add_co_u32_e32 v2, vcc, s74, v44
	v_mul_u32_u24_e32 v1, 0x90, v1
	buffer_store_dword v11, off, s[0:3], 0 offset:336 ; 4-byte Folded Spill
	v_mul_lo_u32 v11, s8, v10
	buffer_store_dword v2, off, s[0:3], 0 offset:304 ; 4-byte Folded Spill
	v_mov_b32_e32 v2, s75
	v_mul_hi_u32 v11, v10, v11
	v_addc_co_u32_e32 v2, vcc, v2, v45, vcc
	v_add_u32_e32 v1, 0, v1
	v_add_u32_e32 v10, v10, v11
	buffer_store_dword v2, off, s[0:3], 0 offset:308 ; 4-byte Folded Spill
	buffer_store_dword v1, off, s[0:3], 0 offset:312 ; 4-byte Folded Spill
	v_mbcnt_hi_u32_b32 v1, -1, v64
	v_mov_b32_e32 v2, v66
	buffer_store_dword v10, off, s[0:3], 0 offset:132 ; 4-byte Folded Spill
	buffer_store_dword v8, off, s[0:3], 0 offset:284 ; 4-byte Folded Spill
	;; [unrolled: 1-line block ×8, first 2 shown]
	s_nop 0
	buffer_store_dword v3, off, s[0:3], 0 offset:164 ; 4-byte Folded Spill
	s_lshl_b64 s[8:9], s[88:89], 1
	v_writelane_b32 v126, s8, 61
	v_writelane_b32 v126, s9, 62
                                        ; implicit-def: $vgpr127 : SGPR spill to VGPR lane
	v_writelane_b32 v126, s72, 63
	v_writelane_b32 v127, s73, 0
	;; [unrolled: 1-line block ×16, first 2 shown]
	s_mov_b32 s8, s88
	v_writelane_b32 v127, s8, 15
	s_mov_b64 s[48:49], src_private_base
	s_movk_i32 s39, 0x80
	v_and_b32_e32 v10, 7, v66
	v_writelane_b32 v127, s9, 16
	v_mov_b32_e32 v37, 0
	v_cmp_gt_u32_e64 s[4:5], 64, v66
	v_cmp_lt_u32_e64 s[6:7], 63, v66
	s_mov_b32 s48, 0
	v_cmp_gt_u32_e64 s[90:91], 64, v70
	v_add_u32_e32 v71, 32, v70
	v_add_u32_e32 v0, 0x1200, v35
	v_cmp_gt_u32_e64 s[10:11], 32, v70
	v_add_u32_e32 v74, 18, v72
	v_add_u32_e32 v76, 34, v72
	;; [unrolled: 1-line block ×3, first 2 shown]
	v_cmp_gt_u32_e64 s[16:17], 47, v72
	v_cmp_gt_u32_e64 s[18:19], 46, v72
	;; [unrolled: 1-line block ×10, first 2 shown]
	v_or_b32_e32 v80, 1, v72
	v_or_b32_e32 v81, 2, v72
	v_add_u32_e32 v82, 17, v72
	v_add_u32_e32 v83, 19, v72
	;; [unrolled: 1-line block ×6, first 2 shown]
	v_lshlrev_b32_e32 v36, 4, v10
	s_lshl_b64 s[50:51], s[46:47], 8
	s_lshl_b64 s[54:55], s[94:95], 8
	s_mov_b32 s99, 0x42b17218
	s_mov_b32 s97, 0x3fb8aa3b
	;; [unrolled: 1-line block ×5, first 2 shown]
	v_mov_b32_e32 v100, 0x7f800000
	v_writelane_b32 v127, s92, 17
	v_mov_b32_e32 v2, v68
	buffer_store_dword v2, off, s[0:3], 0 offset:168 ; 4-byte Folded Spill
	s_nop 0
	buffer_store_dword v3, off, s[0:3], 0 offset:172 ; 4-byte Folded Spill
	buffer_store_dword v67, off, s[0:3], 0 offset:176 ; 4-byte Folded Spill
	;; [unrolled: 1-line block ×22, first 2 shown]
	s_branch .LBB0_15
.LBB0_14:                               ;   in Loop: Header=BB0_15 Depth=1
	s_or_b64 exec, exec, s[42:43]
	v_readlane_b32 s42, v126, 1
	v_readlane_b32 s8, v127, 18
	s_add_i32 s8, s8, s42
	s_abs_i32 s38, s8
	v_readlane_b32 s40, v126, 30
	s_mul_hi_u32 s40, s38, s40
	v_readlane_b32 s41, v126, 31
	s_mul_i32 s40, s40, s41
	v_readlane_b32 s9, v127, 19
	s_sub_i32 s38, s38, s40
	s_ashr_i32 s9, s8, 31
	s_sub_i32 s40, s38, s41
	s_cmp_ge_u32 s38, s41
	s_cselect_b32 s38, s40, s38
	s_sub_i32 s40, s38, s41
	s_cmp_ge_u32 s38, s41
	s_cselect_b32 s38, s40, s38
	s_xor_b32 s38, s38, s9
	s_sub_i32 s9, s9, s38
	s_add_i32 s40, s8, s9
	v_readlane_b32 s8, v126, 15
	v_readlane_b32 s9, v126, 16
	s_mov_b32 s44, s8
	s_sub_i32 s8, s8, s40
	s_min_i32 s9, s42, s8
	s_cmp_gt_i32 s44, s40
	s_mov_b32 s38, s40
	s_cselect_b64 s[40:41], -1, 0
	s_cmp_le_i32 s42, s8
	v_writelane_b32 v126, s9, 32
	s_cselect_b64 s[8:9], -1, 0
	s_and_b64 s[8:9], s[8:9], s[40:41]
	s_mov_b32 s62, 0
	s_mov_b32 s42, s38
	s_and_b64 vcc, exec, s[8:9]
	s_cbranch_vccz .LBB0_269
.LBB0_15:                               ; =>This Loop Header: Depth=1
                                        ;     Child Loop BB0_57 Depth 2
                                        ;     Child Loop BB0_189 Depth 2
	s_ashr_i32 s8, s42, 31
	v_readlane_b32 s9, v126, 49
	s_xor_b32 s8, s8, s9
	s_abs_i32 s9, s42
	v_readlane_b32 s38, v126, 51
	s_mul_hi_u32 s38, s9, s38
	v_readlane_b32 s43, v126, 50
	s_mul_i32 s40, s38, s43
	s_sub_i32 s9, s9, s40
	s_add_i32 s40, s38, 1
	s_sub_i32 s41, s9, s43
	s_cmp_ge_u32 s9, s43
	s_cselect_b32 s38, s40, s38
	s_cselect_b32 s9, s41, s9
	s_add_i32 s40, s38, 1
	s_cmp_ge_u32 s9, s43
	s_cselect_b32 s9, s40, s38
	s_xor_b32 s9, s9, s8
	v_readlane_b32 s40, v126, 33
	s_sub_i32 s8, s9, s8
	v_readlane_b32 s41, v126, 34
	s_andn2_b64 vcc, exec, s[40:41]
	s_ashr_i32 s38, s8, 31
	s_cbranch_vccnz .LBB0_17
; %bb.16:                               ;   in Loop: Header=BB0_15 Depth=1
	buffer_load_dword v1, off, s[0:3], 0 offset:132 ; 4-byte Folded Reload
	s_abs_i32 s9, s8
	v_readlane_b32 s40, v126, 60
	s_waitcnt vmcnt(0)
	v_mul_hi_u32 v1, s9, v1
	v_mul_lo_u32 v1, v1, s40
	v_sub_u32_e32 v1, s9, v1
	v_subrev_u32_e32 v2, s40, v1
	v_cmp_le_u32_e32 vcc, s40, v1
	v_cndmask_b32_e32 v1, v1, v2, vcc
	v_subrev_u32_e32 v2, s40, v1
	v_cmp_le_u32_e32 vcc, s40, v1
	v_cndmask_b32_e32 v1, v1, v2, vcc
	v_xor_b32_e32 v1, s38, v1
	v_readlane_b32 s40, v126, 21
	v_subrev_u32_e32 v1, s38, v1
	v_readlane_b32 s41, v126, 22
	v_ashrrev_i32_e32 v2, 31, v1
	v_mul_lo_u32 v3, v1, s41
	v_mul_hi_u32 v4, v1, s40
	v_add_u32_e32 v3, v4, v3
	v_mul_lo_u32 v2, v2, s40
	v_mul_lo_u32 v1, v1, s40
	v_add_u32_e32 v2, v3, v2
	v_mov_b32_e32 v3, s79
	v_add_co_u32_e32 v48, vcc, s78, v1
	v_addc_co_u32_e32 v49, vcc, v3, v2, vcc
	s_branch .LBB0_18
.LBB0_17:                               ;   in Loop: Header=BB0_15 Depth=1
	v_pk_mov_b32 v[48:49], 0, 0
.LBB0_18:                               ;   in Loop: Header=BB0_15 Depth=1
	v_readlane_b32 s9, v126, 7
	s_mul_i32 s9, s8, s9
	s_mov_b32 s40, s42
	v_writelane_b32 v127, s40, 18
	s_sub_i32 s9, s42, s9
	v_writelane_b32 v127, s41, 19
	s_ashr_i32 s40, s9, 31
	v_readlane_b32 s41, v126, 52
	s_xor_b32 s40, s40, s41
	s_abs_i32 s41, s9
	v_readlane_b32 s42, v126, 54
	s_mul_hi_u32 s42, s41, s42
	v_readlane_b32 s45, v126, 53
	s_mul_i32 s43, s42, s45
	s_sub_i32 s41, s41, s43
	s_add_i32 s43, s42, 1
	s_sub_i32 s44, s41, s45
	s_cmp_ge_u32 s41, s45
	s_cselect_b32 s42, s43, s42
	s_cselect_b32 s41, s44, s41
	s_add_i32 s43, s42, 1
	s_cmp_ge_u32 s41, s45
	s_cselect_b32 s41, s43, s42
	s_xor_b32 s41, s41, s40
	s_sub_i32 s58, s41, s40
	v_readlane_b32 s40, v126, 6
	s_mul_i32 s40, s58, s40
	s_sub_i32 s9, s9, s40
	s_ashr_i32 s40, s9, 31
	v_readlane_b32 s41, v126, 55
	s_xor_b32 s40, s40, s41
	s_abs_i32 s41, s9
	v_readlane_b32 s42, v126, 57
	s_mul_hi_u32 s42, s41, s42
	v_readlane_b32 s45, v126, 56
	s_mul_i32 s43, s42, s45
	s_sub_i32 s41, s41, s43
	s_add_i32 s43, s42, 1
	s_sub_i32 s44, s41, s45
	s_cmp_ge_u32 s41, s45
	s_cselect_b32 s42, s43, s42
	s_cselect_b32 s41, s44, s41
	s_add_i32 s43, s42, 1
	s_cmp_ge_u32 s41, s45
	s_cselect_b32 s41, s43, s42
	s_xor_b32 s41, s41, s40
	s_sub_i32 s52, s41, s40
	v_readlane_b32 s40, v126, 2
	s_mul_i32 s40, s58, s40
	s_add_i32 s56, s40, s52
	v_readlane_b32 s40, v126, 42
	v_readlane_b32 s41, v126, 43
	s_andn2_b64 vcc, exec, s[40:41]
	v_mov_b32_e32 v120, 1.0
	s_cbranch_vccnz .LBB0_20
; %bb.19:                               ;   in Loop: Header=BB0_15 Depth=1
	v_readlane_b32 s41, v126, 18
	s_sub_i32 s40, s56, s41
	s_lshl_b32 s40, s40, 1
	s_add_i32 s42, s56, 1
	s_or_b32 s43, s40, 1
	s_cmp_lt_u32 s56, s41
	v_readlane_b32 s64, v126, 38
	s_cselect_b64 vcc, -1, 0
	v_readlane_b32 s66, v126, 40
	v_readlane_b32 s67, v126, 41
	s_and_b64 s[40:41], vcc, exec
	v_mov_b32_e32 v1, s67
	v_mov_b32_e32 v2, s66
	s_cselect_b32 s40, s42, s43
	v_cndmask_b32_e32 v18, v1, v2, vcc
	v_cvt_f32_i32_e32 v1, s40
	v_cmp_neq_f32_e32 vcc, 1.0, v18
	s_mov_b32 s40, 0x3f2aaaab
	s_movk_i32 s42, 0x204
	v_cndmask_b32_e32 v19, 1.0, v1, vcc
	v_cmp_eq_f32_e32 vcc, 0, v19
	v_cndmask_b32_e64 v20, |v18|, 1.0, vcc
	v_frexp_mant_f32_e32 v1, v20
	v_cmp_gt_f32_e64 s[40:41], s40, v1
	v_cndmask_b32_e64 v2, 1.0, 2.0, s[40:41]
	v_mul_f32_e32 v1, v1, v2
	v_add_f32_e32 v2, 1.0, v1
	v_rcp_f32_e32 v10, v2
	v_add_f32_e32 v3, -1.0, v2
	v_sub_f32_e32 v5, v1, v3
	v_add_f32_e32 v3, -1.0, v1
	v_mul_f32_e32 v1, v3, v10
	v_mul_f32_e32 v4, v2, v1
	v_fma_f32 v6, v1, v2, -v4
	v_fmac_f32_e32 v6, v1, v5
	v_add_f32_e32 v2, v4, v6
	v_sub_f32_e32 v5, v3, v2
	v_pk_add_f32 v[8:9], v[2:3], v[4:5] neg_lo:[0,1] neg_hi:[0,1]
	v_mov_b32_e32 v7, v2
	v_pk_add_f32 v[2:3], v[8:9], v[6:7] neg_lo:[0,1] neg_hi:[0,1]
	v_add_f32_e32 v2, v2, v3
	v_add_f32_e32 v2, v5, v2
	v_mul_f32_e32 v3, v10, v2
	v_add_f32_e32 v2, v1, v3
	v_sub_f32_e32 v1, v2, v1
	v_sub_f32_e32 v1, v3, v1
	v_mul_f32_e32 v3, v2, v2
	v_fma_f32 v5, v2, v2, -v3
	v_add_f32_e32 v4, v1, v1
	v_fmac_f32_e32 v5, v2, v4
	v_add_f32_e32 v4, v3, v5
	v_mov_b32_e32 v6, 0x3e91f4c4
	v_fmac_f32_e32 v6, 0x3e76c4e1, v4
	v_mov_b32_e32 v7, 0x3ecccdef
	v_fma_f32 v6, v4, v6, v7
	v_sub_f32_e32 v3, v4, v3
	v_sub_f32_e32 v12, v5, v3
	v_mul_f32_e32 v3, v4, v6
	v_fma_f32 v5, v4, v6, -v3
	v_fmac_f32_e32 v5, v12, v6
	v_add_f32_e32 v6, v3, v5
	v_add_f32_e32 v7, 0x3f2aaaaa, v6
	v_sub_f32_e32 v3, v6, v3
	v_sub_f32_e32 v3, v5, v3
	v_add_f32_e32 v5, 0xbf2aaaaa, v7
	v_add_f32_e32 v3, 0x31739010, v3
	v_sub_f32_e32 v5, v6, v5
	v_pk_mul_f32 v[8:9], v[2:3], v[4:5]
	v_fma_f32 v6, v4, v2, -v8
	v_pk_add_f32 v[10:11], v[2:3], v[4:5]
	v_fmac_f32_e32 v6, v4, v1
	v_mov_b32_e32 v9, v11
	v_fmac_f32_e32 v6, v12, v2
	v_pk_add_f32 v[4:5], v[8:9], v[6:7]
	v_sub_f32_e32 v3, v4, v8
	v_sub_f32_e32 v3, v6, v3
	;; [unrolled: 1-line block ×3, first 2 shown]
	v_add_f32_e32 v10, v11, v6
	v_mov_b32_e32 v6, v5
	v_pk_mul_f32 v[6:7], v[4:5], v[6:7]
	v_cvt_f64_f32_e32 v[8:9], v20
	v_frexp_exp_i32_f64_e32 v7, v[8:9]
	v_subbrev_co_u32_e64 v7, s[40:41], 0, v7, s[40:41]
	v_cvt_f32_i32_e32 v7, v7
	v_fma_f32 v8, v4, v5, -v6
	v_fmac_f32_e32 v8, v4, v10
	s_mov_b32 s40, 0x3f317218
	v_mul_f32_e32 v4, 0x3f317218, v7
	v_fmac_f32_e32 v8, v3, v5
	v_fma_f32 v10, v7, s40, -v4
	v_fmac_f32_e32 v10, 0xb102e308, v7
	v_ldexp_f32 v11, v2, 1
	v_add_f32_e32 v5, v6, v8
	v_pk_add_f32 v[2:3], v[4:5], v[10:11]
	v_mov_b32_e32 v12, v5
	v_mov_b32_e32 v13, v3
	;; [unrolled: 1-line block ×3, first 2 shown]
	v_pk_add_f32 v[6:7], v[12:13], v[6:7] neg_lo:[0,1] neg_hi:[0,1]
	v_mov_b32_e32 v9, v5
	v_ldexp_f32 v1, v1, 1
	v_pk_add_f32 v[6:7], v[8:9], v[6:7] neg_lo:[0,1] neg_hi:[0,1]
	v_add_f32_e32 v1, v1, v6
	v_add_f32_e32 v5, v1, v7
	v_pk_add_f32 v[6:7], v[2:3], v[4:5] neg_lo:[0,1] neg_hi:[0,1]
	v_pk_add_f32 v[8:9], v[2:3], v[4:5]
	v_mov_b32_e32 v12, v6
	v_mov_b32_e32 v13, v9
	;; [unrolled: 1-line block ×3, first 2 shown]
	v_pk_add_f32 v[12:13], v[10:11], v[12:13]
	v_mov_b32_e32 v4, v13
	v_pk_add_f32 v[14:15], v[4:5], v[2:3] neg_lo:[0,1] neg_hi:[0,1]
	v_mov_b32_e32 v1, v14
	v_mov_b32_e32 v12, v9
	v_mov_b32_e32 v2, v3
	v_mov_b32_e32 v3, v14
	v_pk_add_f32 v[6:7], v[10:11], v[6:7] neg_lo:[0,1] neg_hi:[0,1]
	v_pk_add_f32 v[16:17], v[8:9], v[0:1] neg_lo:[0,1] neg_hi:[0,1]
	;; [unrolled: 1-line block ×3, first 2 shown]
	v_mov_b32_e32 v10, v5
	v_pk_add_f32 v[2:3], v[10:11], v[2:3] neg_lo:[0,1] neg_hi:[0,1]
	v_mov_b32_e32 v16, v6
	v_pk_add_f32 v[8:9], v[16:17], v[2:3]
	v_mov_b32_e32 v10, v9
	v_pk_add_f32 v[10:11], v[8:9], v[10:11]
	v_pk_add_f32 v[4:5], v[4:5], v[10:11]
	v_mov_b32_e32 v7, v13
	v_mov_b32_e32 v9, v4
	v_pk_add_f32 v[12:13], v[8:9], v[6:7] neg_lo:[0,1] neg_hi:[0,1]
	v_mov_b32_e32 v3, v10
	v_sub_f32_e32 v1, v8, v12
	v_pk_add_f32 v[2:3], v[2:3], v[12:13] neg_lo:[0,1] neg_hi:[0,1]
	v_sub_f32_e32 v1, v6, v1
	v_add_f32_e32 v1, v2, v1
	v_add_f32_e32 v1, v1, v3
	;; [unrolled: 1-line block ×3, first 2 shown]
	v_sub_f32_e32 v3, v2, v4
	v_sub_f32_e32 v1, v1, v3
	v_mul_f32_e32 v3, v19, v2
	v_fma_f32 v2, v19, v2, -v3
	v_fmac_f32_e32 v2, v19, v1
	v_add_f32_e32 v1, v3, v2
	v_cmp_class_f32_e64 s[40:41], v3, s42
	v_sub_f32_e32 v4, v1, v3
	v_cndmask_b32_e64 v1, v1, v3, s[40:41]
	v_cmp_eq_f32_e64 s[40:41], s99, v1
	v_mov_b32_e32 v3, 0x37000000
	v_cndmask_b32_e64 v3, 0, v3, s[40:41]
	v_sub_f32_e32 v2, v2, v4
	v_sub_f32_e32 v4, v1, v3
	v_mul_f32_e32 v5, 0x3fb8aa3b, v4
	v_fma_f32 v6, v4, s97, -v5
	v_rndne_f32_e32 v7, v5
	v_fmac_f32_e32 v6, 0x32a5705f, v4
	v_sub_f32_e32 v5, v5, v7
	v_add_f32_e32 v5, v5, v6
	v_exp_f32_e32 v5, v5
	v_cvt_i32_f32_e32 v6, v7
	s_mov_b32 s43, 0x7f800000
	v_cmp_neq_f32_e64 s[40:41], |v1|, s43
	v_cndmask_b32_e64 v1, 0, v2, s[40:41]
	v_ldexp_f32 v2, v5, v6
	v_cmp_ngt_f32_e64 s[40:41], s98, v4
	v_cndmask_b32_e64 v2, 0, v2, s[40:41]
	v_cmp_nlt_f32_e64 s[40:41], s99, v4
	v_add_f32_e32 v1, v3, v1
	v_cndmask_b32_e64 v2, v100, v2, s[40:41]
	v_fma_f32 v1, v2, v1, v2
	v_cmp_class_f32_e64 s[40:41], v2, s42
	v_trunc_f32_e32 v3, v19
	v_cndmask_b32_e64 v1, v1, v2, s[40:41]
	v_cndmask_b32_e64 v2, v18, 1.0, vcc
	v_cmp_eq_f32_e32 vcc, v3, v19
	v_mul_f32_e32 v3, 0.5, v19
	v_trunc_f32_e32 v4, v3
	v_cmp_neq_f32_e64 s[40:41], v4, v3
	s_and_b64 s[40:41], vcc, s[40:41]
	v_cndmask_b32_e64 v3, 1.0, v2, s[40:41]
	s_brev_b32 s57, -2
	v_bfi_b32 v1, s57, v1, v3
	v_mov_b32_e32 v5, 0x7fc00000
	v_cndmask_b32_e32 v3, v5, v1, vcc
	v_cmp_gt_f32_e32 vcc, 0, v2
	v_cndmask_b32_e32 v1, v1, v3, vcc
	v_cmp_eq_f32_e32 vcc, s43, v20
	v_cmp_eq_f32_e64 s[42:43], 0, v2
	v_cmp_gt_f32_e64 s[44:45], 0, v19
	s_xor_b64 s[44:45], s[44:45], s[42:43]
	v_cndmask_b32_e64 v3, v100, 0, s[44:45]
	v_cndmask_b32_e64 v4, 0, v2, s[40:41]
	v_bfi_b32 v3, s57, v3, v4
	s_or_b64 vcc, vcc, s[42:43]
	v_cndmask_b32_e32 v1, v1, v3, vcc
	v_cmp_o_f32_e32 vcc, v2, v2
	v_cndmask_b32_e32 v120, v5, v1, vcc
	v_readlane_b32 s65, v126, 39
.LBB0_20:                               ;   in Loop: Header=BB0_15 Depth=1
	v_readlane_b32 s40, v126, 3
	s_mul_i32 s52, s52, s40
	s_sub_i32 s9, s9, s52
	s_ashr_i32 s40, s9, 31
	v_readlane_b32 s41, v126, 29
	s_xor_b32 s40, s40, s41
	s_abs_i32 s9, s9
	v_readlane_b32 s41, v126, 30
	s_mul_hi_u32 s41, s9, s41
	v_readlane_b32 s44, v126, 31
	s_mul_i32 s42, s41, s44
	s_sub_i32 s9, s9, s42
	s_add_i32 s42, s41, 1
	s_sub_i32 s43, s9, s44
	s_cmp_ge_u32 s9, s44
	s_cselect_b32 s41, s42, s41
	s_cselect_b32 s9, s43, s9
	s_add_i32 s42, s41, 1
	s_cmp_ge_u32 s9, s44
	s_cselect_b32 s9, s42, s41
	v_readlane_b32 s42, v126, 44
	s_xor_b32 s9, s9, s40
	v_readlane_b32 s43, v126, 45
	s_andn2_b64 vcc, exec, s[42:43]
	s_sub_i32 s59, s9, s40
	s_cbranch_vccnz .LBB0_22
; %bb.21:                               ;   in Loop: Header=BB0_15 Depth=1
	v_readlane_b32 s9, v126, 0
	s_mul_i32 s9, s8, s9
	s_add_i32 s40, s59, s9
	s_ashr_i32 s41, s40, 31
	s_lshl_b64 s[40:41], s[40:41], 2
	s_add_u32 s40, s82, s40
	s_addc_u32 s41, s83, s41
	global_load_dword v1, v37, s[40:41]
	s_waitcnt vmcnt(0)
	v_readfirstlane_b32 s9, v1
	s_ashr_i32 s40, s9, 31
	s_lshr_b32 s40, s40, 26
	s_add_i32 s9, s9, s40
	s_ashr_i32 s9, s9, 6
	v_readlane_b32 s40, v126, 32
	s_min_i32 s40, s40, s9
	v_writelane_b32 v126, s40, 32
.LBB0_22:                               ;   in Loop: Header=BB0_15 Depth=1
	v_readlane_b32 s9, v126, 35
	s_mul_i32 s9, s9, s8
	s_add_i32 s9, s56, s9
	s_lshl_b32 s52, s9, 5
	s_lshl_b64 s[40:41], s[52:53], 3
	s_add_u32 s89, s84, s40
	v_readlane_b32 s42, v126, 19
	s_addc_u32 s9, s85, s41
	v_readlane_b32 s43, v126, 20
	v_writelane_b32 v127, s9, 20
	s_mul_i32 s9, s8, s43
	s_mul_hi_u32 s40, s8, s42
	s_add_i32 s9, s40, s9
	s_mul_i32 s40, s38, s42
	v_readlane_b32 s64, v126, 25
	s_add_i32 s40, s9, s40
	s_mul_i32 s9, s8, s42
	v_readlane_b32 s67, v126, 28
	v_writelane_b32 v127, s9, 21
	s_add_u32 s9, s76, s9
	s_mul_i32 s41, s58, s67
	v_writelane_b32 v127, s40, 22
	s_addc_u32 s40, s77, s40
	s_ashr_i32 s43, s41, 31
	v_writelane_b32 v127, s41, 23
	s_add_u32 s42, s9, s41
	v_writelane_b32 v127, s43, 24
	s_addc_u32 s43, s40, s43
	s_ashr_i32 s57, s56, 31
	s_lshl_b64 s[40:41], s[56:57], 2
	s_add_u32 s9, s80, s40
	s_addc_u32 s44, s81, s41
	v_readlane_b32 s40, v126, 36
	v_readlane_b32 s41, v126, 37
	s_and_b64 s[40:41], s[40:41], exec
	s_cselect_b32 s41, 0, s44
	v_readlane_b32 s44, v126, 10
	s_cselect_b32 s40, 0, s9
	v_readlane_b32 s45, v126, 11
	v_writelane_b32 v127, s40, 25
	s_mul_i32 s9, s8, s45
	v_writelane_b32 v127, s41, 26
	s_ashr_i32 s40, s9, 31
	s_add_u32 s9, s72, s9
	s_mul_i32 s41, s56, s44
	v_readlane_b32 s65, v126, 26
	s_addc_u32 s40, s73, s40
	s_ashr_i32 s44, s41, 31
	s_mov_b64 s[60:61], s[64:65]
	s_add_u32 s52, s9, s41
	s_addc_u32 s9, s40, s44
	s_mul_i32 s40, s8, s61
	s_mul_hi_u32 s41, s8, s60
	s_add_i32 s40, s41, s40
	s_mul_i32 s38, s38, s60
	s_add_i32 s38, s40, s38
	s_mul_i32 s8, s8, s60
	v_readlane_b32 s44, v126, 23
	v_writelane_b32 v127, s8, 27
	s_add_u32 s8, s74, s8
	v_readlane_b32 s45, v126, 24
	v_writelane_b32 v127, s38, 28
	s_addc_u32 s40, s75, s38
	s_mul_i32 s38, s58, s45
	s_ashr_i32 s41, s38, 31
	v_writelane_b32 v127, s38, 29
	s_add_u32 s38, s8, s38
	v_writelane_b32 v127, s41, 30
	s_addc_u32 s8, s40, s41
	s_cmp_lg_u32 s62, 0
	v_writelane_b32 v127, s59, 31
	v_readlane_b32 s66, v126, 27
	s_cbranch_scc0 .LBB0_71
; %bb.23:                               ;   in Loop: Header=BB0_15 Depth=1
	s_lshl_b32 s63, s59, 6
	v_add_u32_e32 v86, s63, v67
	v_cmp_gt_i32_e64 s[40:41], s96, v86
	v_writelane_b32 v127, s40, 46
	v_writelane_b32 v127, s41, 47
	v_cmp_le_i32_e32 vcc, s96, v86
	s_and_saveexec_b64 s[44:45], vcc
	s_xor_b64 s[44:45], exec, s[44:45]
	s_cbranch_execz .LBB0_25
; %bb.24:                               ;   in Loop: Header=BB0_15 Depth=1
	s_waitcnt vmcnt(1)
	ds_write_b32 v59, v37
.LBB0_25:                               ;   in Loop: Header=BB0_15 Depth=1
	s_andn2_saveexec_b64 s[44:45], s[44:45]
	s_cbranch_execz .LBB0_27
; %bb.26:                               ;   in Loop: Header=BB0_15 Depth=1
	v_mad_u64_u32 v[2:3], s[56:57], v86, s92, v[68:69]
	v_ashrrev_i32_e32 v3, 31, v2
	v_lshlrev_b64 v[2:3], 3, v[2:3]
	v_mov_b32_e32 v1, s9
	v_add_co_u32_e32 v2, vcc, s52, v2
	v_addc_co_u32_e32 v3, vcc, v1, v3, vcc
	global_load_dwordx2 v[2:3], v[2:3], off
	s_waitcnt vmcnt(0)
	v_cvt_f16_f32_e32 v1, v2
	v_cvt_f16_f32_e32 v2, v3
	v_pack_b32_f16 v1, v1, v2
	v_pk_mul_f16 v1, v65, v1
	ds_write_b32 v59, v1
.LBB0_27:                               ;   in Loop: Header=BB0_15 Depth=1
	s_or_b64 exec, exec, s[44:45]
	buffer_load_dword v1, off, s[0:3], 0 offset:40 ; 4-byte Folded Reload
	s_waitcnt vmcnt(0)
	v_add_u32_e32 v85, s63, v1
	v_cmp_gt_i32_e64 s[40:41], s96, v85
	v_writelane_b32 v127, s40, 48
	v_writelane_b32 v127, s41, 49
	v_cmp_le_i32_e32 vcc, s96, v85
	s_and_saveexec_b64 s[44:45], vcc
	s_xor_b64 s[44:45], exec, s[44:45]
	s_cbranch_execz .LBB0_29
; %bb.28:                               ;   in Loop: Header=BB0_15 Depth=1
	ds_write_b32 v59, v37 offset:1152
.LBB0_29:                               ;   in Loop: Header=BB0_15 Depth=1
	s_andn2_saveexec_b64 s[44:45], s[44:45]
	s_cbranch_execz .LBB0_31
; %bb.30:                               ;   in Loop: Header=BB0_15 Depth=1
	v_mad_u64_u32 v[2:3], s[56:57], v85, s92, v[68:69]
	v_ashrrev_i32_e32 v3, 31, v2
	v_lshlrev_b64 v[2:3], 3, v[2:3]
	v_mov_b32_e32 v1, s9
	v_add_co_u32_e32 v2, vcc, s52, v2
	v_addc_co_u32_e32 v3, vcc, v1, v3, vcc
	global_load_dwordx2 v[2:3], v[2:3], off
	s_waitcnt vmcnt(0)
	v_cvt_f16_f32_e32 v1, v2
	v_cvt_f16_f32_e32 v2, v3
	v_pack_b32_f16 v1, v1, v2
	v_pk_mul_f16 v1, v65, v1
	ds_write_b32 v59, v1 offset:1152
.LBB0_31:                               ;   in Loop: Header=BB0_15 Depth=1
	s_or_b64 exec, exec, s[44:45]
	buffer_load_dword v1, off, s[0:3], 0 offset:44 ; 4-byte Folded Reload
	s_waitcnt vmcnt(0)
	v_add_u32_e32 v84, s63, v1
	v_cmp_gt_i32_e64 s[40:41], s96, v84
	v_writelane_b32 v127, s40, 50
	v_writelane_b32 v127, s41, 51
	v_cmp_le_i32_e32 vcc, s96, v84
	s_and_saveexec_b64 s[44:45], vcc
	s_xor_b64 s[44:45], exec, s[44:45]
	s_cbranch_execz .LBB0_33
; %bb.32:                               ;   in Loop: Header=BB0_15 Depth=1
	ds_write_b32 v59, v37 offset:2304
.LBB0_33:                               ;   in Loop: Header=BB0_15 Depth=1
	s_andn2_saveexec_b64 s[44:45], s[44:45]
	s_cbranch_execz .LBB0_35
; %bb.34:                               ;   in Loop: Header=BB0_15 Depth=1
	v_mad_u64_u32 v[2:3], s[56:57], v84, s92, v[68:69]
	v_ashrrev_i32_e32 v3, 31, v2
	v_lshlrev_b64 v[2:3], 3, v[2:3]
	v_mov_b32_e32 v1, s9
	v_add_co_u32_e32 v2, vcc, s52, v2
	v_addc_co_u32_e32 v3, vcc, v1, v3, vcc
	global_load_dwordx2 v[2:3], v[2:3], off
	s_waitcnt vmcnt(0)
	v_cvt_f16_f32_e32 v1, v2
	v_cvt_f16_f32_e32 v2, v3
	v_pack_b32_f16 v1, v1, v2
	v_pk_mul_f16 v1, v65, v1
	ds_write_b32 v59, v1 offset:2304
.LBB0_35:                               ;   in Loop: Header=BB0_15 Depth=1
	;; [unrolled: 31-line block ×7, first 2 shown]
	s_or_b64 exec, exec, s[44:45]
	s_waitcnt lgkmcnt(0)
	s_barrier
	ds_read2_b64 v[6:9], v69 offset1:4
	ds_read2_b64 v[2:5], v69 offset0:8 offset1:12
	v_readlane_b32 s40, v126, 32
	s_add_i32 s64, s40, -1
	s_cmp_le_i32 s64, s62
	v_mov_b32_e32 v110, 0
	s_waitcnt lgkmcnt(0)
	s_barrier
	s_cbranch_scc1 .LBB0_72
; %bb.56:                               ;   in Loop: Header=BB0_15 Depth=1
	v_lshlrev_b32_e32 v1, 1, v66
	v_add_co_u32_e32 v91, vcc, v48, v1
	v_add_u32_e32 v1, s63, v105
	v_readlane_b32 s58, v126, 13
	v_mul_hi_u32 v10, s58, v1
	v_readlane_b32 s59, v126, 14
	v_add_u32_e32 v10, v1, v10
	v_lshrrev_b32_e32 v10, s59, v10
	v_mul_lo_u32 v10, v10, s96
	buffer_store_dword v102, off, s[0:3], 0 offset:148 ; 4-byte Folded Spill
	buffer_store_dword v63, off, s[0:3], 0 offset:144 ; 4-byte Folded Spill
	;; [unrolled: 1-line block ×5, first 2 shown]
	v_sub_u32_e32 v1, v1, v10
	v_mad_i64_i32 v[10:11], s[44:45], v1, s88, 0
	buffer_load_dword v1, off, s[0:3], 0 offset:68 ; 4-byte Folded Reload
	buffer_load_dword v29, off, s[0:3], 0 offset:32 ; 4-byte Folded Reload
	v_addc_co_u32_e32 v102, vcc, 0, v49, vcc
	v_cmp_ne_u64_e64 s[56:57], 0, v[48:49]
	v_mov_b32_e32 v87, 0
	v_mov_b32_e32 v50, v120
	;; [unrolled: 1-line block ×3, first 2 shown]
	s_lshl_b32 s60, s62, 6
	v_mov_b32_e32 v114, 0xfeffffff
	v_lshlrev_b64 v[52:53], 1, v[10:11]
	v_mov_b32_e32 v88, 0
	v_mov_b32_e32 v90, 0
	;; [unrolled: 1-line block ×6, first 2 shown]
	s_waitcnt vmcnt(1)
	v_add_u32_e32 v1, s63, v1
	v_mul_hi_u32 v12, s58, v1
	v_add_u32_e32 v12, v1, v12
	v_lshrrev_b32_e32 v12, s59, v12
	v_mul_lo_u32 v12, v12, s96
	v_sub_u32_e32 v1, v1, v12
	v_mad_i64_i32 v[12:13], s[44:45], v1, s88, 0
	buffer_load_dword v1, off, s[0:3], 0 offset:72 ; 4-byte Folded Reload
	v_lshlrev_b64 v[54:55], 1, v[12:13]
	s_waitcnt vmcnt(0)
	v_add_u32_e32 v1, s63, v1
	v_mul_hi_u32 v14, s58, v1
	v_add_u32_e32 v14, v1, v14
	v_lshrrev_b32_e32 v14, s59, v14
	v_mul_lo_u32 v14, v14, s96
	v_sub_u32_e32 v1, v1, v14
	v_mad_i64_i32 v[14:15], s[44:45], v1, s88, 0
	buffer_load_dword v1, off, s[0:3], 0 offset:76 ; 4-byte Folded Reload
	v_lshlrev_b64 v[56:57], 1, v[14:15]
	;; [unrolled: 10-line block ×14, first 2 shown]
	s_waitcnt vmcnt(0)
	v_add_u32_e32 v1, s63, v1
	v_mul_hi_u32 v27, s58, v1
	v_add_u32_e32 v27, v1, v27
	v_lshrrev_b32_e32 v27, s59, v27
	v_mul_lo_u32 v27, v27, s96
	v_sub_u32_e32 v1, v1, v27
	v_mad_i64_i32 v[82:83], s[44:45], v1, s88, 0
	v_and_b32_e32 v1, 64, v29
	v_add_u32_e32 v1, 64, v1
	v_xor_b32_e32 v27, 32, v29
	v_cmp_lt_i32_e32 vcc, v27, v1
	v_cndmask_b32_e32 v27, v29, v27, vcc
	v_lshlrev_b32_e32 v104, 2, v27
	v_xor_b32_e32 v27, 16, v29
	v_cmp_lt_i32_e32 vcc, v27, v1
	v_cndmask_b32_e32 v1, v29, v27, vcc
	v_lshlrev_b32_e32 v106, 2, v1
	v_mov_b32_e32 v27, 0
	v_lshlrev_b64 v[82:83], 1, v[82:83]
	v_mov_b32_e32 v1, 0
.LBB0_57:                               ;   Parent Loop BB0_15 Depth=1
                                        ; =>  This Inner Loop Header: Depth=2
	s_nop 0
	v_cndmask_b32_e64 v10, 0, 1, s[56:57]
	v_cmp_ne_u32_e64 s[58:59], 1, v10
	s_andn2_b64 vcc, exec, s[56:57]
	s_ashr_i32 s61, s60, 31
	s_cbranch_vccnz .LBB0_67
; %bb.58:                               ;   in Loop: Header=BB0_57 Depth=2
                                        ; implicit-def: $sgpr65
	s_and_saveexec_b64 s[44:45], s[6:7]
	s_xor_b64 s[44:45], exec, s[44:45]
	s_cbranch_execz .LBB0_60
; %bb.59:                               ;   in Loop: Header=BB0_57 Depth=2
	v_add_u32_e32 v10, 0x240, v96
	ds_write_b16 v10, v37 offset:9216
	v_add_u32_e32 v10, 0x480, v96
	ds_write_b16 v10, v37 offset:9216
	;; [unrolled: 2-line block ×3, first 2 shown]
	ds_write_b16 v10, v37 offset:9216
	s_mov_b32 s65, 0
.LBB0_60:                               ;   in Loop: Header=BB0_57 Depth=2
	s_or_saveexec_b64 s[44:45], s[44:45]
	s_lshl_b64 s[66:67], s[60:61], 1
	v_mov_b32_e32 v11, s67
	v_add_co_u32_e32 v10, vcc, s66, v91
	v_addc_co_u32_e32 v11, vcc, v102, v11, vcc
	v_mov_b32_e32 v12, s65
	v_mov_b32_e32 v13, s65
	;; [unrolled: 1-line block ×4, first 2 shown]
	s_xor_b64 exec, exec, s[44:45]
	s_cbranch_execz .LBB0_62
; %bb.61:                               ;   in Loop: Header=BB0_57 Depth=2
	v_add_co_u32_e32 v12, vcc, v10, v52
	v_addc_co_u32_e32 v13, vcc, v11, v53, vcc
	flat_load_ushort v14, v[12:13]
	v_add_co_u32_e32 v12, vcc, v10, v54
	v_addc_co_u32_e32 v13, vcc, v11, v55, vcc
	flat_load_ushort v15, v[12:13]
	;; [unrolled: 3-line block ×4, first 2 shown]
	v_add_u32_e32 v13, 0x240, v96
	s_waitcnt vmcnt(0) lgkmcnt(0)
	ds_write_b16 v96, v14 offset:9216
	ds_write_b16 v13, v15 offset:9216
	v_add_u32_e32 v13, 0x480, v96
	ds_write_b16 v13, v16 offset:9216
	v_add_u32_e32 v13, 0x6c0, v96
	ds_write_b16 v13, v12 offset:9216
	v_add_co_u32_e32 v12, vcc, v10, v60
	v_addc_co_u32_e32 v13, vcc, v11, v61, vcc
	v_add_co_u32_e32 v14, vcc, v10, v62
	v_addc_co_u32_e32 v15, vcc, v11, v63, vcc
	flat_load_ushort v12, v[12:13]
	s_nop 0
	flat_load_ushort v13, v[14:15]
	v_add_co_u32_e32 v14, vcc, v10, v64
	v_addc_co_u32_e32 v15, vcc, v11, v65, vcc
	v_add_co_u32_e32 v16, vcc, v10, v66
	v_addc_co_u32_e32 v17, vcc, v11, v67, vcc
	flat_load_ushort v14, v[14:15]
	s_nop 0
	flat_load_ushort v15, v[16:17]
.LBB0_62:                               ;   in Loop: Header=BB0_57 Depth=2
	s_or_b64 exec, exec, s[44:45]
	v_add_u32_e32 v16, 0x900, v96
	s_waitcnt vmcnt(0) lgkmcnt(0)
	ds_write_b16 v16, v12 offset:9216
	v_add_u32_e32 v12, 0xb40, v96
	ds_write_b16 v12, v13 offset:9216
	v_add_u32_e32 v12, 0xd80, v96
	;; [unrolled: 2-line block ×3, first 2 shown]
	ds_write_b16 v12, v15 offset:9216
                                        ; implicit-def: $sgpr61
	s_and_saveexec_b64 s[44:45], s[6:7]
	s_xor_b64 s[44:45], exec, s[44:45]
	s_cbranch_execz .LBB0_64
; %bb.63:                               ;   in Loop: Header=BB0_57 Depth=2
	v_add_u32_e32 v10, 0x1200, v96
	ds_write_b16 v10, v37 offset:9216
	v_add_u32_e32 v10, 0x1440, v96
	ds_write_b16 v10, v37 offset:9216
	;; [unrolled: 2-line block ×4, first 2 shown]
	s_mov_b32 s61, 0
                                        ; implicit-def: $vgpr10
                                        ; implicit-def: $vgpr11
.LBB0_64:                               ;   in Loop: Header=BB0_57 Depth=2
	s_or_saveexec_b64 s[44:45], s[44:45]
	v_mov_b32_e32 v12, s61
	v_mov_b32_e32 v13, s61
	;; [unrolled: 1-line block ×4, first 2 shown]
	s_xor_b64 exec, exec, s[44:45]
	s_cbranch_execz .LBB0_66
; %bb.65:                               ;   in Loop: Header=BB0_57 Depth=2
	v_add_co_u32_e32 v12, vcc, v10, v68
	v_addc_co_u32_e32 v13, vcc, v11, v69, vcc
	flat_load_ushort v14, v[12:13]
	v_add_co_u32_e32 v12, vcc, v10, v70
	v_addc_co_u32_e32 v13, vcc, v11, v71, vcc
	flat_load_ushort v15, v[12:13]
	v_add_co_u32_e32 v12, vcc, v10, v72
	v_addc_co_u32_e32 v13, vcc, v11, v73, vcc
	flat_load_ushort v16, v[12:13]
	v_add_co_u32_e32 v12, vcc, v10, v74
	v_addc_co_u32_e32 v13, vcc, v11, v75, vcc
	flat_load_ushort v12, v[12:13]
	v_add_u32_e32 v13, 0x1200, v96
	s_waitcnt vmcnt(0) lgkmcnt(0)
	ds_write_b16 v13, v14 offset:9216
	v_add_u32_e32 v13, 0x1440, v96
	ds_write_b16 v13, v15 offset:9216
	v_add_u32_e32 v13, 0x1680, v96
	;; [unrolled: 2-line block ×3, first 2 shown]
	ds_write_b16 v13, v12 offset:9216
	v_add_co_u32_e32 v12, vcc, v10, v76
	v_addc_co_u32_e32 v13, vcc, v11, v77, vcc
	v_add_co_u32_e32 v14, vcc, v10, v78
	v_addc_co_u32_e32 v15, vcc, v11, v79, vcc
	flat_load_ushort v12, v[12:13]
	s_nop 0
	flat_load_ushort v13, v[14:15]
	v_add_co_u32_e32 v14, vcc, v10, v80
	v_addc_co_u32_e32 v15, vcc, v11, v81, vcc
	v_add_co_u32_e32 v10, vcc, v10, v82
	v_addc_co_u32_e32 v11, vcc, v11, v83, vcc
	flat_load_ushort v14, v[14:15]
	s_nop 0
	flat_load_ushort v15, v[10:11]
.LBB0_66:                               ;   in Loop: Header=BB0_57 Depth=2
	s_or_b64 exec, exec, s[44:45]
	v_add_u32_e32 v10, 0x1b00, v96
	s_waitcnt vmcnt(0) lgkmcnt(0)
	ds_write_b16 v10, v12 offset:9216
	v_add_u32_e32 v10, 0x1d40, v96
	ds_write_b16 v10, v13 offset:9216
	v_add_u32_e32 v10, 0x1f80, v96
	;; [unrolled: 2-line block ×3, first 2 shown]
	ds_write_b16 v10, v15 offset:9216
.LBB0_67:                               ;   in Loop: Header=BB0_57 Depth=2
	s_mul_hi_i32 s45, s60, s94
	s_mul_i32 s44, s60, s94
	s_lshl_b64 s[44:45], s[44:45], 2
	s_add_u32 s44, s38, s44
	s_addc_u32 s45, s8, s45
	v_add_co_u32_e32 v10, vcc, s44, v42
	v_mov_b32_e32 v11, s45
	v_addc_co_u32_e32 v11, vcc, v11, v43, vcc
	v_lshlrev_b32_e32 v29, 2, v118
	v_add_co_u32_e32 v10, vcc, v10, v29
	v_addc_co_u32_e32 v11, vcc, 0, v11, vcc
	v_mov_b32_e32 v14, s49
	v_mov_b32_e32 v15, s48
	buffer_store_dword v37, off, s[0:3], 0
	buffer_store_dword v37, off, s[0:3], 0 offset:4
	buffer_store_dword v37, off, s[0:3], 0 offset:8
	;; [unrolled: 1-line block ×3, first 2 shown]
	v_cndmask_b32_e64 v11, v14, v11, s[90:91]
	v_cndmask_b32_e64 v10, v15, v10, s[90:91]
	flat_load_dwordx4 v[10:13], v[10:11]
	v_add_u32_e32 v18, 0x800, v99
	v_add_u32_e32 v31, 0x1000, v99
	s_waitcnt vmcnt(0) lgkmcnt(0)
	ds_write_b128 v35, v[10:13]
	v_add_co_u32_e32 v10, vcc, s44, v44
	v_mov_b32_e32 v11, s45
	v_addc_co_u32_e32 v11, vcc, v11, v45, vcc
	v_add_co_u32_e32 v10, vcc, v10, v29
	v_addc_co_u32_e32 v11, vcc, 0, v11, vcc
	v_cndmask_b32_e64 v11, v14, v11, s[10:11]
	v_cndmask_b32_e64 v10, v15, v10, s[10:11]
	flat_load_dwordx4 v[10:13], v[10:11]
	s_and_b64 vcc, exec, s[58:59]
	s_waitcnt vmcnt(0) lgkmcnt(0)
	ds_write_b128 v0, v[10:13]
	s_waitcnt lgkmcnt(0)
	s_barrier
	ds_read2_b64 v[10:13], v99 offset1:4
	s_waitcnt lgkmcnt(0)
	v_mfma_f32_16x16x16f16 v[14:17], v[10:11], v[6:7], 0
	v_mfma_f32_16x16x16f16 v[10:13], v[12:13], v[8:9], v[14:17]
	s_nop 7
	s_nop 1
	ds_read2_b64 v[14:17], v99 offset0:8 offset1:12
	s_waitcnt lgkmcnt(0)
	v_mfma_f32_16x16x16f16 v[10:13], v[14:15], v[2:3], v[10:13]
	v_mfma_f32_16x16x16f16 v[22:25], v[16:17], v[4:5], v[10:13]
	s_nop 7
	s_nop 1
	ds_read2_b64 v[10:13], v18 offset0:32 offset1:36
	;; [unrolled: 6-line block ×5, first 2 shown]
	s_waitcnt lgkmcnt(0)
	v_mfma_f32_16x16x16f16 v[10:13], v[14:15], v[2:3], v[10:13]
	v_add_u32_e32 v31, 0x1800, v99
	v_mfma_f32_16x16x16f16 v[14:17], v[16:17], v[4:5], v[10:13]
	s_nop 7
	s_nop 0
	ds_read2_b64 v[10:13], v31 offset0:96 offset1:100
	s_waitcnt lgkmcnt(0)
	v_mfma_f32_16x16x16f16 v[122:125], v[10:11], v[6:7], 0
	v_mfma_f32_16x16x16f16 v[10:13], v[12:13], v[8:9], v[122:125]
	s_nop 7
	s_nop 1
	ds_read2_b64 v[122:125], v31 offset0:104 offset1:108
	s_waitcnt lgkmcnt(0)
	v_mfma_f32_16x16x16f16 v[10:13], v[122:123], v[2:3], v[10:13]
	s_barrier
	v_mfma_f32_16x16x16f16 v[10:13], v[124:125], v[4:5], v[10:13]
	s_cbranch_vccnz .LBB0_69
; %bb.68:                               ;   in Loop: Header=BB0_57 Depth=2
	buffer_load_dword v31, off, s[0:3], 0 offset:16 ; 4-byte Folded Reload
	v_mov_b32_e32 v121, v120
	s_waitcnt vmcnt(0)
	ds_read_b32 v31, v31 offset:9216
	s_waitcnt lgkmcnt(0)
	v_cvt_f32_f16_sdwa v47, v31 dst_sel:DWORD dst_unused:UNUSED_PAD src0_sel:WORD_1
	v_cvt_f32_f16_e32 v46, v31
	buffer_load_dword v31, off, s[0:3], 0 offset:20 ; 4-byte Folded Reload
	v_pk_fma_f32 v[22:23], v[50:51], v[46:47], v[22:23]
	s_waitcnt vmcnt(0)
	ds_read_b32 v31, v31 offset:9216
	s_waitcnt lgkmcnt(0)
	v_cvt_f32_f16_sdwa v123, v31 dst_sel:DWORD dst_unused:UNUSED_PAD src0_sel:WORD_1
	v_cvt_f32_f16_e32 v122, v31
	buffer_load_dword v31, off, s[0:3], 0 offset:24 ; 4-byte Folded Reload
	v_pk_fma_f32 v[24:25], v[120:121], v[122:123], v[24:25]
	s_waitcnt vmcnt(0)
	v_add_u32_e32 v31, 0x2400, v31
	ds_read2_b32 v[46:47], v31 offset1:1
	buffer_load_dword v31, off, s[0:3], 0 offset:28 ; 4-byte Folded Reload
	s_waitcnt lgkmcnt(0)
	v_cvt_f32_f16_e32 v122, v46
	v_cvt_f32_f16_sdwa v123, v46 dst_sel:DWORD dst_unused:UNUSED_PAD src0_sel:WORD_1
	v_cvt_f32_f16_e32 v46, v47
	v_cvt_f32_f16_sdwa v47, v47 dst_sel:DWORD dst_unused:UNUSED_PAD src0_sel:WORD_1
	v_pk_fma_f32 v[18:19], v[50:51], v[122:123], v[18:19]
	v_pk_fma_f32 v[20:21], v[120:121], v[46:47], v[20:21]
	s_waitcnt vmcnt(0)
	v_add_u32_e32 v31, 0x2400, v31
	ds_read2_b32 v[46:47], v31 offset1:1
	v_add_u32_e32 v31, 0x2400, v119
	s_waitcnt lgkmcnt(0)
	v_cvt_f32_f16_e32 v122, v46
	v_cvt_f32_f16_sdwa v123, v46 dst_sel:DWORD dst_unused:UNUSED_PAD src0_sel:WORD_1
	v_cvt_f32_f16_e32 v46, v47
	v_cvt_f32_f16_sdwa v47, v47 dst_sel:DWORD dst_unused:UNUSED_PAD src0_sel:WORD_1
	v_pk_fma_f32 v[14:15], v[50:51], v[122:123], v[14:15]
	v_pk_fma_f32 v[16:17], v[120:121], v[46:47], v[16:17]
	ds_read2_b32 v[46:47], v31 offset1:1
	s_waitcnt lgkmcnt(0)
	v_cvt_f32_f16_e32 v122, v46
	v_cvt_f32_f16_sdwa v123, v46 dst_sel:DWORD dst_unused:UNUSED_PAD src0_sel:WORD_1
	v_cvt_f32_f16_e32 v46, v47
	v_cvt_f32_f16_sdwa v47, v47 dst_sel:DWORD dst_unused:UNUSED_PAD src0_sel:WORD_1
	v_pk_fma_f32 v[10:11], v[50:51], v[122:123], v[10:11]
	v_pk_fma_f32 v[12:13], v[120:121], v[46:47], v[12:13]
.LBB0_69:                               ;   in Loop: Header=BB0_57 Depth=2
	v_add_f32_e32 v31, 0x40051340, v22
	v_max_f32_e32 v46, v114, v114
	v_max_f32_e32 v31, v46, v31
	v_cndmask_b32_e64 v31, v114, v31, s[12:13]
	v_add_f32_e32 v46, 0x40051340, v23
	v_max_f32_e32 v31, v31, v31
	v_max_f32_e32 v31, v31, v46
	v_cndmask_b32_e64 v31, v114, v31, s[12:13]
	;; [unrolled: 4-line block ×16, first 2 shown]
	ds_bpermute_b32 v46, v104, v31
	v_max_f32_e32 v31, v31, v31
	v_cndmask_b32_e64 v24, v24, v24, s[12:13]
	v_cndmask_b32_e64 v25, v25, v25, s[12:13]
	;; [unrolled: 1-line block ×3, first 2 shown]
	s_waitcnt lgkmcnt(0)
	v_max_f32_e32 v46, v46, v46
	v_max_f32_e32 v31, v31, v46
	ds_bpermute_b32 v46, v106, v31
	v_cndmask_b32_e64 v20, v20, v20, s[14:15]
	v_cndmask_b32_e64 v21, v21, v21, s[14:15]
	;; [unrolled: 1-line block ×4, first 2 shown]
	s_waitcnt lgkmcnt(0)
	v_max_f32_e32 v46, v46, v46
	v_max_f32_e32 v47, v31, v46
	v_sub_f32_e32 v22, v22, v47
	v_mul_f32_e32 v31, 0x3fb8aa3b, v22
	v_fma_f32 v46, v22, s97, -v31
	v_rndne_f32_e32 v105, v31
	v_fmac_f32_e32 v46, 0x32a5705f, v22
	v_sub_f32_e32 v31, v31, v105
	v_add_f32_e32 v31, v31, v46
	v_exp_f32_e32 v31, v31
	v_cvt_i32_f32_e32 v46, v105
	v_sub_f32_e32 v23, v23, v47
	v_cmp_ngt_f32_e32 vcc, s98, v22
	v_sub_f32_e32 v24, v24, v47
	v_ldexp_f32 v31, v31, v46
	v_mul_f32_e32 v46, 0x3fb8aa3b, v23
	v_fma_f32 v105, v23, s97, -v46
	v_rndne_f32_e32 v109, v46
	v_fmac_f32_e32 v105, 0x32a5705f, v23
	v_sub_f32_e32 v46, v46, v109
	v_add_f32_e32 v46, v46, v105
	v_exp_f32_e32 v46, v46
	v_cvt_i32_f32_e32 v105, v109
	v_cndmask_b32_e32 v31, 0, v31, vcc
	v_cmp_nlt_f32_e32 vcc, s99, v22
	v_cndmask_b32_e32 v31, v100, v31, vcc
	v_ldexp_f32 v46, v46, v105
	v_cmp_ngt_f32_e32 vcc, s98, v23
	v_cndmask_b32_e32 v46, 0, v46, vcc
	v_cmp_nlt_f32_e32 vcc, s99, v23
	v_cndmask_b32_e32 v46, v100, v46, vcc
	v_mov_b32_e32 v23, s53
	v_cndmask_b32_e64 v22, 0, v31, s[12:13]
	v_add_f32_e32 v31, v31, v46
	v_cndmask_b32_e64 v23, v23, v46, s[12:13]
	v_mul_f32_e32 v46, 0x3fb8aa3b, v24
	v_fma_f32 v105, v24, s97, -v46
	v_rndne_f32_e32 v109, v46
	v_fmac_f32_e32 v105, 0x32a5705f, v24
	v_sub_f32_e32 v46, v46, v109
	v_add_f32_e32 v46, v46, v105
	v_exp_f32_e32 v46, v46
	v_cvt_i32_f32_e32 v105, v109
	v_cmp_ngt_f32_e32 vcc, s98, v24
	v_sub_f32_e32 v18, v18, v47
	v_sub_f32_e32 v19, v19, v47
	v_ldexp_f32 v46, v46, v105
	v_cndmask_b32_e32 v46, 0, v46, vcc
	v_cmp_nlt_f32_e32 vcc, s99, v24
	v_cndmask_b32_e32 v46, v100, v46, vcc
	v_mov_b32_e32 v24, s53
	v_cndmask_b32_e64 v121, v24, v46, s[12:13]
	v_sub_f32_e32 v24, v25, v47
	v_mul_f32_e32 v25, 0x3fb8aa3b, v24
	v_add_f32_e32 v31, v31, v46
	v_fma_f32 v46, v24, s97, -v25
	v_rndne_f32_e32 v105, v25
	v_fmac_f32_e32 v46, 0x32a5705f, v24
	v_sub_f32_e32 v25, v25, v105
	v_add_f32_e32 v25, v25, v46
	v_exp_f32_e32 v25, v25
	v_cvt_i32_f32_e32 v46, v105
	v_cmp_ngt_f32_e32 vcc, s98, v24
	v_sub_f32_e32 v20, v20, v47
	v_sub_f32_e32 v21, v21, v47
	v_ldexp_f32 v25, v25, v46
	v_cndmask_b32_e32 v25, 0, v25, vcc
	v_cmp_nlt_f32_e32 vcc, s99, v24
	v_cndmask_b32_e32 v24, v100, v25, vcc
	v_mov_b32_e32 v25, s53
	v_add_f32_e32 v46, v31, v24
	v_cndmask_b32_e64 v31, v25, v24, s[12:13]
	v_mul_f32_e32 v25, 0x3fb8aa3b, v18
	v_cndmask_b32_e64 v24, 0, v46, s[12:13]
	v_fma_f32 v46, v18, s97, -v25
	v_rndne_f32_e32 v105, v25
	v_fmac_f32_e32 v46, 0x32a5705f, v18
	v_sub_f32_e32 v25, v25, v105
	v_add_f32_e32 v25, v25, v46
	v_exp_f32_e32 v25, v25
	v_cvt_i32_f32_e32 v46, v105
	v_cmp_ngt_f32_e32 vcc, s98, v18
	v_sub_f32_e32 v14, v14, v47
	v_sub_f32_e32 v15, v15, v47
	v_ldexp_f32 v25, v25, v46
	v_cndmask_b32_e32 v25, 0, v25, vcc
	v_cmp_nlt_f32_e32 vcc, s99, v18
	v_cndmask_b32_e32 v25, v100, v25, vcc
	v_mov_b32_e32 v18, s53
	v_add_f32_e32 v46, v25, v24
	v_cndmask_b32_e64 v18, v18, v25, s[14:15]
	v_mul_f32_e32 v25, 0x3fb8aa3b, v19
	v_cndmask_b32_e64 v24, v24, v46, s[14:15]
	v_fma_f32 v46, v19, s97, -v25
	v_rndne_f32_e32 v105, v25
	v_fmac_f32_e32 v46, 0x32a5705f, v19
	v_sub_f32_e32 v25, v25, v105
	v_add_f32_e32 v25, v25, v46
	v_exp_f32_e32 v25, v25
	v_cvt_i32_f32_e32 v46, v105
	v_cmp_ngt_f32_e32 vcc, s98, v19
	v_cndmask_b32_e64 v17, v17, v17, s[22:23]
	v_sub_f32_e32 v10, v10, v47
	v_ldexp_f32 v25, v25, v46
	v_cndmask_b32_e32 v25, 0, v25, vcc
	v_cmp_nlt_f32_e32 vcc, s99, v19
	v_cndmask_b32_e32 v25, v100, v25, vcc
	v_mov_b32_e32 v19, s53
	v_add_f32_e32 v46, v25, v24
	v_cndmask_b32_e64 v19, v19, v25, s[16:17]
	v_mul_f32_e32 v25, 0x3fb8aa3b, v20
	v_cndmask_b32_e64 v24, v24, v46, s[16:17]
	v_fma_f32 v46, v20, s97, -v25
	v_rndne_f32_e32 v105, v25
	v_fmac_f32_e32 v46, 0x32a5705f, v20
	v_sub_f32_e32 v25, v25, v105
	v_add_f32_e32 v25, v25, v46
	v_exp_f32_e32 v25, v25
	v_cvt_i32_f32_e32 v46, v105
	v_cmp_ngt_f32_e32 vcc, s98, v20
	v_cndmask_b32_e64 v11, v11, v11, s[4:5]
	v_sub_f32_e32 v11, v11, v47
	v_ldexp_f32 v25, v25, v46
	v_cndmask_b32_e32 v25, 0, v25, vcc
	v_cmp_nlt_f32_e32 vcc, s99, v20
	v_cndmask_b32_e32 v25, v100, v25, vcc
	v_add_f32_e32 v46, v25, v24
	v_mov_b32_e32 v20, s53
	v_cndmask_b32_e64 v116, v20, v25, s[18:19]
	v_cndmask_b32_e64 v20, v24, v46, s[18:19]
	v_mul_f32_e32 v24, 0x3fb8aa3b, v21
	v_fma_f32 v25, v21, s97, -v24
	v_rndne_f32_e32 v46, v24
	v_fmac_f32_e32 v25, 0x32a5705f, v21
	v_sub_f32_e32 v24, v24, v46
	v_add_f32_e32 v24, v24, v25
	v_exp_f32_e32 v24, v24
	v_cvt_i32_f32_e32 v25, v46
	v_cmp_ngt_f32_e32 vcc, s98, v21
	v_cndmask_b32_e64 v12, v12, v12, s[4:5]
	v_cndmask_b32_e64 v13, v13, v13, s[4:5]
	v_ldexp_f32 v24, v24, v25
	v_cndmask_b32_e32 v24, 0, v24, vcc
	v_cmp_nlt_f32_e32 vcc, s99, v21
	v_cndmask_b32_e32 v24, v100, v24, vcc
	v_mov_b32_e32 v21, s53
	v_add_f32_e32 v25, v24, v20
	v_cndmask_b32_e64 v105, v21, v24, s[20:21]
	v_mul_f32_e32 v21, 0x3fb8aa3b, v14
	v_cndmask_b32_e64 v20, v20, v25, s[20:21]
	v_fma_f32 v24, v14, s97, -v21
	v_rndne_f32_e32 v25, v21
	v_fmac_f32_e32 v24, 0x32a5705f, v14
	v_sub_f32_e32 v21, v21, v25
	v_add_f32_e32 v21, v21, v24
	v_exp_f32_e32 v21, v21
	v_cvt_i32_f32_e32 v24, v25
	v_cmp_ngt_f32_e32 vcc, s98, v14
	s_mul_hi_i32 s45, s60, s46
	s_mul_i32 s44, s60, s46
	v_ldexp_f32 v21, v21, v24
	v_cndmask_b32_e32 v21, 0, v21, vcc
	v_cmp_nlt_f32_e32 vcc, s99, v14
	v_cndmask_b32_e32 v21, v100, v21, vcc
	v_add_f32_e32 v24, v21, v20
	v_mov_b32_e32 v14, s53
	v_cndmask_b32_e64 v109, v14, v21, s[22:23]
	v_cndmask_b32_e64 v14, v20, v24, s[22:23]
	v_mul_f32_e32 v20, 0x3fb8aa3b, v15
	v_fma_f32 v21, v15, s97, -v20
	v_rndne_f32_e32 v24, v20
	v_fmac_f32_e32 v21, 0x32a5705f, v15
	v_sub_f32_e32 v20, v20, v24
	v_add_f32_e32 v20, v20, v21
	v_exp_f32_e32 v20, v20
	v_cvt_i32_f32_e32 v21, v24
	v_cmp_ngt_f32_e32 vcc, s98, v15
	s_lshl_b64 s[44:45], s[44:45], 2
	s_add_u32 s44, s42, s44
	v_ldexp_f32 v20, v20, v21
	v_cndmask_b32_e32 v20, 0, v20, vcc
	v_cmp_nlt_f32_e32 vcc, s99, v15
	v_cndmask_b32_e32 v20, v100, v20, vcc
	v_add_f32_e32 v21, v20, v14
	v_mov_b32_e32 v15, s53
	v_cndmask_b32_e64 v122, v15, v20, s[24:25]
	v_cndmask_b32_e64 v15, v14, v21, s[24:25]
	v_sub_f32_e32 v14, v16, v47
	v_mul_f32_e32 v16, 0x3fb8aa3b, v14
	v_fma_f32 v20, v14, s97, -v16
	v_rndne_f32_e32 v21, v16
	v_fmac_f32_e32 v20, 0x32a5705f, v14
	v_sub_f32_e32 v16, v16, v21
	v_add_f32_e32 v16, v16, v20
	v_exp_f32_e32 v16, v16
	v_cvt_i32_f32_e32 v20, v21
	v_cmp_ngt_f32_e32 vcc, s98, v14
	s_addc_u32 s45, s43, s45
	buffer_store_dword v37, off, s[0:3], 0
	buffer_store_dword v37, off, s[0:3], 0 offset:4
	buffer_store_dword v37, off, s[0:3], 0 offset:8
	;; [unrolled: 1-line block ×3, first 2 shown]
	v_ldexp_f32 v16, v16, v20
	v_cndmask_b32_e32 v16, 0, v16, vcc
	v_cmp_nlt_f32_e32 vcc, s99, v14
	v_cndmask_b32_e32 v16, v100, v16, vcc
	v_add_f32_e32 v20, v16, v15
	v_mov_b32_e32 v14, s53
	v_cndmask_b32_e64 v14, v14, v16, s[26:27]
	v_cndmask_b32_e64 v16, v15, v20, s[26:27]
	v_sub_f32_e32 v15, v17, v47
	v_mul_f32_e32 v17, 0x3fb8aa3b, v15
	v_fma_f32 v20, v15, s97, -v17
	v_rndne_f32_e32 v21, v17
	v_fmac_f32_e32 v20, 0x32a5705f, v15
	v_sub_f32_e32 v17, v17, v21
	v_add_f32_e32 v17, v17, v20
	v_exp_f32_e32 v17, v17
	v_cvt_i32_f32_e32 v20, v21
	v_cmp_ngt_f32_e32 vcc, s98, v15
	s_add_i32 s62, s62, 1
	s_add_i32 s60, s60, 64
	v_ldexp_f32 v17, v17, v20
	v_cndmask_b32_e32 v17, 0, v17, vcc
	v_cmp_nlt_f32_e32 vcc, s99, v15
	v_cndmask_b32_e32 v17, v100, v17, vcc
	v_mov_b32_e32 v15, s53
	v_add_f32_e32 v20, v17, v16
	v_cndmask_b32_e64 v15, v15, v17, s[28:29]
	v_mul_f32_e32 v17, 0x3fb8aa3b, v10
	v_cndmask_b32_e64 v16, v16, v20, s[28:29]
	v_fma_f32 v20, v10, s97, -v17
	v_rndne_f32_e32 v21, v17
	v_fmac_f32_e32 v20, 0x32a5705f, v10
	v_sub_f32_e32 v17, v17, v21
	v_add_f32_e32 v17, v17, v20
	v_exp_f32_e32 v17, v17
	v_cvt_i32_f32_e32 v20, v21
	v_cmp_ngt_f32_e32 vcc, s98, v10
	s_cmp_lt_i32 s62, s64
	v_ldexp_f32 v17, v17, v20
	v_cndmask_b32_e32 v17, 0, v17, vcc
	v_cmp_nlt_f32_e32 vcc, s99, v10
	v_cndmask_b32_e32 v17, v100, v17, vcc
	v_add_f32_e32 v20, v17, v16
	v_mov_b32_e32 v10, s53
	v_cndmask_b32_e64 v123, v10, v17, s[4:5]
	v_cndmask_b32_e64 v10, v16, v20, s[4:5]
	v_mul_f32_e32 v16, 0x3fb8aa3b, v11
	v_fma_f32 v17, v11, s97, -v16
	v_rndne_f32_e32 v20, v16
	v_fmac_f32_e32 v17, 0x32a5705f, v11
	v_sub_f32_e32 v16, v16, v20
	v_add_f32_e32 v16, v16, v17
	v_exp_f32_e32 v16, v16
	v_cvt_i32_f32_e32 v17, v20
	v_cmp_ngt_f32_e32 vcc, s98, v11
	v_ldexp_f32 v16, v16, v17
	v_cndmask_b32_e32 v16, 0, v16, vcc
	v_cmp_nlt_f32_e32 vcc, s99, v11
	v_cndmask_b32_e32 v16, v100, v16, vcc
	v_add_f32_e32 v17, v16, v10
	v_mov_b32_e32 v11, s53
	v_cndmask_b32_e64 v124, v11, v16, s[30:31]
	v_cndmask_b32_e64 v11, v10, v17, s[30:31]
	v_sub_f32_e32 v10, v12, v47
	v_mul_f32_e32 v12, 0x3fb8aa3b, v10
	v_fma_f32 v16, v10, s97, -v12
	v_rndne_f32_e32 v17, v12
	v_fmac_f32_e32 v16, 0x32a5705f, v10
	v_sub_f32_e32 v12, v12, v17
	v_add_f32_e32 v12, v12, v16
	v_exp_f32_e32 v12, v12
	v_cvt_i32_f32_e32 v16, v17
	v_cmp_ngt_f32_e32 vcc, s98, v10
	v_ldexp_f32 v12, v12, v16
	v_cndmask_b32_e32 v12, 0, v12, vcc
	v_cmp_nlt_f32_e32 vcc, s99, v10
	v_cndmask_b32_e32 v12, v100, v12, vcc
	v_add_f32_e32 v16, v12, v11
	v_mov_b32_e32 v10, s53
	v_cndmask_b32_e64 v10, v10, v12, s[34:35]
	v_cndmask_b32_e64 v12, v11, v16, s[34:35]
	v_sub_f32_e32 v11, v13, v47
	v_mul_f32_e32 v13, 0x3fb8aa3b, v11
	v_fma_f32 v16, v11, s97, -v13
	v_rndne_f32_e32 v17, v13
	v_fmac_f32_e32 v16, 0x32a5705f, v11
	v_sub_f32_e32 v13, v13, v17
	v_add_f32_e32 v13, v13, v16
	v_exp_f32_e32 v13, v13
	v_cvt_i32_f32_e32 v16, v17
	v_cmp_ngt_f32_e32 vcc, s98, v11
	v_cvt_f16_f32_e32 v10, v10
	v_ldexp_f32 v13, v13, v16
	v_cndmask_b32_e32 v13, 0, v13, vcc
	v_cmp_nlt_f32_e32 vcc, s99, v11
	v_cndmask_b32_e32 v13, v100, v13, vcc
	v_add_f32_e32 v16, v13, v12
	v_mov_b32_e32 v11, s53
	v_cndmask_b32_e64 v24, v12, v16, s[36:37]
	v_sub_f32_e32 v12, v114, v47
	v_cndmask_b32_e64 v11, v11, v13, s[36:37]
	v_mul_f32_e32 v13, 0x3fb8aa3b, v12
	v_fma_f32 v16, v12, s97, -v13
	v_rndne_f32_e32 v17, v13
	v_fmac_f32_e32 v16, 0x32a5705f, v12
	v_sub_f32_e32 v13, v13, v17
	v_add_f32_e32 v13, v13, v16
	v_exp_f32_e32 v13, v13
	v_cvt_i32_f32_e32 v16, v17
	v_cmp_ngt_f32_e32 vcc, s98, v12
	v_cvt_f16_f32_e32 v11, v11
	v_ldexp_f32 v13, v13, v16
	v_cndmask_b32_e32 v13, 0, v13, vcc
	v_cmp_nlt_f32_e32 vcc, s99, v12
	v_cndmask_b32_e32 v13, v100, v13, vcc
	v_cmp_le_f32_e32 vcc, s93, v12
	v_cndmask_b32_e32 v12, 0, v13, vcc
	v_fmac_f32_e32 v24, v27, v12
	v_cvt_f16_f32_e32 v12, v12
	v_cvt_f16_f32_e32 v13, v23
	v_mov_b32_e32 v23, s45
	v_pk_mul_f16 v114, v12, v87 op_sel_hi:[0,1]
	v_pk_mul_f16 v87, v12, v88 op_sel_hi:[0,1]
	;; [unrolled: 1-line block ×8, first 2 shown]
	v_cvt_f16_f32_e32 v12, v22
	v_cvt_f32_f16_sdwa v125, v1 dst_sel:DWORD dst_unused:UNUSED_PAD src0_sel:WORD_1
	v_pack_b32_f16 v20, v12, v13
	v_cvt_f16_f32_e32 v12, v121
	v_cvt_f16_f32_e32 v13, v31
	v_pack_b32_f16 v21, v12, v13
	v_cvt_f16_f32_e32 v12, v18
	v_cvt_f16_f32_e32 v13, v19
	;; [unrolled: 3-line block ×4, first 2 shown]
	v_cvt_f32_f16_e32 v122, v27
	v_pack_b32_f16 v16, v12, v13
	v_cvt_f16_f32_e32 v12, v14
	v_cvt_f16_f32_e32 v13, v15
	v_pack_b32_f16 v15, v10, v11
	v_add_co_u32_e32 v10, vcc, s44, v38
	v_mov_b32_e32 v11, s45
	v_addc_co_u32_e32 v11, vcc, v11, v39, vcc
	v_pack_b32_f16 v17, v12, v13
	v_cvt_f16_f32_e32 v12, v123
	v_cvt_f16_f32_e32 v13, v124
	v_add_co_u32_e32 v10, vcc, v10, v29
	v_addc_co_u32_e32 v11, vcc, 0, v11, vcc
	v_add_co_u32_e32 v22, vcc, s44, v40
	v_addc_co_u32_e32 v23, vcc, v23, v41, vcc
	v_pack_b32_f16 v14, v12, v13
	v_mov_b32_e32 v12, s49
	v_mov_b32_e32 v13, s48
	v_add_co_u32_e32 v22, vcc, v22, v29
	v_cndmask_b32_e64 v11, v12, v11, s[90:91]
	v_cndmask_b32_e64 v10, v13, v10, s[90:91]
	v_addc_co_u32_e32 v23, vcc, 0, v23, vcc
	v_cndmask_b32_e64 v23, v12, v23, s[10:11]
	v_cndmask_b32_e64 v22, v13, v22, s[10:11]
	flat_load_dwordx4 v[10:13], v[10:11]
	v_cvt_f32_f16_sdwa v123, v27 dst_sel:DWORD dst_unused:UNUSED_PAD src0_sel:WORD_1
	v_cvt_f32_f16_e32 v124, v1
	s_waitcnt vmcnt(0) lgkmcnt(0)
	ds_write_b128 v35, v[10:13]
	flat_load_dwordx4 v[10:13], v[22:23]
	s_waitcnt vmcnt(0) lgkmcnt(0)
	ds_write_b128 v0, v[10:13]
	s_waitcnt lgkmcnt(0)
	s_barrier
	ds_read_u16 v22, v111 offset:288
	ds_read_u16 v23, v117
	ds_read_u16 v29, v117 offset:32
	v_cvt_f32_f16_e32 v12, v87
	v_cvt_f32_f16_sdwa v13, v87 dst_sel:DWORD dst_unused:UNUSED_PAD src0_sel:WORD_1
	v_cvt_f32_f16_e32 v10, v114
	s_waitcnt lgkmcnt(1)
	v_perm_b32 v23, v23, v22, s33
	ds_read_u16 v22, v97
	ds_read_u16 v31, v97 offset:32
	ds_read_u16 v87, v111 offset:144
	;; [unrolled: 1-line block ×3, first 2 shown]
	v_cvt_f32_f16_sdwa v11, v114 dst_sel:DWORD dst_unused:UNUSED_PAD src0_sel:WORD_1
	s_waitcnt lgkmcnt(1)
	v_perm_b32 v22, v87, v22, s33
	s_nop 1
	v_mfma_f32_16x16x16f16 v[10:13], v[22:23], v[20:21], v[10:13]
	ds_read_u16 v22, v97 offset:2304
	ds_read_u16 v87, v111 offset:2448
	ds_read_u16 v23, v93 offset:288
	ds_read_u16 v88, v117 offset:2304
	s_waitcnt lgkmcnt(2)
	v_perm_b32 v22, v87, v22, s33
	s_waitcnt lgkmcnt(0)
	v_perm_b32 v23, v88, v23, s33
	s_nop 2
	v_cvt_f16_f32_e32 v10, v10
	v_cvt_f16_f32_e32 v11, v11
	v_cvt_f16_f32_e32 v12, v12
	v_cvt_f16_f32_e32 v13, v13
	v_cvt_f32_f16_e32 v10, v10
	v_cvt_f32_f16_e32 v11, v11
	v_cvt_f32_f16_e32 v12, v12
	v_cvt_f32_f16_e32 v13, v13
	s_nop 1
	v_mfma_f32_16x16x16f16 v[10:13], v[22:23], v[18:19], v[10:13]
	ds_read_u16 v22, v97 offset:4608
	ds_read_u16 v87, v111 offset:4752
	ds_read_u16 v23, v107 offset:288
	ds_read_u16 v88, v117 offset:4608
	s_waitcnt lgkmcnt(2)
	v_perm_b32 v22, v87, v22, s33
	s_waitcnt lgkmcnt(0)
	v_perm_b32 v23, v88, v23, s33
	s_nop 2
	v_cvt_f16_f32_e32 v10, v10
	v_cvt_f16_f32_e32 v11, v11
	v_cvt_f16_f32_e32 v12, v12
	v_cvt_f16_f32_e32 v13, v13
	v_cvt_f32_f16_e32 v10, v10
	v_cvt_f32_f16_e32 v11, v11
	v_cvt_f32_f16_e32 v12, v12
	v_cvt_f32_f16_e32 v13, v13
	;; [unrolled: 19-line block ×3, first 2 shown]
	s_nop 1
	v_mfma_f32_16x16x16f16 v[10:13], v[22:23], v[14:15], v[10:13]
	ds_read_u16 v22, v115 offset:288
	s_waitcnt lgkmcnt(0)
	v_perm_b32 v23, v29, v22, s33
	v_perm_b32 v22, v89, v31, s33
	s_nop 6
	v_cvt_f16_f32_e32 v10, v10
	v_cvt_f16_f32_e32 v11, v11
	;; [unrolled: 1-line block ×4, first 2 shown]
	v_pack_b32_f16 v87, v10, v11
	v_cvt_f32_f16_e32 v10, v90
	v_pack_b32_f16 v88, v12, v13
	v_cvt_f32_f16_sdwa v11, v90 dst_sel:DWORD dst_unused:UNUSED_PAD src0_sel:WORD_1
	v_cvt_f32_f16_e32 v12, v46
	v_cvt_f32_f16_sdwa v13, v46 dst_sel:DWORD dst_unused:UNUSED_PAD src0_sel:WORD_1
	s_nop 1
	v_mfma_f32_16x16x16f16 v[10:13], v[22:23], v[20:21], v[10:13]
	ds_read_u16 v22, v97 offset:2336
	ds_read_u16 v29, v111 offset:2480
	ds_read_u16 v23, v103 offset:288
	ds_read_u16 v31, v117 offset:2336
	s_waitcnt lgkmcnt(2)
	v_perm_b32 v22, v29, v22, s33
	s_waitcnt lgkmcnt(0)
	v_perm_b32 v23, v31, v23, s33
	s_nop 2
	v_cvt_f16_f32_e32 v10, v10
	v_cvt_f16_f32_e32 v11, v11
	v_cvt_f16_f32_e32 v12, v12
	v_cvt_f16_f32_e32 v13, v13
	v_cvt_f32_f16_e32 v10, v10
	v_cvt_f32_f16_e32 v11, v11
	v_cvt_f32_f16_e32 v12, v12
	v_cvt_f32_f16_e32 v13, v13
	s_nop 1
	v_mfma_f32_16x16x16f16 v[10:13], v[22:23], v[18:19], v[10:13]
	ds_read_u16 v22, v97 offset:4640
	ds_read_u16 v29, v111 offset:4784
	ds_read_u16 v23, v34 offset:288
	ds_read_u16 v31, v117 offset:4640
	s_waitcnt lgkmcnt(2)
	v_perm_b32 v22, v29, v22, s33
	s_waitcnt lgkmcnt(0)
	v_perm_b32 v23, v31, v23, s33
	s_nop 2
	v_cvt_f16_f32_e32 v10, v10
	v_cvt_f16_f32_e32 v11, v11
	v_cvt_f16_f32_e32 v12, v12
	v_cvt_f16_f32_e32 v13, v13
	v_cvt_f32_f16_e32 v10, v10
	v_cvt_f32_f16_e32 v11, v11
	v_cvt_f32_f16_e32 v12, v12
	v_cvt_f32_f16_e32 v13, v13
	;; [unrolled: 19-line block ×3, first 2 shown]
	s_nop 1
	v_mfma_f32_16x16x16f16 v[10:13], v[22:23], v[14:15], v[10:13]
	s_nop 7
	s_nop 2
	v_cvt_f16_f32_e32 v10, v10
	v_cvt_f16_f32_e32 v11, v11
	v_cvt_f16_f32_e32 v12, v12
	v_cvt_f16_f32_e32 v13, v13
	v_pack_b32_f16 v90, v10, v11
	v_pack_b32_f16 v89, v12, v13
	ds_read_u16 v10, v97 offset:64
	ds_read_u16 v12, v111 offset:208
	;; [unrolled: 1-line block ×8, first 2 shown]
	s_waitcnt lgkmcnt(6)
	v_perm_b32 v10, v12, v10, s33
	s_waitcnt lgkmcnt(2)
	v_perm_b32 v22, v27, v22, s33
	v_perm_b32 v11, v13, v11, s33
	s_waitcnt lgkmcnt(0)
	v_perm_b32 v23, v29, v23, s33
	v_mfma_f32_16x16x16f16 v[10:13], v[10:11], v[20:21], v[122:125]
	s_nop 7
	s_nop 2
	v_cvt_f16_f32_e32 v1, v10
	v_cvt_f16_f32_e32 v11, v11
	v_cvt_f16_f32_e32 v12, v12
	v_cvt_f16_f32_e32 v13, v13
	v_cvt_f32_f16_e32 v10, v1
	v_cvt_f32_f16_e32 v11, v11
	v_cvt_f32_f16_e32 v12, v12
	v_cvt_f32_f16_e32 v13, v13
	s_nop 1
	v_mfma_f32_16x16x16f16 v[10:13], v[22:23], v[18:19], v[10:13]
	ds_read_u16 v22, v97 offset:4672
	ds_read_u16 v27, v111 offset:4816
	ds_read_u16 v23, v92 offset:288
	ds_read_u16 v29, v117 offset:4672
	s_waitcnt lgkmcnt(2)
	v_perm_b32 v22, v27, v22, s33
	s_waitcnt lgkmcnt(0)
	v_perm_b32 v23, v29, v23, s33
	s_nop 2
	v_cvt_f16_f32_e32 v1, v10
	v_cvt_f16_f32_e32 v11, v11
	v_cvt_f16_f32_e32 v12, v12
	v_cvt_f16_f32_e32 v13, v13
	v_cvt_f32_f16_e32 v10, v1
	v_cvt_f32_f16_e32 v11, v11
	v_cvt_f32_f16_e32 v12, v12
	v_cvt_f32_f16_e32 v13, v13
	s_nop 1
	v_mfma_f32_16x16x16f16 v[10:13], v[22:23], v[16:17], v[10:13]
	ds_read_u16 v22, v97 offset:6976
	ds_read_u16 v27, v111 offset:7120
	ds_read_u16 v23, v28 offset:288
	ds_read_u16 v29, v117 offset:6976
	s_waitcnt lgkmcnt(2)
	v_perm_b32 v22, v27, v22, s33
	s_waitcnt lgkmcnt(0)
	v_perm_b32 v23, v29, v23, s33
	;; [unrolled: 19-line block ×3, first 2 shown]
	s_nop 2
	v_cvt_f16_f32_e32 v1, v10
	v_cvt_f16_f32_e32 v10, v11
	;; [unrolled: 1-line block ×4, first 2 shown]
	v_cvt_f32_f16_sdwa v13, v25 dst_sel:DWORD dst_unused:UNUSED_PAD src0_sel:WORD_1
	v_pack_b32_f16 v1, v1, v10
	v_cvt_f32_f16_e32 v10, v112
	v_pack_b32_f16 v108, v11, v12
	v_cvt_f32_f16_sdwa v11, v112 dst_sel:DWORD dst_unused:UNUSED_PAD src0_sel:WORD_1
	v_cvt_f32_f16_e32 v12, v25
	s_nop 1
	v_mfma_f32_16x16x16f16 v[10:13], v[22:23], v[20:21], v[10:13]
	ds_read_u16 v20, v97 offset:2400
	ds_read_u16 v22, v111 offset:2544
	;; [unrolled: 1-line block ×4, first 2 shown]
	s_waitcnt lgkmcnt(2)
	v_perm_b32 v20, v22, v20, s33
	s_waitcnt lgkmcnt(0)
	v_perm_b32 v21, v23, v21, s33
	s_nop 2
	v_cvt_f16_f32_e32 v10, v10
	v_cvt_f16_f32_e32 v11, v11
	;; [unrolled: 1-line block ×4, first 2 shown]
	v_cvt_f32_f16_e32 v10, v10
	v_cvt_f32_f16_e32 v11, v11
	;; [unrolled: 1-line block ×4, first 2 shown]
	s_nop 1
	v_mfma_f32_16x16x16f16 v[10:13], v[20:21], v[18:19], v[10:13]
	ds_read_u16 v18, v97 offset:4704
	ds_read_u16 v20, v111 offset:4848
	;; [unrolled: 1-line block ×4, first 2 shown]
	s_waitcnt lgkmcnt(2)
	v_perm_b32 v18, v20, v18, s33
	s_waitcnt lgkmcnt(0)
	v_perm_b32 v19, v21, v19, s33
	s_nop 2
	v_cvt_f16_f32_e32 v10, v10
	v_cvt_f16_f32_e32 v11, v11
	v_cvt_f16_f32_e32 v12, v12
	v_cvt_f16_f32_e32 v13, v13
	v_cvt_f32_f16_e32 v10, v10
	v_cvt_f32_f16_e32 v11, v11
	;; [unrolled: 1-line block ×4, first 2 shown]
	s_nop 1
	v_mfma_f32_16x16x16f16 v[16:19], v[18:19], v[16:17], v[10:13]
	s_nop 7
	s_nop 2
	v_cvt_f16_f32_e32 v11, v16
	v_cvt_f16_f32_e32 v12, v17
	v_cvt_f16_f32_e32 v13, v18
	v_cvt_f16_f32_e32 v16, v19
	ds_read_u16 v10, v97 offset:7008
	ds_read_u16 v17, v111 offset:7152
	;; [unrolled: 1-line block ×4, first 2 shown]
	v_cvt_f32_f16_e32 v20, v11
	v_cvt_f32_f16_e32 v21, v12
	s_waitcnt lgkmcnt(2)
	v_perm_b32 v10, v17, v10, s33
	v_cvt_f32_f16_e32 v22, v13
	s_waitcnt lgkmcnt(0)
	v_perm_b32 v11, v19, v18, s33
	v_cvt_f32_f16_e32 v23, v16
	s_barrier
	s_nop 0
	v_mfma_f32_16x16x16f16 v[10:13], v[10:11], v[14:15], v[20:23]
	s_nop 7
	s_nop 2
	v_cvt_f16_f32_e32 v10, v10
	v_cvt_f16_f32_e32 v11, v11
	;; [unrolled: 1-line block ×4, first 2 shown]
	v_pack_b32_f16 v112, v10, v11
	v_pack_b32_f16 v110, v12, v13
	s_cbranch_scc0 .LBB0_73
; %bb.70:                               ;   in Loop: Header=BB0_57 Depth=2
	v_mov_b32_e32 v27, v24
	v_mov_b32_e32 v114, v47
	s_branch .LBB0_57
.LBB0_71:                               ;   in Loop: Header=BB0_15 Depth=1
	s_mov_b64 s[40:41], 0
                                        ; implicit-def: $vgpr2_vgpr3
                                        ; implicit-def: $vgpr60
	s_cbranch_execnz .LBB0_146
	s_branch .LBB0_267
.LBB0_72:                               ;   in Loop: Header=BB0_15 Depth=1
	v_mov_b32_e32 v24, 0
	v_mov_b32_e32 v47, 0xfeffffff
	;; [unrolled: 1-line block ×9, first 2 shown]
	s_branch .LBB0_74
.LBB0_73:                               ;   in Loop: Header=BB0_15 Depth=1
	buffer_load_dword v58, off, s[0:3], 0 offset:152 ; 4-byte Folded Reload
	buffer_load_dword v65, off, s[0:3], 0 offset:156 ; 4-byte Folded Reload
	;; [unrolled: 1-line block ×32, first 2 shown]
	v_mbcnt_lo_u32_b32 v64, -1, 0
	s_waitcnt vmcnt(31)
	v_bfe_u32 v105, v58, 10, 10
.LBB0_74:                               ;   in Loop: Header=BB0_15 Depth=1
	s_lshl_b32 s44, s62, 6
	v_readlane_b32 s56, v126, 4
	v_cmp_eq_u64_e32 vcc, 0, v[48:49]
	s_sub_i32 s92, s56, s44
	v_cmp_ne_u64_e64 s[60:61], 0, v[48:49]
	s_ashr_i32 s45, s44, 31
	v_readlane_b32 s57, v126, 5
	s_cbranch_vccnz .LBB0_92
; %bb.75:                               ;   in Loop: Header=BB0_15 Depth=1
	s_waitcnt vmcnt(29)
	v_cmp_le_i32_e32 vcc, s92, v66
                                        ; implicit-def: $sgpr62
	s_and_saveexec_b64 s[56:57], vcc
	s_xor_b64 s[56:57], exec, s[56:57]
	s_cbranch_execz .LBB0_77
; %bb.76:                               ;   in Loop: Header=BB0_15 Depth=1
	v_add_u32_e32 v10, 0x240, v96
	ds_write_b16 v96, v37 offset:9216
	ds_write_b16 v10, v37 offset:9216
	s_mov_b32 s62, 0
.LBB0_77:                               ;   in Loop: Header=BB0_15 Depth=1
	s_or_saveexec_b64 s[58:59], s[56:57]
	s_lshl_b64 s[56:57], s[44:45], 1
	v_mov_b32_e32 v10, s57
	v_add_co_u32_e64 v11, s[56:57], s56, v48
	v_addc_co_u32_e64 v12, s[56:57], v49, v10, s[56:57]
	v_lshlrev_b32_e32 v10, 1, v66
	v_add_co_u32_e64 v10, s[56:57], v11, v10
	v_addc_co_u32_e64 v11, s[56:57], 0, v12, s[56:57]
	v_mov_b32_e32 v12, s62
	v_mov_b32_e32 v13, s62
	s_xor_b64 exec, exec, s[58:59]
	s_cbranch_execz .LBB0_79
; %bb.78:                               ;   in Loop: Header=BB0_15 Depth=1
	v_add_u32_e32 v12, s63, v105
	v_readlane_b32 s64, v126, 13
	v_mul_hi_u32 v13, s64, v12
	v_readlane_b32 s65, v126, 14
	v_add_u32_e32 v13, v12, v13
	v_lshrrev_b32_e32 v13, s65, v13
	v_mul_lo_u32 v13, v13, s96
	v_sub_u32_e32 v12, v12, v13
	v_mad_i64_i32 v[12:13], s[56:57], v12, s88, 0
	v_lshlrev_b64 v[12:13], 1, v[12:13]
	v_add_co_u32_e64 v12, s[56:57], v10, v12
	v_addc_co_u32_e64 v13, s[56:57], v11, v13, s[56:57]
	flat_load_ushort v14, v[12:13]
	s_nop 0
	buffer_load_dword v12, off, s[0:3], 0 offset:68 ; 4-byte Folded Reload
	s_waitcnt vmcnt(0)
	v_add_u32_e32 v12, s63, v12
	v_mul_hi_u32 v13, s64, v12
	v_add_u32_e32 v13, v12, v13
	v_lshrrev_b32_e32 v13, s65, v13
	v_mul_lo_u32 v13, v13, s96
	v_sub_u32_e32 v12, v12, v13
	v_mad_i64_i32 v[12:13], s[56:57], v12, s88, 0
	v_lshlrev_b64 v[12:13], 1, v[12:13]
	v_add_co_u32_e64 v12, s[56:57], v10, v12
	v_addc_co_u32_e64 v13, s[56:57], v11, v13, s[56:57]
	flat_load_ushort v12, v[12:13]
	v_add_u32_e32 v13, 0x240, v96
	s_waitcnt lgkmcnt(0)
	ds_write_b16 v96, v14 offset:9216
	s_waitcnt vmcnt(0)
	ds_write_b16 v13, v12 offset:9216
	buffer_load_dword v12, off, s[0:3], 0 offset:72 ; 4-byte Folded Reload
	s_waitcnt vmcnt(0)
	v_add_u32_e32 v12, s63, v12
	v_mul_hi_u32 v13, s64, v12
	v_add_u32_e32 v13, v12, v13
	v_lshrrev_b32_e32 v13, s65, v13
	v_mul_lo_u32 v13, v13, s96
	v_sub_u32_e32 v12, v12, v13
	v_mad_i64_i32 v[12:13], s[56:57], v12, s88, 0
	v_lshlrev_b64 v[12:13], 1, v[12:13]
	v_add_co_u32_e64 v12, s[56:57], v10, v12
	v_addc_co_u32_e64 v13, s[56:57], v11, v13, s[56:57]
	flat_load_ushort v12, v[12:13]
	s_nop 0
	buffer_load_dword v13, off, s[0:3], 0 offset:76 ; 4-byte Folded Reload
	s_waitcnt vmcnt(0)
	v_add_u32_e32 v13, s63, v13
	v_mul_hi_u32 v14, s64, v13
	v_add_u32_e32 v14, v13, v14
	v_lshrrev_b32_e32 v14, s65, v14
	v_mul_lo_u32 v14, v14, s96
	v_sub_u32_e32 v13, v13, v14
	v_mad_i64_i32 v[14:15], s[56:57], v13, s88, 0
	v_lshlrev_b64 v[14:15], 1, v[14:15]
	v_add_co_u32_e64 v14, s[56:57], v10, v14
	v_addc_co_u32_e64 v15, s[56:57], v11, v15, s[56:57]
	flat_load_ushort v13, v[14:15]
.LBB0_79:                               ;   in Loop: Header=BB0_15 Depth=1
	s_or_b64 exec, exec, s[58:59]
	v_add_u32_e32 v14, 0x480, v96
	s_waitcnt lgkmcnt(0)
	ds_write_b16 v14, v12 offset:9216
	v_add_u32_e32 v12, 0x6c0, v96
	s_waitcnt vmcnt(0)
	ds_write_b16 v12, v13 offset:9216
                                        ; implicit-def: $sgpr45
	s_and_saveexec_b64 s[56:57], vcc
	s_xor_b64 s[56:57], exec, s[56:57]
	s_cbranch_execz .LBB0_81
; %bb.80:                               ;   in Loop: Header=BB0_15 Depth=1
	v_add_u32_e32 v12, 0x900, v96
	ds_write_b16 v12, v37 offset:9216
	v_add_u32_e32 v12, 0xb40, v96
	ds_write_b16 v12, v37 offset:9216
	s_mov_b32 s45, 0
.LBB0_81:                               ;   in Loop: Header=BB0_15 Depth=1
	s_or_saveexec_b64 s[58:59], s[56:57]
	v_mov_b32_e32 v12, s45
	v_mov_b32_e32 v13, s45
	s_xor_b64 exec, exec, s[58:59]
	s_cbranch_execz .LBB0_83
; %bb.82:                               ;   in Loop: Header=BB0_15 Depth=1
	buffer_load_dword v12, off, s[0:3], 0 offset:80 ; 4-byte Folded Reload
	v_readlane_b32 s64, v126, 13
	v_readlane_b32 s65, v126, 14
	s_waitcnt vmcnt(0)
	v_add_u32_e32 v12, s63, v12
	v_mul_hi_u32 v13, s64, v12
	v_add_u32_e32 v13, v12, v13
	v_lshrrev_b32_e32 v13, s65, v13
	v_mul_lo_u32 v13, v13, s96
	v_sub_u32_e32 v12, v12, v13
	v_mad_i64_i32 v[12:13], s[56:57], v12, s88, 0
	v_lshlrev_b64 v[12:13], 1, v[12:13]
	v_add_co_u32_e64 v12, s[56:57], v10, v12
	v_addc_co_u32_e64 v13, s[56:57], v11, v13, s[56:57]
	flat_load_ushort v14, v[12:13]
	s_nop 0
	buffer_load_dword v12, off, s[0:3], 0 offset:84 ; 4-byte Folded Reload
	s_waitcnt vmcnt(0)
	v_add_u32_e32 v12, s63, v12
	v_mul_hi_u32 v13, s64, v12
	v_add_u32_e32 v13, v12, v13
	v_lshrrev_b32_e32 v13, s65, v13
	v_mul_lo_u32 v13, v13, s96
	v_sub_u32_e32 v12, v12, v13
	v_mad_i64_i32 v[12:13], s[56:57], v12, s88, 0
	v_lshlrev_b64 v[12:13], 1, v[12:13]
	v_add_co_u32_e64 v12, s[56:57], v10, v12
	v_addc_co_u32_e64 v13, s[56:57], v11, v13, s[56:57]
	flat_load_ushort v12, v[12:13]
	v_add_u32_e32 v13, 0x900, v96
	s_waitcnt lgkmcnt(0)
	ds_write_b16 v13, v14 offset:9216
	v_add_u32_e32 v13, 0xb40, v96
	s_waitcnt vmcnt(0)
	ds_write_b16 v13, v12 offset:9216
	buffer_load_dword v12, off, s[0:3], 0 offset:88 ; 4-byte Folded Reload
	s_waitcnt vmcnt(0)
	v_add_u32_e32 v12, s63, v12
	v_mul_hi_u32 v13, s64, v12
	v_add_u32_e32 v13, v12, v13
	v_lshrrev_b32_e32 v13, s65, v13
	v_mul_lo_u32 v13, v13, s96
	v_sub_u32_e32 v12, v12, v13
	v_mad_i64_i32 v[12:13], s[56:57], v12, s88, 0
	v_lshlrev_b64 v[12:13], 1, v[12:13]
	v_add_co_u32_e64 v12, s[56:57], v10, v12
	v_addc_co_u32_e64 v13, s[56:57], v11, v13, s[56:57]
	flat_load_ushort v12, v[12:13]
	s_nop 0
	buffer_load_dword v13, off, s[0:3], 0 offset:92 ; 4-byte Folded Reload
	s_waitcnt vmcnt(0)
	v_add_u32_e32 v13, s63, v13
	v_mul_hi_u32 v14, s64, v13
	v_add_u32_e32 v14, v13, v14
	v_lshrrev_b32_e32 v14, s65, v14
	v_mul_lo_u32 v14, v14, s96
	v_sub_u32_e32 v13, v13, v14
	v_mad_i64_i32 v[14:15], s[56:57], v13, s88, 0
	v_lshlrev_b64 v[14:15], 1, v[14:15]
	v_add_co_u32_e64 v14, s[56:57], v10, v14
	v_addc_co_u32_e64 v15, s[56:57], v11, v15, s[56:57]
	flat_load_ushort v13, v[14:15]
.LBB0_83:                               ;   in Loop: Header=BB0_15 Depth=1
	s_or_b64 exec, exec, s[58:59]
	v_add_u32_e32 v14, 0xd80, v96
	s_waitcnt lgkmcnt(0)
	ds_write_b16 v14, v12 offset:9216
	v_add_u32_e32 v12, 0xfc0, v96
	s_waitcnt vmcnt(0)
	ds_write_b16 v12, v13 offset:9216
                                        ; implicit-def: $sgpr45
	s_and_saveexec_b64 s[56:57], vcc
	s_xor_b64 s[56:57], exec, s[56:57]
	s_cbranch_execz .LBB0_85
; %bb.84:                               ;   in Loop: Header=BB0_15 Depth=1
	v_add_u32_e32 v12, 0x1200, v96
	ds_write_b16 v12, v37 offset:9216
	v_add_u32_e32 v12, 0x1440, v96
	ds_write_b16 v12, v37 offset:9216
	s_mov_b32 s45, 0
.LBB0_85:                               ;   in Loop: Header=BB0_15 Depth=1
	s_or_saveexec_b64 s[58:59], s[56:57]
	v_mov_b32_e32 v12, s45
	v_mov_b32_e32 v13, s45
	s_xor_b64 exec, exec, s[58:59]
	s_cbranch_execz .LBB0_87
; %bb.86:                               ;   in Loop: Header=BB0_15 Depth=1
	buffer_load_dword v12, off, s[0:3], 0 offset:96 ; 4-byte Folded Reload
	v_readlane_b32 s64, v126, 13
	v_readlane_b32 s65, v126, 14
	s_waitcnt vmcnt(0)
	v_add_u32_e32 v12, s63, v12
	v_mul_hi_u32 v13, s64, v12
	v_add_u32_e32 v13, v12, v13
	v_lshrrev_b32_e32 v13, s65, v13
	v_mul_lo_u32 v13, v13, s96
	v_sub_u32_e32 v12, v12, v13
	v_mad_i64_i32 v[12:13], s[56:57], v12, s88, 0
	v_lshlrev_b64 v[12:13], 1, v[12:13]
	v_add_co_u32_e64 v12, s[56:57], v10, v12
	v_addc_co_u32_e64 v13, s[56:57], v11, v13, s[56:57]
	flat_load_ushort v14, v[12:13]
	s_nop 0
	buffer_load_dword v12, off, s[0:3], 0 offset:100 ; 4-byte Folded Reload
	s_waitcnt vmcnt(0)
	v_add_u32_e32 v12, s63, v12
	v_mul_hi_u32 v13, s64, v12
	v_add_u32_e32 v13, v12, v13
	v_lshrrev_b32_e32 v13, s65, v13
	v_mul_lo_u32 v13, v13, s96
	v_sub_u32_e32 v12, v12, v13
	v_mad_i64_i32 v[12:13], s[56:57], v12, s88, 0
	v_lshlrev_b64 v[12:13], 1, v[12:13]
	v_add_co_u32_e64 v12, s[56:57], v10, v12
	v_addc_co_u32_e64 v13, s[56:57], v11, v13, s[56:57]
	flat_load_ushort v12, v[12:13]
	v_add_u32_e32 v13, 0x1200, v96
	s_waitcnt lgkmcnt(0)
	ds_write_b16 v13, v14 offset:9216
	v_add_u32_e32 v13, 0x1440, v96
	s_waitcnt vmcnt(0)
	ds_write_b16 v13, v12 offset:9216
	buffer_load_dword v12, off, s[0:3], 0 offset:104 ; 4-byte Folded Reload
	s_waitcnt vmcnt(0)
	v_add_u32_e32 v12, s63, v12
	v_mul_hi_u32 v13, s64, v12
	v_add_u32_e32 v13, v12, v13
	v_lshrrev_b32_e32 v13, s65, v13
	v_mul_lo_u32 v13, v13, s96
	v_sub_u32_e32 v12, v12, v13
	v_mad_i64_i32 v[12:13], s[56:57], v12, s88, 0
	v_lshlrev_b64 v[12:13], 1, v[12:13]
	v_add_co_u32_e64 v12, s[56:57], v10, v12
	v_addc_co_u32_e64 v13, s[56:57], v11, v13, s[56:57]
	flat_load_ushort v12, v[12:13]
	s_nop 0
	buffer_load_dword v13, off, s[0:3], 0 offset:108 ; 4-byte Folded Reload
	s_waitcnt vmcnt(0)
	v_add_u32_e32 v13, s63, v13
	v_mul_hi_u32 v14, s64, v13
	v_add_u32_e32 v14, v13, v14
	v_lshrrev_b32_e32 v14, s65, v14
	v_mul_lo_u32 v14, v14, s96
	v_sub_u32_e32 v13, v13, v14
	v_mad_i64_i32 v[14:15], s[56:57], v13, s88, 0
	v_lshlrev_b64 v[14:15], 1, v[14:15]
	v_add_co_u32_e64 v14, s[56:57], v10, v14
	v_addc_co_u32_e64 v15, s[56:57], v11, v15, s[56:57]
	flat_load_ushort v13, v[14:15]
.LBB0_87:                               ;   in Loop: Header=BB0_15 Depth=1
	s_or_b64 exec, exec, s[58:59]
	v_add_u32_e32 v14, 0x1680, v96
	s_waitcnt lgkmcnt(0)
	ds_write_b16 v14, v12 offset:9216
	v_add_u32_e32 v12, 0x18c0, v96
	s_waitcnt vmcnt(0)
	ds_write_b16 v12, v13 offset:9216
                                        ; implicit-def: $sgpr45
	s_and_saveexec_b64 s[56:57], vcc
	s_xor_b64 s[56:57], exec, s[56:57]
	s_cbranch_execz .LBB0_89
; %bb.88:                               ;   in Loop: Header=BB0_15 Depth=1
	v_add_u32_e32 v10, 0x1b00, v96
	ds_write_b16 v10, v37 offset:9216
	v_add_u32_e32 v10, 0x1d40, v96
	ds_write_b16 v10, v37 offset:9216
	s_mov_b32 s45, 0
                                        ; implicit-def: $vgpr10
                                        ; implicit-def: $vgpr11
.LBB0_89:                               ;   in Loop: Header=BB0_15 Depth=1
	s_or_saveexec_b64 s[56:57], s[56:57]
	v_mov_b32_e32 v12, s45
	v_mov_b32_e32 v13, s45
	s_xor_b64 exec, exec, s[56:57]
	s_cbranch_execz .LBB0_91
; %bb.90:                               ;   in Loop: Header=BB0_15 Depth=1
	buffer_load_dword v12, off, s[0:3], 0 offset:112 ; 4-byte Folded Reload
	v_readlane_b32 s64, v126, 13
	v_readlane_b32 s65, v126, 14
	s_waitcnt vmcnt(0)
	v_add_u32_e32 v12, s63, v12
	v_mul_hi_u32 v13, s64, v12
	v_add_u32_e32 v13, v12, v13
	v_lshrrev_b32_e32 v13, s65, v13
	v_mul_lo_u32 v13, v13, s96
	v_sub_u32_e32 v12, v12, v13
	v_mad_i64_i32 v[12:13], s[58:59], v12, s88, 0
	v_lshlrev_b64 v[12:13], 1, v[12:13]
	v_add_co_u32_e32 v12, vcc, v10, v12
	v_addc_co_u32_e32 v13, vcc, v11, v13, vcc
	flat_load_ushort v14, v[12:13]
	s_nop 0
	buffer_load_dword v12, off, s[0:3], 0 offset:116 ; 4-byte Folded Reload
	s_waitcnt vmcnt(0)
	v_add_u32_e32 v12, s63, v12
	v_mul_hi_u32 v13, s64, v12
	v_add_u32_e32 v13, v12, v13
	v_lshrrev_b32_e32 v13, s65, v13
	v_mul_lo_u32 v13, v13, s96
	v_sub_u32_e32 v12, v12, v13
	v_mad_i64_i32 v[12:13], s[58:59], v12, s88, 0
	v_lshlrev_b64 v[12:13], 1, v[12:13]
	v_add_co_u32_e32 v12, vcc, v10, v12
	v_addc_co_u32_e32 v13, vcc, v11, v13, vcc
	flat_load_ushort v12, v[12:13]
	v_add_u32_e32 v13, 0x1b00, v96
	s_waitcnt lgkmcnt(0)
	ds_write_b16 v13, v14 offset:9216
	v_add_u32_e32 v13, 0x1d40, v96
	s_waitcnt vmcnt(0)
	ds_write_b16 v13, v12 offset:9216
	buffer_load_dword v12, off, s[0:3], 0 offset:120 ; 4-byte Folded Reload
	s_waitcnt vmcnt(0)
	v_add_u32_e32 v12, s63, v12
	v_mul_hi_u32 v13, s64, v12
	v_add_u32_e32 v13, v12, v13
	v_lshrrev_b32_e32 v13, s65, v13
	v_mul_lo_u32 v13, v13, s96
	v_sub_u32_e32 v12, v12, v13
	v_mad_i64_i32 v[12:13], s[58:59], v12, s88, 0
	v_lshlrev_b64 v[12:13], 1, v[12:13]
	v_add_co_u32_e32 v12, vcc, v10, v12
	v_addc_co_u32_e32 v13, vcc, v11, v13, vcc
	flat_load_ushort v12, v[12:13]
	s_nop 0
	buffer_load_dword v13, off, s[0:3], 0 offset:124 ; 4-byte Folded Reload
	s_waitcnt vmcnt(0)
	v_add_u32_e32 v13, s63, v13
	v_mul_hi_u32 v14, s64, v13
	v_add_u32_e32 v14, v13, v14
	v_lshrrev_b32_e32 v14, s65, v14
	v_mul_lo_u32 v14, v14, s96
	v_sub_u32_e32 v13, v13, v14
	v_mad_i64_i32 v[14:15], s[58:59], v13, s88, 0
	v_lshlrev_b64 v[14:15], 1, v[14:15]
	v_add_co_u32_e32 v10, vcc, v10, v14
	v_addc_co_u32_e32 v11, vcc, v11, v15, vcc
	flat_load_ushort v13, v[10:11]
.LBB0_91:                               ;   in Loop: Header=BB0_15 Depth=1
	s_or_b64 exec, exec, s[56:57]
	v_add_u32_e32 v10, 0x1f80, v96
	s_waitcnt lgkmcnt(0)
	ds_write_b16 v10, v12 offset:9216
	v_add_u32_e32 v10, 0x21c0, v96
	s_waitcnt vmcnt(0)
	ds_write_b16 v10, v13 offset:9216
.LBB0_92:                               ;   in Loop: Header=BB0_15 Depth=1
	s_mul_hi_i32 s57, s44, s94
	s_mul_i32 s56, s44, s94
	s_lshl_b64 s[56:57], s[56:57], 2
	s_add_u32 s45, s38, s56
	s_addc_u32 s62, s8, s57
	v_add_co_u32_e32 v10, vcc, s45, v42
	v_mov_b32_e32 v11, s62
	v_addc_co_u32_e32 v11, vcc, v11, v43, vcc
	v_lshlrev_b32_e32 v23, 2, v118
	v_add_co_u32_e32 v10, vcc, v10, v23
	s_waitcnt vmcnt(23)
	v_cmp_gt_i32_e64 s[56:57], s92, v70
	v_addc_co_u32_e32 v11, vcc, 0, v11, vcc
	v_mov_b32_e32 v14, s49
	v_mov_b32_e32 v15, s48
	buffer_store_dword v37, off, s[0:3], 0
	buffer_store_dword v37, off, s[0:3], 0 offset:4
	buffer_store_dword v37, off, s[0:3], 0 offset:8
	;; [unrolled: 1-line block ×3, first 2 shown]
	v_cndmask_b32_e64 v11, v14, v11, s[56:57]
	v_cndmask_b32_e64 v10, v15, v10, s[56:57]
	flat_load_dwordx4 v[10:13], v[10:11]
	s_waitcnt vmcnt(0)
	v_cmp_gt_i32_e64 s[58:59], s92, v71
	v_add_u32_e32 v22, 0x800, v99
	s_mov_b32 s40, s89
	s_waitcnt lgkmcnt(0)
	ds_write_b128 v35, v[10:13]
	v_add_co_u32_e32 v10, vcc, s45, v44
	v_mov_b32_e32 v11, s62
	v_addc_co_u32_e32 v11, vcc, v11, v45, vcc
	v_add_co_u32_e32 v10, vcc, v10, v23
	v_addc_co_u32_e32 v11, vcc, 0, v11, vcc
	v_cndmask_b32_e64 v11, v14, v11, s[58:59]
	v_cndmask_b32_e64 v10, v15, v10, s[58:59]
	flat_load_dwordx4 v[10:13], v[10:11]
	s_andn2_b64 vcc, exec, s[60:61]
	s_waitcnt vmcnt(0) lgkmcnt(0)
	ds_write_b128 v0, v[10:13]
	s_waitcnt lgkmcnt(0)
	s_barrier
	ds_read2_b64 v[10:13], v99 offset1:4
	s_waitcnt lgkmcnt(0)
	v_mfma_f32_16x16x16f16 v[14:17], v[10:11], v[6:7], 0
	v_mfma_f32_16x16x16f16 v[10:13], v[12:13], v[8:9], v[14:17]
	s_nop 7
	s_nop 1
	ds_read2_b64 v[14:17], v99 offset0:8 offset1:12
	s_waitcnt lgkmcnt(0)
	v_mfma_f32_16x16x16f16 v[10:13], v[14:15], v[2:3], v[10:13]
	v_mfma_f32_16x16x16f16 v[18:21], v[16:17], v[4:5], v[10:13]
	s_nop 7
	s_nop 1
	ds_read2_b64 v[10:13], v22 offset0:32 offset1:36
	;; [unrolled: 6-line block ×3, first 2 shown]
	s_waitcnt lgkmcnt(0)
	v_mfma_f32_16x16x16f16 v[10:13], v[14:15], v[2:3], v[10:13]
	v_add_u32_e32 v22, 0x1000, v99
	v_mfma_f32_16x16x16f16 v[14:17], v[16:17], v[4:5], v[10:13]
	s_nop 7
	s_nop 0
	ds_read2_b64 v[10:13], v22 offset0:64 offset1:68
	s_waitcnt lgkmcnt(0)
	v_mfma_f32_16x16x16f16 v[50:53], v[10:11], v[6:7], 0
	v_mfma_f32_16x16x16f16 v[10:13], v[12:13], v[8:9], v[50:53]
	s_nop 7
	s_nop 1
	ds_read2_b64 v[50:53], v22 offset0:72 offset1:76
	s_waitcnt lgkmcnt(0)
	v_mfma_f32_16x16x16f16 v[10:13], v[50:51], v[2:3], v[10:13]
	v_add_u32_e32 v22, 0x1800, v99
	v_mfma_f32_16x16x16f16 v[10:13], v[52:53], v[4:5], v[10:13]
	ds_read2_b64 v[50:53], v22 offset0:96 offset1:100
	s_waitcnt lgkmcnt(0)
	v_mfma_f32_16x16x16f16 v[54:57], v[50:51], v[6:7], 0
	v_mfma_f32_16x16x16f16 v[6:9], v[52:53], v[8:9], v[54:57]
	ds_read2_b64 v[50:53], v22 offset0:104 offset1:108
	s_waitcnt lgkmcnt(0)
	s_barrier
	v_mfma_f32_16x16x16f16 v[6:9], v[50:51], v[2:3], v[6:9]
	v_mfma_f32_16x16x16f16 v[2:5], v[52:53], v[4:5], v[6:9]
	s_cbranch_vccnz .LBB0_94
; %bb.93:                               ;   in Loop: Header=BB0_15 Depth=1
	s_nop 7
	s_nop 0
	buffer_load_dword v6, off, s[0:3], 0 offset:16 ; 4-byte Folded Reload
	buffer_load_dword v8, off, s[0:3], 0 offset:20 ; 4-byte Folded Reload
	s_waitcnt vmcnt(1)
	ds_read_b32 v6, v6 offset:9216
	s_waitcnt vmcnt(0)
	ds_read_b32 v8, v8 offset:9216
	s_waitcnt lgkmcnt(1)
	v_cvt_f32_f16_sdwa v7, v6 dst_sel:DWORD dst_unused:UNUSED_PAD src0_sel:WORD_1
	v_cvt_f32_f16_e32 v6, v6
	v_pk_fma_f32 v[18:19], v[120:121], v[6:7], v[18:19] op_sel_hi:[0,1,1]
	buffer_load_dword v6, off, s[0:3], 0 offset:24 ; 4-byte Folded Reload
	s_waitcnt vmcnt(0)
	v_add_u32_e32 v6, 0x2400, v6
	ds_read2_b32 v[6:7], v6 offset1:1
	s_waitcnt lgkmcnt(1)
	v_cvt_f32_f16_sdwa v9, v8 dst_sel:DWORD dst_unused:UNUSED_PAD src0_sel:WORD_1
	v_cvt_f32_f16_e32 v8, v8
	v_pk_fma_f32 v[20:21], v[120:121], v[8:9], v[20:21] op_sel_hi:[0,1,1]
	s_waitcnt lgkmcnt(0)
	v_cvt_f32_f16_e32 v8, v6
	v_cvt_f32_f16_sdwa v9, v6 dst_sel:DWORD dst_unused:UNUSED_PAD src0_sel:WORD_1
	v_cvt_f32_f16_e32 v6, v7
	v_cvt_f32_f16_sdwa v7, v7 dst_sel:DWORD dst_unused:UNUSED_PAD src0_sel:WORD_1
	v_pk_fma_f32 v[14:15], v[120:121], v[8:9], v[14:15] op_sel_hi:[0,1,1]
	v_pk_fma_f32 v[16:17], v[120:121], v[6:7], v[16:17] op_sel_hi:[0,1,1]
	buffer_load_dword v6, off, s[0:3], 0 offset:28 ; 4-byte Folded Reload
	s_waitcnt vmcnt(0)
	v_add_u32_e32 v6, 0x2400, v6
	ds_read2_b32 v[6:7], v6 offset1:1
	s_waitcnt lgkmcnt(0)
	v_cvt_f32_f16_e32 v8, v6
	v_cvt_f32_f16_sdwa v9, v6 dst_sel:DWORD dst_unused:UNUSED_PAD src0_sel:WORD_1
	v_cvt_f32_f16_e32 v6, v7
	v_cvt_f32_f16_sdwa v7, v7 dst_sel:DWORD dst_unused:UNUSED_PAD src0_sel:WORD_1
	v_pk_fma_f32 v[10:11], v[120:121], v[8:9], v[10:11] op_sel_hi:[0,1,1]
	v_pk_fma_f32 v[12:13], v[120:121], v[6:7], v[12:13] op_sel_hi:[0,1,1]
	v_add_u32_e32 v6, 0x2400, v119
	ds_read2_b32 v[6:7], v6 offset1:1
	s_waitcnt lgkmcnt(0)
	v_cvt_f32_f16_e32 v8, v6
	v_cvt_f32_f16_sdwa v9, v6 dst_sel:DWORD dst_unused:UNUSED_PAD src0_sel:WORD_1
	v_cvt_f32_f16_e32 v6, v7
	v_cvt_f32_f16_sdwa v7, v7 dst_sel:DWORD dst_unused:UNUSED_PAD src0_sel:WORD_1
	v_pk_fma_f32 v[2:3], v[120:121], v[8:9], v[2:3] op_sel_hi:[0,1,1]
	v_pk_fma_f32 v[4:5], v[120:121], v[6:7], v[4:5] op_sel_hi:[0,1,1]
.LBB0_94:                               ;   in Loop: Header=BB0_15 Depth=1
	s_nop 7
	s_nop 0
	buffer_load_dword v9, off, s[0:3], 0 offset:32 ; 4-byte Folded Reload
	v_add_f32_e32 v6, 0x40051340, v18
	v_max_f32_e32 v7, v47, v47
	v_cmp_gt_u32_e64 s[88:89], s92, v72
	v_max_f32_e32 v6, v7, v6
	v_cndmask_b32_e64 v6, v47, v6, s[88:89]
	v_add_f32_e32 v7, 0x40051340, v19
	v_max_f32_e32 v8, v6, v6
	v_cmp_gt_u32_e64 s[86:87], s92, v80
	v_max_f32_e32 v7, v8, v7
	v_cndmask_b32_e64 v6, v6, v7, s[86:87]
	;; [unrolled: 5-line block ×15, first 2 shown]
	v_add_f32_e32 v7, 0x40051340, v5
	v_max_f32_e32 v8, v6, v6
	v_cmp_gt_u32_e32 vcc, s92, v114
	v_max_f32_e32 v7, v8, v7
	v_cndmask_b32_e32 v6, v6, v7, vcc
	s_waitcnt vmcnt(0)
	v_and_b32_e32 v7, 64, v9
	v_add_u32_e32 v7, 64, v7
	v_xor_b32_e32 v8, 32, v9
	v_cmp_lt_i32_e64 s[92:93], v8, v7
	v_cndmask_b32_e64 v8, v9, v8, s[92:93]
	v_lshlrev_b32_e32 v22, 2, v8
	ds_bpermute_b32 v8, v22, v6
	v_max_f32_e32 v6, v6, v6
	v_cndmask_b32_e64 v20, v20, v20, s[86:87]
	v_cndmask_b32_e64 v21, v21, v21, s[86:87]
	;; [unrolled: 1-line block ×3, first 2 shown]
	s_waitcnt lgkmcnt(0)
	v_max_f32_e32 v8, v8, v8
	v_max_f32_e32 v6, v6, v8
	v_xor_b32_e32 v8, 16, v9
	v_cmp_lt_i32_e64 s[92:93], v8, v7
	v_cndmask_b32_e64 v7, v9, v8, s[92:93]
	v_lshlrev_b32_e32 v9, 2, v7
	ds_bpermute_b32 v7, v9, v6
	v_cndmask_b32_e64 v11, v11, v11, s[72:73]
	v_cndmask_b32_e64 v13, v13, v13, s[72:73]
	v_cndmask_b32_e64 v12, v12, v12, s[72:73]
	v_cndmask_b32_e64 v3, v3, v3, s[64:65]
	s_waitcnt lgkmcnt(0)
	v_max_f32_e32 v7, v7, v7
	v_max_f32_e32 v8, v6, v7
	v_sub_f32_e32 v6, v18, v8
	v_mul_f32_e32 v7, 0x3fb8aa3b, v6
	v_fma_f32 v18, v6, s97, -v7
	v_rndne_f32_e32 v25, v7
	v_fmac_f32_e32 v18, 0x32a5705f, v6
	v_sub_f32_e32 v7, v7, v25
	v_add_f32_e32 v7, v7, v18
	v_exp_f32_e32 v7, v7
	v_cvt_i32_f32_e32 v18, v25
	v_cmp_ngt_f32_e64 s[92:93], s98, v6
	v_sub_f32_e32 v14, v14, v8
	v_sub_f32_e32 v15, v15, v8
	v_ldexp_f32 v7, v7, v18
	v_cndmask_b32_e64 v7, 0, v7, s[92:93]
	v_cmp_nlt_f32_e64 s[92:93], s99, v6
	v_cndmask_b32_e64 v6, v100, v7, s[92:93]
	v_sub_f32_e32 v7, v19, v8
	v_mul_f32_e32 v18, 0x3fb8aa3b, v7
	v_fma_f32 v19, v7, s97, -v18
	v_rndne_f32_e32 v25, v18
	v_fmac_f32_e32 v19, 0x32a5705f, v7
	v_sub_f32_e32 v18, v18, v25
	v_add_f32_e32 v18, v18, v19
	v_exp_f32_e32 v18, v18
	v_cvt_i32_f32_e32 v19, v25
	v_cndmask_b32_e64 v6, 0, v6, s[88:89]
	v_cmp_ngt_f32_e64 s[88:89], s98, v7
	v_sub_f32_e32 v10, v10, v8
	v_ldexp_f32 v18, v18, v19
	v_cndmask_b32_e64 v18, 0, v18, s[88:89]
	v_cmp_nlt_f32_e64 s[88:89], s99, v7
	v_cndmask_b32_e64 v18, v100, v18, s[88:89]
	v_mov_b32_e32 v7, s53
	v_add_f32_e32 v19, v18, v6
	v_cndmask_b32_e64 v7, v7, v18, s[86:87]
	v_sub_f32_e32 v18, v20, v8
	v_mul_f32_e32 v20, 0x3fb8aa3b, v18
	v_fma_f32 v25, v18, s97, -v20
	v_rndne_f32_e32 v27, v20
	v_fmac_f32_e32 v25, 0x32a5705f, v18
	v_sub_f32_e32 v20, v20, v27
	v_add_f32_e32 v20, v20, v25
	v_exp_f32_e32 v20, v20
	v_cvt_i32_f32_e32 v25, v27
	v_cndmask_b32_e64 v19, v6, v19, s[86:87]
	v_cmp_ngt_f32_e64 s[86:87], s98, v18
	v_sub_f32_e32 v11, v11, v8
	v_ldexp_f32 v20, v20, v25
	v_cndmask_b32_e64 v20, 0, v20, s[86:87]
	v_cmp_nlt_f32_e64 s[86:87], s99, v18
	v_cndmask_b32_e64 v20, v100, v20, s[86:87]
	v_add_f32_e32 v25, v19, v20
	v_mov_b32_e32 v18, s53
	v_cndmask_b32_e64 v46, v18, v20, s[84:85]
	v_cndmask_b32_e64 v18, v19, v25, s[84:85]
	v_sub_f32_e32 v19, v21, v8
	v_mul_f32_e32 v20, 0x3fb8aa3b, v19
	v_fma_f32 v21, v19, s97, -v20
	v_rndne_f32_e32 v25, v20
	v_fmac_f32_e32 v21, 0x32a5705f, v19
	v_sub_f32_e32 v20, v20, v25
	v_add_f32_e32 v20, v20, v21
	v_exp_f32_e32 v20, v20
	v_cvt_i32_f32_e32 v21, v25
	v_cmp_ngt_f32_e64 s[84:85], s98, v19
	v_cndmask_b32_e64 v25, v16, v16, s[80:81]
	v_sub_f32_e32 v2, v2, v8
	v_ldexp_f32 v20, v20, v21
	v_cndmask_b32_e64 v20, 0, v20, s[84:85]
	v_cmp_nlt_f32_e64 s[84:85], s99, v19
	v_cndmask_b32_e64 v20, v100, v20, s[84:85]
	v_mov_b32_e32 v19, s53
	v_add_f32_e32 v21, v18, v20
	v_cndmask_b32_e64 v50, v19, v20, s[82:83]
	v_mul_f32_e32 v19, 0x3fb8aa3b, v14
	v_cndmask_b32_e64 v18, v18, v21, s[82:83]
	v_fma_f32 v20, v14, s97, -v19
	v_rndne_f32_e32 v21, v19
	v_fmac_f32_e32 v20, 0x32a5705f, v14
	v_sub_f32_e32 v19, v19, v21
	v_add_f32_e32 v19, v19, v20
	v_exp_f32_e32 v19, v19
	v_cvt_i32_f32_e32 v20, v21
	v_cmp_ngt_f32_e64 s[82:83], s98, v14
	v_cndmask_b32_e64 v21, v17, v17, s[80:81]
	v_mul_f32_e32 v17, 0x3fb8aa3b, v15
	v_ldexp_f32 v19, v19, v20
	v_cndmask_b32_e64 v19, 0, v19, s[82:83]
	v_cmp_nlt_f32_e64 s[82:83], s99, v14
	v_cndmask_b32_e64 v19, v100, v19, s[82:83]
	v_add_f32_e32 v20, v19, v18
	v_mov_b32_e32 v14, s53
	v_cndmask_b32_e64 v16, v14, v19, s[80:81]
	v_cndmask_b32_e64 v14, v18, v20, s[80:81]
	v_fma_f32 v18, v15, s97, -v17
	v_rndne_f32_e32 v19, v17
	v_fmac_f32_e32 v18, 0x32a5705f, v15
	v_sub_f32_e32 v17, v17, v19
	v_add_f32_e32 v17, v17, v18
	v_exp_f32_e32 v17, v17
	v_cvt_i32_f32_e32 v18, v19
	v_cmp_ngt_f32_e64 s[80:81], s98, v15
	v_sub_f32_e32 v3, v3, v8
	v_cndmask_b32_e64 v5, v5, v5, s[64:65]
	v_ldexp_f32 v17, v17, v18
	v_cndmask_b32_e64 v17, 0, v17, s[80:81]
	v_cmp_nlt_f32_e64 s[80:81], s99, v15
	v_cndmask_b32_e64 v17, v100, v17, s[80:81]
	v_add_f32_e32 v18, v17, v14
	v_mov_b32_e32 v15, s53
	v_cndmask_b32_e64 v17, v15, v17, s[78:79]
	v_cndmask_b32_e64 v15, v14, v18, s[78:79]
	v_sub_f32_e32 v14, v25, v8
	v_mul_f32_e32 v18, 0x3fb8aa3b, v14
	v_fma_f32 v19, v14, s97, -v18
	v_rndne_f32_e32 v20, v18
	v_fmac_f32_e32 v19, 0x32a5705f, v14
	v_sub_f32_e32 v18, v18, v20
	v_add_f32_e32 v18, v18, v19
	v_exp_f32_e32 v18, v18
	v_cvt_i32_f32_e32 v19, v20
	v_cmp_ngt_f32_e64 s[78:79], s98, v14
	v_cndmask_b32_e64 v4, v4, v4, s[64:65]
	s_mov_b32 s93, 0xc1a00000
	v_ldexp_f32 v18, v18, v19
	v_cndmask_b32_e64 v18, 0, v18, s[78:79]
	v_cmp_nlt_f32_e64 s[78:79], s99, v14
	v_cndmask_b32_e64 v18, v100, v18, s[78:79]
	v_add_f32_e32 v19, v18, v15
	v_mov_b32_e32 v14, s53
	v_cndmask_b32_e64 v31, v14, v18, s[76:77]
	v_cndmask_b32_e64 v14, v15, v19, s[76:77]
	v_sub_f32_e32 v15, v21, v8
	v_mul_f32_e32 v18, 0x3fb8aa3b, v15
	v_fma_f32 v19, v15, s97, -v18
	v_rndne_f32_e32 v20, v18
	v_fmac_f32_e32 v19, 0x32a5705f, v15
	v_sub_f32_e32 v18, v18, v20
	v_add_f32_e32 v18, v18, v19
	v_exp_f32_e32 v18, v18
	v_cvt_i32_f32_e32 v19, v20
	v_cmp_ngt_f32_e64 s[76:77], s98, v15
	s_mul_hi_i32 s45, s44, s46
	s_mul_i32 s44, s44, s46
	v_ldexp_f32 v18, v18, v19
	v_cndmask_b32_e64 v18, 0, v18, s[76:77]
	v_cmp_nlt_f32_e64 s[76:77], s99, v15
	v_cndmask_b32_e64 v18, v100, v18, s[76:77]
	v_mov_b32_e32 v15, s53
	v_add_f32_e32 v19, v18, v14
	v_cndmask_b32_e64 v51, v15, v18, s[74:75]
	v_mul_f32_e32 v15, 0x3fb8aa3b, v10
	v_cndmask_b32_e64 v14, v14, v19, s[74:75]
	v_fma_f32 v18, v10, s97, -v15
	v_rndne_f32_e32 v19, v15
	v_fmac_f32_e32 v18, 0x32a5705f, v10
	v_sub_f32_e32 v15, v15, v19
	v_add_f32_e32 v15, v15, v18
	v_exp_f32_e32 v15, v15
	v_cvt_i32_f32_e32 v18, v19
	v_cmp_ngt_f32_e64 s[74:75], s98, v10
	s_lshl_b64 s[44:45], s[44:45], 2
	s_add_u32 s44, s42, s44
	v_ldexp_f32 v15, v15, v18
	v_cndmask_b32_e64 v15, 0, v15, s[74:75]
	v_cmp_nlt_f32_e64 s[74:75], s99, v10
	v_cndmask_b32_e64 v15, v100, v15, s[74:75]
	v_add_f32_e32 v18, v15, v14
	v_mov_b32_e32 v10, s53
	v_cndmask_b32_e64 v52, v10, v15, s[72:73]
	v_cndmask_b32_e64 v10, v14, v18, s[72:73]
	v_mul_f32_e32 v14, 0x3fb8aa3b, v11
	v_fma_f32 v15, v11, s97, -v14
	v_rndne_f32_e32 v18, v14
	v_fmac_f32_e32 v15, 0x32a5705f, v11
	v_sub_f32_e32 v14, v14, v18
	v_add_f32_e32 v14, v14, v15
	v_exp_f32_e32 v14, v14
	v_cvt_i32_f32_e32 v15, v18
	v_cmp_ngt_f32_e64 s[72:73], s98, v11
	s_addc_u32 s45, s43, s45
	buffer_store_dword v37, off, s[0:3], 0
	buffer_store_dword v37, off, s[0:3], 0 offset:4
	buffer_store_dword v37, off, s[0:3], 0 offset:8
	;; [unrolled: 1-line block ×3, first 2 shown]
	v_ldexp_f32 v14, v14, v15
	v_cndmask_b32_e64 v14, 0, v14, s[72:73]
	v_cmp_nlt_f32_e64 s[72:73], s99, v11
	v_cndmask_b32_e64 v14, v100, v14, s[72:73]
	v_add_f32_e32 v15, v14, v10
	v_mov_b32_e32 v11, s53
	v_cndmask_b32_e64 v53, v11, v14, s[70:71]
	v_cndmask_b32_e64 v11, v10, v15, s[70:71]
	v_sub_f32_e32 v10, v12, v8
	v_mul_f32_e32 v12, 0x3fb8aa3b, v10
	v_fma_f32 v14, v10, s97, -v12
	v_rndne_f32_e32 v15, v12
	v_fmac_f32_e32 v14, 0x32a5705f, v10
	v_sub_f32_e32 v12, v12, v15
	v_add_f32_e32 v12, v12, v14
	v_exp_f32_e32 v12, v12
	v_cvt_i32_f32_e32 v14, v15
	v_cmp_ngt_f32_e64 s[70:71], s98, v10
	v_ldexp_f32 v12, v12, v14
	v_cndmask_b32_e64 v12, 0, v12, s[70:71]
	v_cmp_nlt_f32_e64 s[70:71], s99, v10
	v_cndmask_b32_e64 v12, v100, v12, s[70:71]
	v_add_f32_e32 v14, v12, v11
	v_mov_b32_e32 v10, s53
	v_cndmask_b32_e64 v54, v10, v12, s[68:69]
	v_cndmask_b32_e64 v10, v11, v14, s[68:69]
	v_sub_f32_e32 v11, v13, v8
	v_mul_f32_e32 v12, 0x3fb8aa3b, v11
	v_fma_f32 v13, v11, s97, -v12
	v_rndne_f32_e32 v14, v12
	v_fmac_f32_e32 v13, 0x32a5705f, v11
	v_sub_f32_e32 v12, v12, v14
	v_add_f32_e32 v12, v12, v13
	v_exp_f32_e32 v12, v12
	v_cvt_i32_f32_e32 v13, v14
	v_cmp_ngt_f32_e64 s[68:69], s98, v11
	v_ldexp_f32 v12, v12, v13
	v_cndmask_b32_e64 v12, 0, v12, s[68:69]
	v_cmp_nlt_f32_e64 s[68:69], s99, v11
	v_cndmask_b32_e64 v12, v100, v12, s[68:69]
	v_mov_b32_e32 v11, s53
	v_add_f32_e32 v13, v12, v10
	v_cndmask_b32_e64 v11, v11, v12, s[66:67]
	v_mul_f32_e32 v12, 0x3fb8aa3b, v2
	v_cndmask_b32_e64 v10, v10, v13, s[66:67]
	v_fma_f32 v13, v2, s97, -v12
	v_rndne_f32_e32 v14, v12
	v_fmac_f32_e32 v13, 0x32a5705f, v2
	v_sub_f32_e32 v12, v12, v14
	v_add_f32_e32 v12, v12, v13
	v_exp_f32_e32 v12, v12
	v_cvt_i32_f32_e32 v13, v14
	v_cmp_ngt_f32_e64 s[66:67], s98, v2
	v_ldexp_f32 v12, v12, v13
	v_cndmask_b32_e64 v12, 0, v12, s[66:67]
	v_cmp_nlt_f32_e64 s[66:67], s99, v2
	v_cndmask_b32_e64 v12, v100, v12, s[66:67]
	v_add_f32_e32 v13, v12, v10
	v_mov_b32_e32 v2, s53
	v_cndmask_b32_e64 v55, v2, v12, s[64:65]
	v_cndmask_b32_e64 v2, v10, v13, s[64:65]
	v_mul_f32_e32 v10, 0x3fb8aa3b, v3
	v_fma_f32 v12, v3, s97, -v10
	v_rndne_f32_e32 v13, v10
	v_fmac_f32_e32 v12, 0x32a5705f, v3
	v_sub_f32_e32 v10, v10, v13
	v_add_f32_e32 v10, v10, v12
	v_exp_f32_e32 v10, v10
	v_cvt_i32_f32_e32 v12, v13
	v_cmp_ngt_f32_e64 s[64:65], s98, v3
	v_ldexp_f32 v10, v10, v12
	v_cndmask_b32_e64 v10, 0, v10, s[64:65]
	v_cmp_nlt_f32_e64 s[64:65], s99, v3
	v_cndmask_b32_e64 v10, v100, v10, s[64:65]
	v_add_f32_e32 v12, v10, v2
	v_mov_b32_e32 v3, s53
	v_cndmask_b32_e64 v56, v3, v10, s[62:63]
	v_cndmask_b32_e64 v3, v2, v12, s[62:63]
	v_sub_f32_e32 v2, v4, v8
	v_mul_f32_e32 v4, 0x3fb8aa3b, v2
	v_fma_f32 v10, v2, s97, -v4
	v_rndne_f32_e32 v12, v4
	v_fmac_f32_e32 v10, 0x32a5705f, v2
	v_sub_f32_e32 v4, v4, v12
	v_add_f32_e32 v4, v4, v10
	v_exp_f32_e32 v4, v4
	v_cvt_i32_f32_e32 v10, v12
	v_cmp_ngt_f32_e64 s[62:63], s98, v2
	v_ldexp_f32 v4, v4, v10
	v_cndmask_b32_e64 v4, 0, v4, s[62:63]
	v_cmp_nlt_f32_e64 s[62:63], s99, v2
	v_cndmask_b32_e64 v4, v100, v4, s[62:63]
	v_add_f32_e32 v10, v4, v3
	v_mov_b32_e32 v2, s53
	v_cndmask_b32_e64 v2, v2, v4, s[60:61]
	v_cndmask_b32_e64 v4, v3, v10, s[60:61]
	v_sub_f32_e32 v3, v5, v8
	v_mul_f32_e32 v5, 0x3fb8aa3b, v3
	v_fma_f32 v10, v3, s97, -v5
	v_rndne_f32_e32 v12, v5
	v_fmac_f32_e32 v10, 0x32a5705f, v3
	v_sub_f32_e32 v5, v5, v12
	v_add_f32_e32 v5, v5, v10
	v_exp_f32_e32 v5, v5
	v_cvt_i32_f32_e32 v10, v12
	v_cmp_ngt_f32_e64 s[60:61], s98, v3
	v_cvt_f16_f32_e32 v2, v2
	v_ldexp_f32 v5, v5, v10
	v_cndmask_b32_e64 v5, 0, v5, s[60:61]
	v_cmp_nlt_f32_e64 s[60:61], s99, v3
	v_cndmask_b32_e64 v5, v100, v5, s[60:61]
	v_add_f32_e32 v10, v5, v4
	v_mov_b32_e32 v3, s53
	v_cndmask_b32_e32 v18, v4, v10, vcc
	v_sub_f32_e32 v4, v47, v8
	v_cndmask_b32_e32 v3, v3, v5, vcc
	v_mul_f32_e32 v5, 0x3fb8aa3b, v4
	v_fma_f32 v10, v4, s97, -v5
	v_rndne_f32_e32 v12, v5
	v_fmac_f32_e32 v10, 0x32a5705f, v4
	v_sub_f32_e32 v5, v5, v12
	v_add_f32_e32 v5, v5, v10
	v_exp_f32_e32 v5, v5
	v_cvt_i32_f32_e32 v10, v12
	v_cmp_ngt_f32_e32 vcc, s98, v4
	v_cvt_f16_f32_e32 v3, v3
	v_ldexp_f32 v5, v5, v10
	v_cndmask_b32_e32 v5, 0, v5, vcc
	v_cmp_nlt_f32_e32 vcc, s99, v4
	v_cndmask_b32_e32 v5, v100, v5, vcc
	v_cmp_le_f32_e32 vcc, s93, v4
	v_cndmask_b32_e32 v4, 0, v5, vcc
	v_fmac_f32_e32 v18, v24, v4
	v_cvt_f16_f32_e32 v4, v4
	v_cvt_f16_f32_e32 v5, v7
	v_pack_b32_f16 v7, v2, v3
	v_add_co_u32_e32 v2, vcc, s44, v38
	v_pk_mul_f16 v29, v4, v87 op_sel_hi:[0,1]
	v_pk_mul_f16 v27, v4, v88 op_sel_hi:[0,1]
	v_pk_mul_f16 v25, v4, v90 op_sel_hi:[0,1]
	v_pk_mul_f16 v24, v4, v89 op_sel_hi:[0,1]
	v_pk_mul_f16 v21, v4, v1 op_sel_hi:[0,1]
	v_pk_mul_f16 v20, v4, v108 op_sel_hi:[0,1]
	v_pk_mul_f16 v19, v4, v112 op_sel_hi:[0,1]
	v_pk_mul_f16 v1, v4, v110 op_sel_hi:[0,1]
	v_cvt_f16_f32_e32 v4, v6
	v_mov_b32_e32 v3, s45
	v_addc_co_u32_e32 v3, vcc, v3, v39, vcc
	v_pack_b32_f16 v14, v4, v5
	v_cvt_f16_f32_e32 v4, v46
	v_cvt_f16_f32_e32 v5, v50
	v_add_co_u32_e32 v2, vcc, v2, v23
	v_addc_co_u32_e32 v3, vcc, 0, v3, vcc
	v_pack_b32_f16 v15, v4, v5
	v_cvt_f16_f32_e32 v4, v16
	v_cvt_f16_f32_e32 v5, v17
	v_add_co_u32_e32 v16, vcc, s44, v40
	v_mov_b32_e32 v17, s45
	v_pack_b32_f16 v12, v4, v5
	v_cvt_f16_f32_e32 v4, v31
	v_cvt_f16_f32_e32 v5, v51
	v_addc_co_u32_e32 v17, vcc, v17, v41, vcc
	v_add_co_u32_e32 v16, vcc, v16, v23
	v_pack_b32_f16 v13, v4, v5
	v_cvt_f16_f32_e32 v4, v52
	v_cvt_f16_f32_e32 v5, v53
	v_addc_co_u32_e32 v17, vcc, 0, v17, vcc
	v_cvt_f32_f16_e32 v50, v25
	v_pack_b32_f16 v10, v4, v5
	v_cvt_f16_f32_e32 v4, v54
	v_cvt_f16_f32_e32 v5, v11
	v_cvt_f32_f16_sdwa v51, v25 dst_sel:DWORD dst_unused:UNUSED_PAD src0_sel:WORD_1
	v_cvt_f32_f16_e32 v52, v24
	v_cvt_f32_f16_sdwa v53, v24 dst_sel:DWORD dst_unused:UNUSED_PAD src0_sel:WORD_1
	v_pack_b32_f16 v11, v4, v5
	v_cvt_f16_f32_e32 v4, v55
	v_cvt_f16_f32_e32 v5, v56
	v_readlane_b32 s44, v127, 25
	v_readlane_b32 s45, v127, 26
	s_cmp_lg_u64 s[44:45], 0
	v_pack_b32_f16 v6, v4, v5
	v_mov_b32_e32 v4, s49
	v_mov_b32_e32 v5, s48
	v_cndmask_b32_e64 v3, v4, v3, s[56:57]
	v_cndmask_b32_e64 v2, v5, v2, s[56:57]
	;; [unrolled: 1-line block ×4, first 2 shown]
	flat_load_dwordx4 v[2:5], v[2:3]
	s_waitcnt vmcnt(0) lgkmcnt(0)
	ds_write_b128 v35, v[2:5]
	flat_load_dwordx4 v[2:5], v[16:17]
	s_waitcnt vmcnt(0) lgkmcnt(0)
	ds_write_b128 v0, v[2:5]
	s_waitcnt lgkmcnt(0)
	s_barrier
	ds_read_u16 v16, v111 offset:288
	ds_read_u16 v17, v117
	ds_read_u16 v23, v117 offset:32
	v_cvt_f32_f16_e32 v2, v29
	v_cvt_f32_f16_sdwa v3, v29 dst_sel:DWORD dst_unused:UNUSED_PAD src0_sel:WORD_1
	v_cvt_f32_f16_e32 v4, v27
	v_cvt_f32_f16_sdwa v5, v27 dst_sel:DWORD dst_unused:UNUSED_PAD src0_sel:WORD_1
	s_waitcnt lgkmcnt(1)
	v_perm_b32 v17, v17, v16, s33
	ds_read_u16 v16, v97
	ds_read_u16 v27, v97 offset:32
	ds_read_u16 v29, v111 offset:144
	;; [unrolled: 1-line block ×3, first 2 shown]
	s_waitcnt lgkmcnt(1)
	v_perm_b32 v16, v29, v16, s33
	s_nop 1
	v_mfma_f32_16x16x16f16 v[2:5], v[16:17], v[14:15], v[2:5]
	ds_read_u16 v16, v97 offset:2304
	ds_read_u16 v29, v111 offset:2448
	ds_read_u16 v17, v93 offset:288
	ds_read_u16 v46, v117 offset:2304
	s_waitcnt lgkmcnt(2)
	v_perm_b32 v16, v29, v16, s33
	s_waitcnt lgkmcnt(0)
	v_perm_b32 v17, v46, v17, s33
	s_nop 2
	v_cvt_f16_f32_e32 v2, v2
	v_cvt_f16_f32_e32 v3, v3
	v_cvt_f16_f32_e32 v4, v4
	v_cvt_f16_f32_e32 v5, v5
	v_cvt_f32_f16_e32 v2, v2
	v_cvt_f32_f16_e32 v3, v3
	v_cvt_f32_f16_e32 v4, v4
	v_cvt_f32_f16_e32 v5, v5
	s_nop 1
	v_mfma_f32_16x16x16f16 v[2:5], v[16:17], v[12:13], v[2:5]
	ds_read_u16 v16, v97 offset:4608
	ds_read_u16 v29, v111 offset:4752
	ds_read_u16 v17, v107 offset:288
	ds_read_u16 v46, v117 offset:4608
	s_waitcnt lgkmcnt(2)
	v_perm_b32 v16, v29, v16, s33
	s_waitcnt lgkmcnt(0)
	v_perm_b32 v17, v46, v17, s33
	s_nop 2
	v_cvt_f16_f32_e32 v2, v2
	v_cvt_f16_f32_e32 v3, v3
	v_cvt_f16_f32_e32 v4, v4
	v_cvt_f16_f32_e32 v5, v5
	v_cvt_f32_f16_e32 v2, v2
	v_cvt_f32_f16_e32 v3, v3
	v_cvt_f32_f16_e32 v4, v4
	v_cvt_f32_f16_e32 v5, v5
	s_nop 1
	v_mfma_f32_16x16x16f16 v[2:5], v[16:17], v[10:11], v[2:5]
	ds_read_u16 v16, v97 offset:6912
	ds_read_u16 v29, v111 offset:7056
	ds_read_u16 v17, v113 offset:288
	ds_read_u16 v46, v117 offset:6912
	s_waitcnt lgkmcnt(2)
	v_perm_b32 v16, v29, v16, s33
	s_waitcnt lgkmcnt(0)
	v_perm_b32 v17, v46, v17, s33
	s_nop 2
	v_cvt_f16_f32_e32 v2, v2
	v_cvt_f16_f32_e32 v3, v3
	v_cvt_f16_f32_e32 v4, v4
	v_cvt_f16_f32_e32 v5, v5
	v_cvt_f32_f16_e32 v2, v2
	v_cvt_f32_f16_e32 v3, v3
	v_cvt_f32_f16_e32 v4, v4
	v_cvt_f32_f16_e32 v5, v5
	s_nop 1
	v_mfma_f32_16x16x16f16 v[2:5], v[16:17], v[6:7], v[2:5]
	s_nop 7
	s_nop 2
	v_cvt_f16_f32_e32 v2, v2
	v_cvt_f16_f32_e32 v3, v3
	;; [unrolled: 1-line block ×4, first 2 shown]
	v_pack_b32_f16 v2, v2, v3
	v_pack_b32_f16 v3, v4, v5
	ds_read_u16 v4, v115 offset:288
	s_waitcnt lgkmcnt(0)
	v_perm_b32 v5, v23, v4, s33
	v_perm_b32 v4, v31, v27, s33
	ds_read_u16 v23, v97 offset:2336
	ds_read_u16 v24, v111 offset:2480
	ds_read_u16 v25, v103 offset:288
	ds_read_u16 v27, v117 offset:2336
	v_mfma_f32_16x16x16f16 v[50:53], v[4:5], v[14:15], v[50:53]
	s_nop 7
	s_nop 2
	v_cvt_f16_f32_e32 v4, v50
	v_cvt_f16_f32_e32 v5, v51
	v_cvt_f16_f32_e32 v16, v52
	v_cvt_f16_f32_e32 v17, v53
	v_cvt_f32_f16_e32 v50, v4
	v_cvt_f32_f16_e32 v51, v5
	s_waitcnt lgkmcnt(0)
	v_perm_b32 v5, v27, v25, s33
	v_perm_b32 v4, v24, v23, s33
	v_cvt_f32_f16_e32 v52, v16
	v_cvt_f32_f16_e32 v53, v17
	ds_read_u16 v23, v97 offset:4640
	ds_read_u16 v24, v111 offset:4784
	ds_read_u16 v25, v34 offset:288
	ds_read_u16 v27, v117 offset:4640
	v_mfma_f32_16x16x16f16 v[50:53], v[4:5], v[12:13], v[50:53]
	s_nop 7
	s_nop 2
	v_cvt_f16_f32_e32 v4, v50
	v_cvt_f16_f32_e32 v5, v51
	v_cvt_f16_f32_e32 v16, v52
	v_cvt_f16_f32_e32 v17, v53
	v_cvt_f32_f16_e32 v50, v4
	v_cvt_f32_f16_e32 v51, v5
	s_waitcnt lgkmcnt(0)
	v_perm_b32 v5, v27, v25, s33
	v_perm_b32 v4, v24, v23, s33
	v_cvt_f32_f16_e32 v52, v16
	v_cvt_f32_f16_e32 v53, v17
	;; [unrolled: 18-line block ×3, first 2 shown]
	s_nop 1
	v_mfma_f32_16x16x16f16 v[50:53], v[4:5], v[6:7], v[50:53]
	s_nop 7
	s_nop 2
	v_cvt_f16_f32_e32 v4, v50
	v_cvt_f16_f32_e32 v5, v51
	;; [unrolled: 1-line block ×4, first 2 shown]
	v_cvt_f32_f16_e32 v50, v21
	v_pack_b32_f16 v4, v4, v5
	v_cvt_f32_f16_sdwa v51, v21 dst_sel:DWORD dst_unused:UNUSED_PAD src0_sel:WORD_1
	v_pack_b32_f16 v5, v16, v17
	ds_read_u16 v16, v97 offset:64
	ds_read_u16 v23, v111 offset:208
	;; [unrolled: 1-line block ×4, first 2 shown]
	v_cvt_f32_f16_e32 v52, v20
	v_cvt_f32_f16_sdwa v53, v20 dst_sel:DWORD dst_unused:UNUSED_PAD src0_sel:WORD_1
	s_waitcnt lgkmcnt(2)
	v_perm_b32 v16, v23, v16, s33
	s_waitcnt lgkmcnt(0)
	v_perm_b32 v17, v24, v17, s33
	ds_read_u16 v23, v97 offset:2368
	ds_read_u16 v24, v111 offset:2512
	ds_read_u16 v25, v26 offset:288
	ds_read_u16 v27, v117 offset:2368
	v_mfma_f32_16x16x16f16 v[50:53], v[16:17], v[14:15], v[50:53]
	s_nop 7
	s_nop 2
	v_cvt_f16_f32_e32 v16, v50
	v_cvt_f16_f32_e32 v17, v51
	v_cvt_f16_f32_e32 v20, v52
	v_cvt_f16_f32_e32 v21, v53
	v_cvt_f32_f16_e32 v50, v16
	v_cvt_f32_f16_e32 v51, v17
	s_waitcnt lgkmcnt(0)
	v_perm_b32 v17, v27, v25, s33
	v_perm_b32 v16, v24, v23, s33
	v_cvt_f32_f16_e32 v52, v20
	v_cvt_f32_f16_e32 v53, v21
	ds_read_u16 v23, v97 offset:4672
	ds_read_u16 v24, v111 offset:4816
	ds_read_u16 v25, v92 offset:288
	ds_read_u16 v27, v117 offset:4672
	v_mfma_f32_16x16x16f16 v[50:53], v[16:17], v[12:13], v[50:53]
	s_nop 7
	s_nop 2
	v_cvt_f16_f32_e32 v16, v50
	v_cvt_f16_f32_e32 v17, v51
	v_cvt_f16_f32_e32 v20, v52
	v_cvt_f16_f32_e32 v21, v53
	v_cvt_f32_f16_e32 v50, v16
	v_cvt_f32_f16_e32 v51, v17
	s_waitcnt lgkmcnt(0)
	v_perm_b32 v17, v27, v25, s33
	v_perm_b32 v16, v24, v23, s33
	v_cvt_f32_f16_e32 v52, v20
	v_cvt_f32_f16_e32 v53, v21
	;; [unrolled: 18-line block ×3, first 2 shown]
	s_nop 1
	v_mfma_f32_16x16x16f16 v[50:53], v[16:17], v[6:7], v[50:53]
	s_nop 7
	s_nop 2
	v_cvt_f16_f32_e32 v16, v50
	v_cvt_f16_f32_e32 v17, v51
	;; [unrolled: 1-line block ×4, first 2 shown]
	v_cvt_f32_f16_e32 v50, v19
	v_pack_b32_f16 v16, v16, v17
	v_cvt_f32_f16_sdwa v51, v19 dst_sel:DWORD dst_unused:UNUSED_PAD src0_sel:WORD_1
	v_pack_b32_f16 v17, v20, v21
	ds_read_u16 v20, v97 offset:96
	ds_read_u16 v23, v111 offset:240
	;; [unrolled: 1-line block ×4, first 2 shown]
	v_cvt_f32_f16_e32 v52, v1
	v_cvt_f32_f16_sdwa v53, v1 dst_sel:DWORD dst_unused:UNUSED_PAD src0_sel:WORD_1
	s_waitcnt lgkmcnt(2)
	v_perm_b32 v20, v23, v20, s33
	s_waitcnt lgkmcnt(0)
	v_perm_b32 v21, v24, v21, s33
	s_nop 1
	v_mfma_f32_16x16x16f16 v[50:53], v[20:21], v[14:15], v[50:53]
	ds_read_u16 v20, v97 offset:2400
	ds_read_u16 v21, v111 offset:2544
	;; [unrolled: 1-line block ×4, first 2 shown]
	s_nop 6
	v_cvt_f16_f32_e32 v14, v51
	v_cvt_f16_f32_e32 v15, v52
	v_cvt_f16_f32_e32 v1, v50
	v_cvt_f16_f32_e32 v19, v53
	v_cvt_f32_f16_e32 v51, v14
	v_cvt_f32_f16_e32 v52, v15
	s_waitcnt lgkmcnt(0)
	v_perm_b32 v15, v24, v23, s33
	v_perm_b32 v14, v21, v20, s33
	v_cvt_f32_f16_e32 v50, v1
	v_cvt_f32_f16_e32 v53, v19
	ds_read_u16 v19, v97 offset:4704
	ds_read_u16 v20, v111 offset:4848
	;; [unrolled: 1-line block ×4, first 2 shown]
	v_mfma_f32_16x16x16f16 v[12:15], v[14:15], v[12:13], v[50:53]
	s_waitcnt lgkmcnt(2)
	v_perm_b32 v20, v20, v19, s33
	s_waitcnt lgkmcnt(0)
	v_perm_b32 v21, v23, v21, s33
	s_nop 6
	v_cvt_f16_f32_e32 v1, v12
	v_cvt_f16_f32_e32 v13, v13
	;; [unrolled: 1-line block ×4, first 2 shown]
	v_cvt_f32_f16_e32 v12, v1
	v_cvt_f32_f16_e32 v13, v13
	;; [unrolled: 1-line block ×4, first 2 shown]
	s_nop 1
	v_mfma_f32_16x16x16f16 v[10:13], v[20:21], v[10:11], v[12:15]
	ds_read_u16 v1, v97 offset:7008
	s_nop 5
	ds_read_u16 v14, v111 offset:7152
	ds_read_u16 v15, v98 offset:288
	;; [unrolled: 1-line block ×3, first 2 shown]
	s_waitcnt lgkmcnt(0)
	s_barrier
	v_perm_b32 v14, v14, v1, s33
	v_perm_b32 v15, v19, v15, s33
	v_cvt_f16_f32_e32 v10, v10
	v_cvt_f16_f32_e32 v11, v11
	;; [unrolled: 1-line block ×4, first 2 shown]
	v_cvt_f32_f16_e32 v10, v10
	v_cvt_f32_f16_e32 v11, v11
	;; [unrolled: 1-line block ×4, first 2 shown]
	s_nop 1
	v_mfma_f32_16x16x16f16 v[10:13], v[14:15], v[6:7], v[10:13]
	s_nop 7
	s_nop 2
	v_cvt_f16_f32_e32 v1, v10
	v_cvt_f16_f32_e32 v6, v11
	;; [unrolled: 1-line block ×4, first 2 shown]
	v_pack_b32_f16 v6, v1, v6
	ds_bpermute_b32 v1, v22, v18
	v_pack_b32_f16 v7, v7, v10
	s_waitcnt lgkmcnt(0)
	v_add_f32_e32 v1, v18, v1
	ds_bpermute_b32 v9, v9, v1
	s_waitcnt lgkmcnt(0)
	v_add_f32_e32 v9, v1, v9
	s_cbranch_scc0 .LBB0_96
; %bb.95:                               ;   in Loop: Header=BB0_15 Depth=1
	global_load_dword v1, v37, s[44:45]
	v_max_f32_e32 v10, v8, v8
	s_mov_b64 s[44:45], 0
	s_waitcnt vmcnt(0)
	v_max_f32_e32 v11, v1, v1
	v_max_f32_e32 v10, v10, v11
	v_sub_f32_e32 v11, v8, v10
	v_sub_f32_e32 v1, v1, v10
	v_mul_f32_e32 v12, 0x3fb8aa3b, v11
	v_mul_f32_e32 v13, 0x3fb8aa3b, v1
	v_fma_f32 v14, v11, s97, -v12
	v_rndne_f32_e32 v15, v12
	v_fma_f32 v18, v1, s97, -v13
	v_rndne_f32_e32 v19, v13
	v_fmac_f32_e32 v14, 0x32a5705f, v11
	v_sub_f32_e32 v12, v12, v15
	v_fmac_f32_e32 v18, 0x32a5705f, v1
	v_sub_f32_e32 v13, v13, v19
	v_add_f32_e32 v12, v12, v14
	v_cvt_i32_f32_e32 v15, v15
	v_add_f32_e32 v13, v13, v18
	v_exp_f32_e32 v12, v12
	v_cvt_i32_f32_e32 v19, v19
	v_exp_f32_e32 v13, v13
	v_cmp_ngt_f32_e32 vcc, s98, v11
	v_ldexp_f32 v12, v12, v15
	v_cndmask_b32_e32 v12, 0, v12, vcc
	v_ldexp_f32 v13, v13, v19
	v_cmp_ngt_f32_e32 vcc, s98, v1
	v_cndmask_b32_e32 v13, 0, v13, vcc
	v_cmp_nlt_f32_e32 vcc, s99, v11
	v_cndmask_b32_e32 v12, v100, v12, vcc
	v_cmp_le_f32_e32 vcc, s93, v11
	v_cndmask_b32_e32 v12, 0, v12, vcc
	v_cvt_f16_f32_e32 v21, v12
	v_cmp_nlt_f32_e32 vcc, s99, v1
	v_cndmask_b32_e32 v11, v100, v13, vcc
	v_fmac_f32_e32 v11, v9, v12
	v_pk_mul_f16 v12, v21, v2 op_sel_hi:[0,1]
	v_pk_mul_f16 v13, v21, v3 op_sel_hi:[0,1]
	;; [unrolled: 1-line block ×8, first 2 shown]
	s_branch .LBB0_97
.LBB0_96:                               ;   in Loop: Header=BB0_15 Depth=1
	s_mov_b64 s[44:45], -1
                                        ; implicit-def: $vgpr10_vgpr11
                                        ; implicit-def: $vgpr20_vgpr21
                                        ; implicit-def: $vgpr18_vgpr19
                                        ; implicit-def: $vgpr14_vgpr15
                                        ; implicit-def: $vgpr12_vgpr13
.LBB0_97:                               ;   in Loop: Header=BB0_15 Depth=1
	v_readlane_b32 s72, v126, 63
	v_readlane_b32 s73, v127, 0
	;; [unrolled: 1-line block ×17, first 2 shown]
	s_andn2_b64 vcc, exec, s[44:45]
	v_readlane_b32 s88, v127, 15
	v_readlane_b32 s89, v127, 16
	s_cbranch_vccnz .LBB0_99
; %bb.98:                               ;   in Loop: Header=BB0_15 Depth=1
	v_pk_mov_b32 v[12:13], v[2:3], v[2:3] op_sel:[0,1]
	v_pk_mov_b32 v[14:15], v[4:5], v[4:5] op_sel:[0,1]
	;; [unrolled: 1-line block ×5, first 2 shown]
.LBB0_99:                               ;   in Loop: Header=BB0_15 Depth=1
	s_barrier
	s_mov_b64 s[44:45], exec
	v_readlane_b32 s56, v126, 46
	v_readlane_b32 s57, v126, 47
	s_and_b64 s[56:57], s[44:45], s[56:57]
	s_mov_b32 s89, s40
	s_mov_b64 exec, s[56:57]
	s_cbranch_execz .LBB0_101
; %bb.100:                              ;   in Loop: Header=BB0_15 Depth=1
	buffer_load_dword v2, off, s[0:3], 0 offset:272 ; 4-byte Folded Reload
	buffer_load_dword v3, off, s[0:3], 0 offset:276 ; 4-byte Folded Reload
	s_waitcnt vmcnt(0)
	global_store_dwordx2 v[2:3], v[10:11], off
.LBB0_101:                              ;   in Loop: Header=BB0_15 Depth=1
	s_or_b64 exec, exec, s[44:45]
	v_mov_b32_e32 v1, 50
	ds_write2_b32 v69, v12, v13 offset1:1
	ds_write2_b32 v69, v14, v15 offset0:8 offset1:9
	ds_write2_b32 v69, v18, v19 offset0:16 offset1:17
	;; [unrolled: 1-line block ×3, first 2 shown]
	s_waitcnt lgkmcnt(0)
	s_barrier
	s_mov_b64 s[44:45], exec
	v_readlane_b32 s40, v127, 46
	v_readlane_b32 s41, v127, 47
	s_and_b64 s[40:41], s[44:45], s[40:41]
	s_mov_b64 exec, s[40:41]
	s_cbranch_execz .LBB0_103
; %bb.102:                              ;   in Loop: Header=BB0_15 Depth=1
	ds_read_b32 v4, v59
	v_readlane_b32 s40, v126, 48
	v_mul_lo_u32 v1, s40, v86
	v_or_b32_e32 v2, v1, v68
	v_ashrrev_i32_e32 v3, 31, v2
	s_waitcnt lgkmcnt(0)
	v_cvt_f32_f16_sdwa v5, v4 dst_sel:DWORD dst_unused:UNUSED_PAD src0_sel:WORD_1
	v_cvt_f32_f16_e32 v4, v4
	v_lshlrev_b64 v[2:3], 3, v[2:3]
	v_readlane_b32 s40, v127, 20
	v_mov_b32_e32 v1, s40
	v_add_co_u32_e32 v2, vcc, s89, v2
	v_addc_co_u32_e32 v3, vcc, v1, v3, vcc
	v_pk_add_f32 v[4:5], v[4:5], 0 op_sel_hi:[1,0]
	v_mov_b32_e32 v1, 0
	global_store_dwordx2 v[2:3], v[4:5], off
.LBB0_103:                              ;   in Loop: Header=BB0_15 Depth=1
	s_or_b64 exec, exec, s[44:45]
	v_cmp_gt_i32_e32 vcc, 50, v1
	s_mov_b64 s[58:59], -1
	s_and_saveexec_b64 s[40:41], vcc
; %bb.104:                              ;   in Loop: Header=BB0_15 Depth=1
	v_cmp_eq_u32_e32 vcc, 0, v1
	s_orn2_b64 s[58:59], vcc, exec
; %bb.105:                              ;   in Loop: Header=BB0_15 Depth=1
	s_or_b64 exec, exec, s[40:41]
	s_mov_b64 s[44:45], 0
	s_mov_b64 s[40:41], 0
                                        ; implicit-def: $vgpr2_vgpr3
	s_and_saveexec_b64 s[56:57], s[58:59]
	s_cbranch_execz .LBB0_145
; %bb.106:                              ;   in Loop: Header=BB0_15 Depth=1
	v_mov_b32_e32 v1, 50
	s_mov_b64 s[40:41], exec
	v_readlane_b32 s58, v127, 48
	v_readlane_b32 s59, v127, 49
	s_and_b64 s[58:59], s[40:41], s[58:59]
	s_mov_b64 exec, s[58:59]
	s_cbranch_execz .LBB0_108
; %bb.107:                              ;   in Loop: Header=BB0_15 Depth=1
	ds_read_b32 v4, v59 offset:1152
	v_readlane_b32 s58, v126, 48
	v_mul_lo_u32 v1, s58, v85
	v_or_b32_e32 v2, v1, v68
	v_ashrrev_i32_e32 v3, 31, v2
	s_waitcnt lgkmcnt(0)
	v_cvt_f32_f16_sdwa v5, v4 dst_sel:DWORD dst_unused:UNUSED_PAD src0_sel:WORD_1
	v_cvt_f32_f16_e32 v4, v4
	v_lshlrev_b64 v[2:3], 3, v[2:3]
	v_readlane_b32 s58, v127, 20
	v_mov_b32_e32 v1, s58
	v_add_co_u32_e32 v2, vcc, s89, v2
	v_addc_co_u32_e32 v3, vcc, v1, v3, vcc
	v_pk_add_f32 v[4:5], v[4:5], 0 op_sel_hi:[1,0]
	v_mov_b32_e32 v1, 0
	global_store_dwordx2 v[2:3], v[4:5], off
.LBB0_108:                              ;   in Loop: Header=BB0_15 Depth=1
	s_or_b64 exec, exec, s[40:41]
	v_cmp_gt_i32_e32 vcc, 50, v1
	s_mov_b64 s[60:61], -1
	s_and_saveexec_b64 s[40:41], vcc
; %bb.109:                              ;   in Loop: Header=BB0_15 Depth=1
	v_cmp_eq_u32_e32 vcc, 0, v1
	s_orn2_b64 s[60:61], vcc, exec
; %bb.110:                              ;   in Loop: Header=BB0_15 Depth=1
	s_or_b64 exec, exec, s[40:41]
	s_mov_b64 s[58:59], 0
                                        ; implicit-def: $vgpr2_vgpr3
	s_and_saveexec_b64 s[40:41], s[60:61]
	s_cbranch_execz .LBB0_144
; %bb.111:                              ;   in Loop: Header=BB0_15 Depth=1
	v_mov_b32_e32 v1, 50
	s_mov_b64 s[58:59], exec
	v_readlane_b32 s60, v127, 50
	v_readlane_b32 s61, v127, 51
	s_and_b64 s[60:61], s[58:59], s[60:61]
	s_mov_b64 exec, s[60:61]
	s_cbranch_execz .LBB0_113
; %bb.112:                              ;   in Loop: Header=BB0_15 Depth=1
	buffer_load_dword v2, off, s[0:3], 0 offset:316 ; 4-byte Folded Reload
	v_readlane_b32 s60, v126, 48
	v_mul_lo_u32 v1, s60, v84
	v_readlane_b32 s60, v127, 20
	s_waitcnt vmcnt(0)
	ds_read_b32 v4, v2
	v_or_b32_e32 v2, v1, v68
	v_ashrrev_i32_e32 v3, 31, v2
	v_lshlrev_b64 v[2:3], 3, v[2:3]
	v_mov_b32_e32 v1, s60
	s_waitcnt lgkmcnt(0)
	v_cvt_f32_f16_sdwa v5, v4 dst_sel:DWORD dst_unused:UNUSED_PAD src0_sel:WORD_1
	v_cvt_f32_f16_e32 v4, v4
	v_add_co_u32_e32 v2, vcc, s89, v2
	v_addc_co_u32_e32 v3, vcc, v1, v3, vcc
	v_pk_add_f32 v[4:5], v[4:5], 0 op_sel_hi:[1,0]
	v_mov_b32_e32 v1, 0
	global_store_dwordx2 v[2:3], v[4:5], off
.LBB0_113:                              ;   in Loop: Header=BB0_15 Depth=1
	s_or_b64 exec, exec, s[58:59]
	v_cmp_gt_i32_e32 vcc, 50, v1
	s_mov_b64 s[62:63], -1
	s_and_saveexec_b64 s[58:59], vcc
; %bb.114:                              ;   in Loop: Header=BB0_15 Depth=1
	v_cmp_eq_u32_e32 vcc, 0, v1
	s_orn2_b64 s[62:63], vcc, exec
; %bb.115:                              ;   in Loop: Header=BB0_15 Depth=1
	s_or_b64 exec, exec, s[58:59]
	s_mov_b64 s[60:61], 0
                                        ; implicit-def: $vgpr2_vgpr3
	s_and_saveexec_b64 s[58:59], s[62:63]
	s_cbranch_execz .LBB0_143
; %bb.116:                              ;   in Loop: Header=BB0_15 Depth=1
	v_mov_b32_e32 v1, 50
	s_mov_b64 s[60:61], exec
	v_readlane_b32 s62, v127, 52
	v_readlane_b32 s63, v127, 53
	s_and_b64 s[62:63], s[60:61], s[62:63]
	s_mov_b64 exec, s[62:63]
	s_cbranch_execz .LBB0_118
; %bb.117:                              ;   in Loop: Header=BB0_15 Depth=1
	ds_read_b32 v4, v59 offset:3456
	v_readlane_b32 s62, v126, 48
	v_mul_lo_u32 v1, s62, v102
	v_or_b32_e32 v2, v1, v68
	v_ashrrev_i32_e32 v3, 31, v2
	s_waitcnt lgkmcnt(0)
	v_cvt_f32_f16_sdwa v5, v4 dst_sel:DWORD dst_unused:UNUSED_PAD src0_sel:WORD_1
	v_cvt_f32_f16_e32 v4, v4
	v_lshlrev_b64 v[2:3], 3, v[2:3]
	v_readlane_b32 s62, v127, 20
	v_mov_b32_e32 v1, s62
	v_add_co_u32_e32 v2, vcc, s89, v2
	v_addc_co_u32_e32 v3, vcc, v1, v3, vcc
	v_pk_add_f32 v[4:5], v[4:5], 0 op_sel_hi:[1,0]
	v_mov_b32_e32 v1, 0
	global_store_dwordx2 v[2:3], v[4:5], off
.LBB0_118:                              ;   in Loop: Header=BB0_15 Depth=1
	s_or_b64 exec, exec, s[60:61]
	v_cmp_gt_i32_e32 vcc, 50, v1
	s_mov_b64 s[64:65], -1
	s_and_saveexec_b64 s[60:61], vcc
; %bb.119:                              ;   in Loop: Header=BB0_15 Depth=1
	v_cmp_eq_u32_e32 vcc, 0, v1
	s_orn2_b64 s[64:65], vcc, exec
; %bb.120:                              ;   in Loop: Header=BB0_15 Depth=1
	s_or_b64 exec, exec, s[60:61]
	s_mov_b64 s[62:63], 0
                                        ; implicit-def: $vgpr2_vgpr3
	s_and_saveexec_b64 s[60:61], s[64:65]
	s_cbranch_execz .LBB0_142
; %bb.121:                              ;   in Loop: Header=BB0_15 Depth=1
	v_mov_b32_e32 v1, 50
	s_mov_b64 s[62:63], exec
	v_readlane_b32 s64, v127, 54
	v_readlane_b32 s65, v127, 55
	s_and_b64 s[64:65], s[62:63], s[64:65]
	s_mov_b64 exec, s[64:65]
	s_cbranch_execz .LBB0_123
; %bb.122:                              ;   in Loop: Header=BB0_15 Depth=1
	buffer_load_dword v2, off, s[0:3], 0 offset:328 ; 4-byte Folded Reload
	v_readlane_b32 s64, v126, 48
	v_mul_lo_u32 v1, s64, v63
	v_readlane_b32 s64, v127, 20
	s_waitcnt vmcnt(0)
	ds_read_b32 v4, v2
	v_or_b32_e32 v2, v1, v68
	v_ashrrev_i32_e32 v3, 31, v2
	v_lshlrev_b64 v[2:3], 3, v[2:3]
	v_mov_b32_e32 v1, s64
	s_waitcnt lgkmcnt(0)
	v_cvt_f32_f16_sdwa v5, v4 dst_sel:DWORD dst_unused:UNUSED_PAD src0_sel:WORD_1
	v_cvt_f32_f16_e32 v4, v4
	v_add_co_u32_e32 v2, vcc, s89, v2
	v_addc_co_u32_e32 v3, vcc, v1, v3, vcc
	v_pk_add_f32 v[4:5], v[4:5], 0 op_sel_hi:[1,0]
	v_mov_b32_e32 v1, 0
	global_store_dwordx2 v[2:3], v[4:5], off
.LBB0_123:                              ;   in Loop: Header=BB0_15 Depth=1
	s_or_b64 exec, exec, s[62:63]
	v_cmp_gt_i32_e32 vcc, 50, v1
	s_mov_b64 s[66:67], -1
	s_and_saveexec_b64 s[62:63], vcc
; %bb.124:                              ;   in Loop: Header=BB0_15 Depth=1
	v_cmp_eq_u32_e32 vcc, 0, v1
	s_orn2_b64 s[66:67], vcc, exec
; %bb.125:                              ;   in Loop: Header=BB0_15 Depth=1
	s_or_b64 exec, exec, s[62:63]
	s_mov_b64 s[64:65], 0
                                        ; implicit-def: $vgpr2_vgpr3
	s_and_saveexec_b64 s[62:63], s[66:67]
	s_cbranch_execz .LBB0_141
; %bb.126:                              ;   in Loop: Header=BB0_15 Depth=1
	v_mov_b32_e32 v1, 50
	s_mov_b64 s[64:65], exec
	v_readlane_b32 s66, v127, 56
	v_readlane_b32 s67, v127, 57
	s_and_b64 s[66:67], s[64:65], s[66:67]
	s_mov_b64 exec, s[66:67]
	s_cbranch_execz .LBB0_128
; %bb.127:                              ;   in Loop: Header=BB0_15 Depth=1
	ds_read_b32 v4, v59 offset:5760
	v_readlane_b32 s66, v126, 48
	v_mul_lo_u32 v1, s66, v62
	v_or_b32_e32 v2, v1, v68
	v_ashrrev_i32_e32 v3, 31, v2
	s_waitcnt lgkmcnt(0)
	v_cvt_f32_f16_sdwa v5, v4 dst_sel:DWORD dst_unused:UNUSED_PAD src0_sel:WORD_1
	v_cvt_f32_f16_e32 v4, v4
	v_lshlrev_b64 v[2:3], 3, v[2:3]
	v_readlane_b32 s66, v127, 20
	v_mov_b32_e32 v1, s66
	v_add_co_u32_e32 v2, vcc, s89, v2
	v_addc_co_u32_e32 v3, vcc, v1, v3, vcc
	v_pk_add_f32 v[4:5], v[4:5], 0 op_sel_hi:[1,0]
	v_mov_b32_e32 v1, 0
	global_store_dwordx2 v[2:3], v[4:5], off
.LBB0_128:                              ;   in Loop: Header=BB0_15 Depth=1
	s_or_b64 exec, exec, s[64:65]
	v_cmp_gt_i32_e32 vcc, 50, v1
	s_mov_b64 s[68:69], -1
	s_and_saveexec_b64 s[64:65], vcc
; %bb.129:                              ;   in Loop: Header=BB0_15 Depth=1
	v_cmp_eq_u32_e32 vcc, 0, v1
	s_orn2_b64 s[68:69], vcc, exec
; %bb.130:                              ;   in Loop: Header=BB0_15 Depth=1
	s_or_b64 exec, exec, s[64:65]
	s_mov_b64 s[66:67], 0
                                        ; implicit-def: $vgpr2_vgpr3
	s_and_saveexec_b64 s[64:65], s[68:69]
	s_cbranch_execz .LBB0_140
; %bb.131:                              ;   in Loop: Header=BB0_15 Depth=1
	v_mov_b32_e32 v1, 50
	s_mov_b64 s[66:67], exec
	v_readlane_b32 s68, v127, 58
	v_readlane_b32 s69, v127, 59
	s_and_b64 s[68:69], s[66:67], s[68:69]
	s_mov_b64 exec, s[68:69]
	s_cbranch_execz .LBB0_133
; %bb.132:                              ;   in Loop: Header=BB0_15 Depth=1
	buffer_load_dword v2, off, s[0:3], 0 offset:336 ; 4-byte Folded Reload
	v_readlane_b32 s68, v126, 48
	v_mul_lo_u32 v1, s68, v61
	v_readlane_b32 s68, v127, 20
	s_waitcnt vmcnt(0)
	ds_read_b32 v4, v2
	v_or_b32_e32 v2, v1, v68
	v_ashrrev_i32_e32 v3, 31, v2
	v_lshlrev_b64 v[2:3], 3, v[2:3]
	v_mov_b32_e32 v1, s68
	s_waitcnt lgkmcnt(0)
	v_cvt_f32_f16_sdwa v5, v4 dst_sel:DWORD dst_unused:UNUSED_PAD src0_sel:WORD_1
	v_cvt_f32_f16_e32 v4, v4
	v_add_co_u32_e32 v2, vcc, s89, v2
	v_addc_co_u32_e32 v3, vcc, v1, v3, vcc
	v_pk_add_f32 v[4:5], v[4:5], 0 op_sel_hi:[1,0]
	v_mov_b32_e32 v1, 0
	global_store_dwordx2 v[2:3], v[4:5], off
.LBB0_133:                              ;   in Loop: Header=BB0_15 Depth=1
	s_or_b64 exec, exec, s[66:67]
	v_cmp_gt_i32_e32 vcc, 50, v1
	s_mov_b64 s[70:71], -1
	s_and_saveexec_b64 s[66:67], vcc
; %bb.134:                              ;   in Loop: Header=BB0_15 Depth=1
	v_cmp_eq_u32_e32 vcc, 0, v1
	s_orn2_b64 s[70:71], vcc, exec
; %bb.135:                              ;   in Loop: Header=BB0_15 Depth=1
	s_or_b64 exec, exec, s[66:67]
	s_mov_b64 s[68:69], 0
                                        ; implicit-def: $vgpr2_vgpr3
	s_and_saveexec_b64 s[66:67], s[70:71]
	s_cbranch_execz .LBB0_139
; %bb.136:                              ;   in Loop: Header=BB0_15 Depth=1
                                        ; implicit-def: $vgpr2_vgpr3
	s_mov_b64 s[70:71], exec
	v_readlane_b32 s72, v127, 60
	v_readlane_b32 s73, v127, 61
	s_and_b64 s[72:73], s[70:71], s[72:73]
	s_xor_b64 s[70:71], s[72:73], s[70:71]
	s_mov_b64 exec, s[72:73]
	s_cbranch_execz .LBB0_138
; %bb.137:                              ;   in Loop: Header=BB0_15 Depth=1
	ds_read_b32 v1, v59 offset:8064
	s_mov_b64 s[68:69], exec
	s_waitcnt lgkmcnt(0)
	v_cvt_f32_f16_sdwa v3, v1 dst_sel:DWORD dst_unused:UNUSED_PAD src0_sel:WORD_1
	v_cvt_f32_f16_e32 v2, v1
	v_pk_add_f32 v[2:3], v[2:3], 0 op_sel_hi:[1,0]
.LBB0_138:                              ;   in Loop: Header=BB0_15 Depth=1
	s_or_b64 exec, exec, s[70:71]
	v_readlane_b32 s72, v126, 63
	s_and_b64 s[68:69], s[68:69], exec
	v_readlane_b32 s73, v127, 0
	v_readlane_b32 s74, v127, 1
	;; [unrolled: 1-line block ×15, first 2 shown]
.LBB0_139:                              ;   in Loop: Header=BB0_15 Depth=1
	s_or_b64 exec, exec, s[66:67]
	s_and_b64 s[66:67], s[68:69], exec
.LBB0_140:                              ;   in Loop: Header=BB0_15 Depth=1
	s_or_b64 exec, exec, s[64:65]
	s_and_b64 s[64:65], s[66:67], exec
.LBB0_141:                              ;   in Loop: Header=BB0_15 Depth=1
	s_or_b64 exec, exec, s[62:63]
	s_and_b64 s[62:63], s[64:65], exec
.LBB0_142:                              ;   in Loop: Header=BB0_15 Depth=1
	s_or_b64 exec, exec, s[60:61]
	s_and_b64 s[60:61], s[62:63], exec
.LBB0_143:                              ;   in Loop: Header=BB0_15 Depth=1
	s_or_b64 exec, exec, s[58:59]
	s_and_b64 s[58:59], s[60:61], exec
.LBB0_144:                              ;   in Loop: Header=BB0_15 Depth=1
	s_or_b64 exec, exec, s[40:41]
	s_and_b64 s[40:41], s[58:59], exec
.LBB0_145:                              ;   in Loop: Header=BB0_15 Depth=1
	s_or_b64 exec, exec, s[56:57]
	s_and_b64 vcc, exec, s[44:45]
	s_cbranch_vccz .LBB0_267
.LBB0_146:                              ;   in Loop: Header=BB0_15 Depth=1
	v_readlane_b32 s44, v127, 31
	s_lshl_b32 s62, s44, 6
	v_add_u32_e32 v90, s62, v67
	v_cmp_gt_i32_e64 s[44:45], s96, v90
	v_cmp_le_i32_e32 vcc, s96, v90
	s_and_saveexec_b64 s[56:57], vcc
	s_xor_b64 s[56:57], exec, s[56:57]
	s_cbranch_execz .LBB0_148
; %bb.147:                              ;   in Loop: Header=BB0_15 Depth=1
	s_waitcnt vmcnt(1)
	ds_write_b32 v59, v37
.LBB0_148:                              ;   in Loop: Header=BB0_15 Depth=1
	s_andn2_saveexec_b64 s[56:57], s[56:57]
	s_cbranch_execz .LBB0_150
; %bb.149:                              ;   in Loop: Header=BB0_15 Depth=1
	v_mad_u64_u32 v[2:3], s[58:59], v90, s92, v[68:69]
	v_ashrrev_i32_e32 v3, 31, v2
	v_lshlrev_b64 v[2:3], 3, v[2:3]
	v_mov_b32_e32 v1, s9
	v_add_co_u32_e32 v2, vcc, s52, v2
	v_addc_co_u32_e32 v3, vcc, v1, v3, vcc
	global_load_dwordx2 v[2:3], v[2:3], off
	s_waitcnt vmcnt(0)
	v_cvt_f16_f32_e32 v1, v2
	v_cvt_f16_f32_e32 v2, v3
	v_pack_b32_f16 v1, v1, v2
	v_pk_mul_f16 v1, v65, v1
	ds_write_b32 v59, v1
.LBB0_150:                              ;   in Loop: Header=BB0_15 Depth=1
	s_or_b64 exec, exec, s[56:57]
	buffer_load_dword v1, off, s[0:3], 0 offset:40 ; 4-byte Folded Reload
	s_waitcnt vmcnt(0)
	v_add_u32_e32 v89, s62, v1
	v_cmp_gt_i32_e64 s[56:57], s96, v89
	v_writelane_b32 v127, s56, 32
	v_writelane_b32 v127, s57, 33
	v_cmp_le_i32_e32 vcc, s96, v89
	s_and_saveexec_b64 s[56:57], vcc
	s_xor_b64 s[56:57], exec, s[56:57]
	s_cbranch_execz .LBB0_152
; %bb.151:                              ;   in Loop: Header=BB0_15 Depth=1
	ds_write_b32 v59, v37 offset:1152
.LBB0_152:                              ;   in Loop: Header=BB0_15 Depth=1
	s_andn2_saveexec_b64 s[56:57], s[56:57]
	s_cbranch_execz .LBB0_154
; %bb.153:                              ;   in Loop: Header=BB0_15 Depth=1
	v_mad_u64_u32 v[2:3], s[58:59], v89, s92, v[68:69]
	v_ashrrev_i32_e32 v3, 31, v2
	v_lshlrev_b64 v[2:3], 3, v[2:3]
	v_mov_b32_e32 v1, s9
	v_add_co_u32_e32 v2, vcc, s52, v2
	v_addc_co_u32_e32 v3, vcc, v1, v3, vcc
	global_load_dwordx2 v[2:3], v[2:3], off
	s_waitcnt vmcnt(0)
	v_cvt_f16_f32_e32 v1, v2
	v_cvt_f16_f32_e32 v2, v3
	v_pack_b32_f16 v1, v1, v2
	v_pk_mul_f16 v1, v65, v1
	ds_write_b32 v59, v1 offset:1152
.LBB0_154:                              ;   in Loop: Header=BB0_15 Depth=1
	s_or_b64 exec, exec, s[56:57]
	buffer_load_dword v1, off, s[0:3], 0 offset:44 ; 4-byte Folded Reload
	s_waitcnt vmcnt(0)
	v_add_u32_e32 v88, s62, v1
	v_cmp_gt_i32_e64 s[56:57], s96, v88
	v_writelane_b32 v127, s56, 34
	v_writelane_b32 v127, s57, 35
	v_cmp_le_i32_e32 vcc, s96, v88
	s_and_saveexec_b64 s[56:57], vcc
	s_xor_b64 s[56:57], exec, s[56:57]
	s_cbranch_execz .LBB0_156
; %bb.155:                              ;   in Loop: Header=BB0_15 Depth=1
	ds_write_b32 v59, v37 offset:2304
.LBB0_156:                              ;   in Loop: Header=BB0_15 Depth=1
	s_andn2_saveexec_b64 s[56:57], s[56:57]
	s_cbranch_execz .LBB0_158
; %bb.157:                              ;   in Loop: Header=BB0_15 Depth=1
	v_mad_u64_u32 v[2:3], s[58:59], v88, s92, v[68:69]
	v_ashrrev_i32_e32 v3, 31, v2
	v_lshlrev_b64 v[2:3], 3, v[2:3]
	v_mov_b32_e32 v1, s9
	v_add_co_u32_e32 v2, vcc, s52, v2
	v_addc_co_u32_e32 v3, vcc, v1, v3, vcc
	global_load_dwordx2 v[2:3], v[2:3], off
	s_waitcnt vmcnt(0)
	v_cvt_f16_f32_e32 v1, v2
	v_cvt_f16_f32_e32 v2, v3
	v_pack_b32_f16 v1, v1, v2
	v_pk_mul_f16 v1, v65, v1
	ds_write_b32 v59, v1 offset:2304
.LBB0_158:                              ;   in Loop: Header=BB0_15 Depth=1
	s_or_b64 exec, exec, s[56:57]
	buffer_load_dword v1, off, s[0:3], 0 offset:48 ; 4-byte Folded Reload
	s_waitcnt vmcnt(0)
	v_add_u32_e32 v87, s62, v1
	v_cmp_gt_i32_e64 s[56:57], s96, v87
	v_writelane_b32 v127, s56, 36
	v_writelane_b32 v127, s57, 37
	v_cmp_le_i32_e32 vcc, s96, v87
	s_and_saveexec_b64 s[56:57], vcc
	s_xor_b64 s[56:57], exec, s[56:57]
	s_cbranch_execz .LBB0_160
; %bb.159:                              ;   in Loop: Header=BB0_15 Depth=1
	ds_write_b32 v59, v37 offset:3456
.LBB0_160:                              ;   in Loop: Header=BB0_15 Depth=1
	s_andn2_saveexec_b64 s[56:57], s[56:57]
	s_cbranch_execz .LBB0_162
; %bb.161:                              ;   in Loop: Header=BB0_15 Depth=1
	v_mad_u64_u32 v[2:3], s[58:59], v87, s92, v[68:69]
	v_ashrrev_i32_e32 v3, 31, v2
	v_lshlrev_b64 v[2:3], 3, v[2:3]
	v_mov_b32_e32 v1, s9
	v_add_co_u32_e32 v2, vcc, s52, v2
	v_addc_co_u32_e32 v3, vcc, v1, v3, vcc
	global_load_dwordx2 v[2:3], v[2:3], off
	s_waitcnt vmcnt(0)
	v_cvt_f16_f32_e32 v1, v2
	v_cvt_f16_f32_e32 v2, v3
	v_pack_b32_f16 v1, v1, v2
	v_pk_mul_f16 v1, v65, v1
	ds_write_b32 v59, v1 offset:3456
.LBB0_162:                              ;   in Loop: Header=BB0_15 Depth=1
	s_or_b64 exec, exec, s[56:57]
	buffer_load_dword v1, off, s[0:3], 0 offset:52 ; 4-byte Folded Reload
	s_waitcnt vmcnt(0)
	v_add_u32_e32 v86, s62, v1
	v_cmp_gt_i32_e64 s[56:57], s96, v86
	v_writelane_b32 v127, s56, 38
	v_writelane_b32 v127, s57, 39
	v_cmp_le_i32_e32 vcc, s96, v86
	s_and_saveexec_b64 s[56:57], vcc
	s_xor_b64 s[56:57], exec, s[56:57]
	s_cbranch_execz .LBB0_164
; %bb.163:                              ;   in Loop: Header=BB0_15 Depth=1
	ds_write_b32 v59, v37 offset:4608
.LBB0_164:                              ;   in Loop: Header=BB0_15 Depth=1
	s_andn2_saveexec_b64 s[56:57], s[56:57]
	s_cbranch_execz .LBB0_166
; %bb.165:                              ;   in Loop: Header=BB0_15 Depth=1
	v_mad_u64_u32 v[2:3], s[58:59], v86, s92, v[68:69]
	v_ashrrev_i32_e32 v3, 31, v2
	v_lshlrev_b64 v[2:3], 3, v[2:3]
	v_mov_b32_e32 v1, s9
	v_add_co_u32_e32 v2, vcc, s52, v2
	v_addc_co_u32_e32 v3, vcc, v1, v3, vcc
	global_load_dwordx2 v[2:3], v[2:3], off
	s_waitcnt vmcnt(0)
	v_cvt_f16_f32_e32 v1, v2
	v_cvt_f16_f32_e32 v2, v3
	v_pack_b32_f16 v1, v1, v2
	v_pk_mul_f16 v1, v65, v1
	ds_write_b32 v59, v1 offset:4608
.LBB0_166:                              ;   in Loop: Header=BB0_15 Depth=1
	s_or_b64 exec, exec, s[56:57]
	buffer_load_dword v1, off, s[0:3], 0 offset:56 ; 4-byte Folded Reload
	s_waitcnt vmcnt(0)
	v_add_u32_e32 v85, s62, v1
	v_cmp_gt_i32_e64 s[56:57], s96, v85
	v_writelane_b32 v127, s56, 40
	v_writelane_b32 v127, s57, 41
	v_cmp_le_i32_e32 vcc, s96, v85
	s_and_saveexec_b64 s[56:57], vcc
	s_xor_b64 s[56:57], exec, s[56:57]
	s_cbranch_execz .LBB0_168
; %bb.167:                              ;   in Loop: Header=BB0_15 Depth=1
	ds_write_b32 v59, v37 offset:5760
.LBB0_168:                              ;   in Loop: Header=BB0_15 Depth=1
	s_andn2_saveexec_b64 s[56:57], s[56:57]
	s_cbranch_execz .LBB0_170
; %bb.169:                              ;   in Loop: Header=BB0_15 Depth=1
	v_mad_u64_u32 v[2:3], s[58:59], v85, s92, v[68:69]
	v_ashrrev_i32_e32 v3, 31, v2
	v_lshlrev_b64 v[2:3], 3, v[2:3]
	v_mov_b32_e32 v1, s9
	v_add_co_u32_e32 v2, vcc, s52, v2
	v_addc_co_u32_e32 v3, vcc, v1, v3, vcc
	global_load_dwordx2 v[2:3], v[2:3], off
	s_waitcnt vmcnt(0)
	v_cvt_f16_f32_e32 v1, v2
	v_cvt_f16_f32_e32 v2, v3
	v_pack_b32_f16 v1, v1, v2
	v_pk_mul_f16 v1, v65, v1
	ds_write_b32 v59, v1 offset:5760
.LBB0_170:                              ;   in Loop: Header=BB0_15 Depth=1
	s_or_b64 exec, exec, s[56:57]
	buffer_load_dword v1, off, s[0:3], 0 offset:60 ; 4-byte Folded Reload
	s_waitcnt vmcnt(0)
	v_add_u32_e32 v84, s62, v1
	v_cmp_gt_i32_e64 s[56:57], s96, v84
	v_writelane_b32 v127, s56, 42
	v_writelane_b32 v127, s57, 43
	v_cmp_le_i32_e32 vcc, s96, v84
	s_and_saveexec_b64 s[56:57], vcc
	s_xor_b64 s[56:57], exec, s[56:57]
	s_cbranch_execz .LBB0_172
; %bb.171:                              ;   in Loop: Header=BB0_15 Depth=1
	ds_write_b32 v59, v37 offset:6912
.LBB0_172:                              ;   in Loop: Header=BB0_15 Depth=1
	s_andn2_saveexec_b64 s[56:57], s[56:57]
	s_cbranch_execz .LBB0_174
; %bb.173:                              ;   in Loop: Header=BB0_15 Depth=1
	v_mad_u64_u32 v[2:3], s[58:59], v84, s92, v[68:69]
	v_ashrrev_i32_e32 v3, 31, v2
	v_lshlrev_b64 v[2:3], 3, v[2:3]
	v_mov_b32_e32 v1, s9
	v_add_co_u32_e32 v2, vcc, s52, v2
	v_addc_co_u32_e32 v3, vcc, v1, v3, vcc
	global_load_dwordx2 v[2:3], v[2:3], off
	s_waitcnt vmcnt(0)
	v_cvt_f16_f32_e32 v1, v2
	v_cvt_f16_f32_e32 v2, v3
	v_pack_b32_f16 v1, v1, v2
	v_pk_mul_f16 v1, v65, v1
	ds_write_b32 v59, v1 offset:6912
.LBB0_174:                              ;   in Loop: Header=BB0_15 Depth=1
	s_or_b64 exec, exec, s[56:57]
	buffer_load_dword v1, off, s[0:3], 0 offset:64 ; 4-byte Folded Reload
	s_waitcnt vmcnt(0)
	v_add_u32_e32 v4, s62, v1
	v_cmp_gt_i32_e64 s[56:57], s96, v4
	v_writelane_b32 v127, s56, 44
	v_writelane_b32 v127, s57, 45
	v_cmp_le_i32_e32 vcc, s96, v4
	s_and_saveexec_b64 s[56:57], vcc
	s_xor_b64 s[56:57], exec, s[56:57]
	s_cbranch_execz .LBB0_176
; %bb.175:                              ;   in Loop: Header=BB0_15 Depth=1
	ds_write_b32 v59, v37 offset:8064
.LBB0_176:                              ;   in Loop: Header=BB0_15 Depth=1
	s_andn2_saveexec_b64 s[56:57], s[56:57]
	s_cbranch_execz .LBB0_178
; %bb.177:                              ;   in Loop: Header=BB0_15 Depth=1
	v_mad_u64_u32 v[2:3], s[58:59], v4, s92, v[68:69]
	v_ashrrev_i32_e32 v3, 31, v2
	v_lshlrev_b64 v[2:3], 3, v[2:3]
	v_mov_b32_e32 v1, s9
	v_add_co_u32_e32 v2, vcc, s52, v2
	v_addc_co_u32_e32 v3, vcc, v1, v3, vcc
	global_load_dwordx2 v[2:3], v[2:3], off
	s_waitcnt vmcnt(0)
	v_cvt_f16_f32_e32 v1, v2
	v_cvt_f16_f32_e32 v2, v3
	v_pack_b32_f16 v1, v1, v2
	v_pk_mul_f16 v1, v65, v1
	ds_write_b32 v59, v1 offset:8064
.LBB0_178:                              ;   in Loop: Header=BB0_15 Depth=1
	s_or_b64 exec, exec, s[56:57]
	buffer_store_dword v4, off, s[0:3], 0 offset:36 ; 4-byte Folded Spill
	s_waitcnt lgkmcnt(0)
	s_barrier
	ds_read2_b64 v[6:9], v69 offset1:4
	ds_read2_b64 v[2:5], v69 offset0:8 offset1:12
	v_readlane_b32 s52, v126, 32
	s_mov_b32 s9, 0
	s_cmp_lt_i32 s52, 2
	v_mov_b32_e32 v110, 0
	v_cmp_ne_u64_e64 s[56:57], 0, v[48:49]
	s_waitcnt lgkmcnt(0)
	s_barrier
	s_cbranch_scc1 .LBB0_193
; %bb.179:                              ;   in Loop: Header=BB0_15 Depth=1
	v_add_u32_e32 v1, s62, v105
	v_readlane_b32 s58, v126, 13
	v_mul_hi_u32 v10, s58, v1
	v_readlane_b32 s59, v126, 14
	v_add_u32_e32 v10, v1, v10
	v_lshrrev_b32_e32 v10, s59, v10
	buffer_store_dword v90, off, s[0:3], 0 offset:264 ; 4-byte Folded Spill
	buffer_store_dword v89, off, s[0:3], 0 offset:260 ; 4-byte Folded Spill
	;; [unrolled: 1-line block ×7, first 2 shown]
	v_mul_lo_u32 v10, v10, s96
	v_sub_u32_e32 v10, v1, v10
	buffer_load_dword v1, off, s[0:3], 0 offset:68 ; 4-byte Folded Reload
	buffer_load_dword v31, off, s[0:3], 0 offset:296 ; 4-byte Folded Reload
	;; [unrolled: 1-line block ×3, first 2 shown]
	s_add_i32 s9, s52, -1
	v_readlane_b32 s52, v127, 21
	v_mov_b32_e32 v59, 0
	v_mov_b32_e32 v50, v120
	;; [unrolled: 1-line block ×12, first 2 shown]
	buffer_load_dword v46, off, s[0:3], 0 offset:304 ; 4-byte Folded Reload
	s_waitcnt vmcnt(3)
	v_add_u32_e32 v1, s62, v1
	v_mul_hi_u32 v11, s58, v1
	v_add_u32_e32 v11, v1, v11
	v_lshrrev_b32_e32 v11, s59, v11
	v_mul_lo_u32 v11, v11, s96
	v_sub_u32_e32 v11, v1, v11
	buffer_load_dword v1, off, s[0:3], 0 offset:72 ; 4-byte Folded Reload
	s_waitcnt vmcnt(2)
	v_xor_b32_e32 v27, 32, v29
	s_waitcnt vmcnt(0)
	v_add_u32_e32 v1, s62, v1
	v_mul_hi_u32 v12, s58, v1
	v_add_u32_e32 v12, v1, v12
	v_lshrrev_b32_e32 v12, s59, v12
	v_mul_lo_u32 v12, v12, s96
	v_sub_u32_e32 v12, v1, v12
	buffer_load_dword v1, off, s[0:3], 0 offset:76 ; 4-byte Folded Reload
	s_waitcnt vmcnt(0)
	v_add_u32_e32 v1, s62, v1
	v_mul_hi_u32 v13, s58, v1
	v_add_u32_e32 v13, v1, v13
	v_lshrrev_b32_e32 v13, s59, v13
	v_mul_lo_u32 v13, v13, s96
	v_sub_u32_e32 v13, v1, v13
	buffer_load_dword v1, off, s[0:3], 0 offset:80 ; 4-byte Folded Reload
	;; [unrolled: 8-line block ×13, first 2 shown]
	s_waitcnt vmcnt(0)
	v_add_u32_e32 v1, s62, v1
	v_mul_hi_u32 v25, s58, v1
	v_add_u32_e32 v25, v1, v25
	v_lshrrev_b32_e32 v25, s59, v25
	v_mul_lo_u32 v25, v25, s96
	v_sub_u32_e32 v25, v1, v25
	v_and_b32_e32 v1, 64, v29
	v_add_u32_e32 v1, 64, v1
	v_cmp_lt_i32_e32 vcc, v27, v1
	v_cndmask_b32_e32 v27, v29, v27, vcc
	v_lshlrev_b32_e32 v106, 2, v27
	v_xor_b32_e32 v27, 16, v29
	v_cmp_lt_i32_e32 vcc, v27, v1
	v_cndmask_b32_e32 v1, v29, v27, vcc
	buffer_load_dword v27, off, s[0:3], 0 offset:280 ; 4-byte Folded Reload
	buffer_load_dword v29, off, s[0:3], 0 offset:288 ; 4-byte Folded Reload
	v_readlane_b32 s58, v127, 23
	s_add_u32 s52, s52, s58
	v_readlane_b32 s58, v127, 22
	v_readlane_b32 s59, v127, 24
	s_addc_u32 s58, s58, s59
	v_lshlrev_b32_e32 v108, 2, v1
	v_mov_b32_e32 v1, s58
	v_readlane_b32 s59, v127, 30
	s_waitcnt vmcnt(1)
	v_add_co_u32_e32 v52, vcc, s52, v27
	buffer_load_dword v27, off, s[0:3], 0 offset:284 ; 4-byte Folded Reload
	s_waitcnt vmcnt(0)
	v_addc_co_u32_e32 v1, vcc, v27, v1, vcc
	v_add_co_u32_e32 v54, vcc, s52, v29
	buffer_load_dword v29, off, s[0:3], 0 offset:292 ; 4-byte Folded Reload
	v_mov_b32_e32 v27, s58
	v_readlane_b32 s52, v127, 27
	v_readlane_b32 s58, v127, 29
	s_add_u32 s52, s52, s58
	v_readlane_b32 s58, v127, 28
	s_addc_u32 s58, s58, s59
	s_waitcnt vmcnt(0)
	v_addc_co_u32_e32 v27, vcc, v29, v27, vcc
	v_add_co_u32_e32 v56, vcc, s52, v31
	buffer_load_dword v31, off, s[0:3], 0 offset:300 ; 4-byte Folded Reload
	v_mov_b32_e32 v29, s58
	s_waitcnt vmcnt(0)
	v_addc_co_u32_e32 v29, vcc, v31, v29, vcc
	v_add_co_u32_e32 v58, vcc, s52, v46
	buffer_load_dword v46, off, s[0:3], 0 offset:308 ; 4-byte Folded Reload
	v_mov_b32_e32 v31, s58
	v_readlane_b32 s58, v126, 61
	v_readlane_b32 s59, v126, 62
	s_mov_b32 s52, s58
	v_mad_i64_i32 v[60:61], s[58:59], s52, v13, v[48:49]
	v_mad_i64_i32 v[62:63], s[58:59], s52, v12, v[48:49]
	;; [unrolled: 1-line block ×16, first 2 shown]
	s_mov_b32 s52, s9
	s_waitcnt vmcnt(0)
	v_addc_co_u32_e32 v31, vcc, v46, v31, vcc
	v_cndmask_b32_e64 v10, 0, 1, s[56:57]
	v_cmp_ne_u32_e64 s[58:59], 1, v10
	s_andn2_b64 vcc, exec, s[56:57]
	s_cbranch_vccnz .LBB0_189
.LBB0_180:                              ;   in Loop: Header=BB0_15 Depth=1
                                        ; implicit-def: $sgpr63
	s_and_saveexec_b64 s[60:61], s[6:7]
	s_xor_b64 s[60:61], exec, s[60:61]
	s_cbranch_execz .LBB0_182
; %bb.181:                              ;   in Loop: Header=BB0_15 Depth=1
	v_add_u32_e32 v10, 0x240, v96
	ds_write_b16 v10, v37 offset:9216
	v_add_u32_e32 v10, 0x480, v96
	ds_write_b16 v10, v37 offset:9216
	;; [unrolled: 2-line block ×3, first 2 shown]
	ds_write_b16 v10, v37 offset:9216
	s_mov_b32 s63, 0
.LBB0_182:                              ;   in Loop: Header=BB0_15 Depth=1
	s_or_saveexec_b64 s[60:61], s[60:61]
	v_mov_b32_e32 v10, s63
	v_mov_b32_e32 v11, s63
	;; [unrolled: 1-line block ×4, first 2 shown]
	s_xor_b64 exec, exec, s[60:61]
	s_cbranch_execz .LBB0_184
; %bb.183:                              ;   in Loop: Header=BB0_15 Depth=1
	v_add_co_u32_e32 v10, vcc, v66, v30
	v_addc_co_u32_e32 v11, vcc, 0, v67, vcc
	flat_load_ushort v12, v[10:11]
	v_add_co_u32_e32 v10, vcc, v64, v30
	v_addc_co_u32_e32 v11, vcc, 0, v65, vcc
	flat_load_ushort v13, v[10:11]
	;; [unrolled: 3-line block ×4, first 2 shown]
	v_add_u32_e32 v11, 0x240, v96
	s_waitcnt vmcnt(0) lgkmcnt(0)
	ds_write_b16 v96, v12 offset:9216
	ds_write_b16 v11, v13 offset:9216
	v_add_u32_e32 v11, 0x480, v96
	ds_write_b16 v11, v14 offset:9216
	v_add_u32_e32 v11, 0x6c0, v96
	ds_write_b16 v11, v10 offset:9216
	v_add_co_u32_e32 v10, vcc, v74, v30
	v_addc_co_u32_e32 v11, vcc, 0, v75, vcc
	v_add_co_u32_e32 v12, vcc, v72, v30
	v_addc_co_u32_e32 v13, vcc, 0, v73, vcc
	flat_load_ushort v10, v[10:11]
	s_nop 0
	flat_load_ushort v11, v[12:13]
	v_add_co_u32_e32 v12, vcc, v70, v30
	v_addc_co_u32_e32 v13, vcc, 0, v71, vcc
	v_add_co_u32_e32 v14, vcc, v68, v30
	v_addc_co_u32_e32 v15, vcc, 0, v69, vcc
	flat_load_ushort v12, v[12:13]
	s_nop 0
	flat_load_ushort v13, v[14:15]
.LBB0_184:                              ;   in Loop: Header=BB0_15 Depth=1
	s_or_b64 exec, exec, s[60:61]
	v_add_u32_e32 v14, 0x900, v96
	s_waitcnt vmcnt(0) lgkmcnt(0)
	ds_write_b16 v14, v10 offset:9216
	v_add_u32_e32 v10, 0xb40, v96
	ds_write_b16 v10, v11 offset:9216
	v_add_u32_e32 v10, 0xd80, v96
	;; [unrolled: 2-line block ×3, first 2 shown]
	ds_write_b16 v10, v13 offset:9216
                                        ; implicit-def: $sgpr63
	s_and_saveexec_b64 s[60:61], s[6:7]
	s_xor_b64 s[60:61], exec, s[60:61]
	s_cbranch_execz .LBB0_186
; %bb.185:                              ;   in Loop: Header=BB0_15 Depth=1
	v_add_u32_e32 v10, 0x1200, v96
	ds_write_b16 v10, v37 offset:9216
	v_add_u32_e32 v10, 0x1440, v96
	ds_write_b16 v10, v37 offset:9216
	;; [unrolled: 2-line block ×4, first 2 shown]
	s_mov_b32 s63, 0
.LBB0_186:                              ;   in Loop: Header=BB0_15 Depth=1
	s_or_saveexec_b64 s[60:61], s[60:61]
	v_mov_b32_e32 v10, s63
	v_mov_b32_e32 v11, s63
	v_mov_b32_e32 v12, s63
	v_mov_b32_e32 v13, s63
	s_xor_b64 exec, exec, s[60:61]
	s_cbranch_execz .LBB0_188
; %bb.187:                              ;   in Loop: Header=BB0_15 Depth=1
	v_add_co_u32_e32 v10, vcc, v82, v30
	v_addc_co_u32_e32 v11, vcc, 0, v83, vcc
	flat_load_ushort v12, v[10:11]
	v_add_co_u32_e32 v10, vcc, v80, v30
	v_addc_co_u32_e32 v11, vcc, 0, v81, vcc
	flat_load_ushort v13, v[10:11]
	v_add_co_u32_e32 v10, vcc, v78, v30
	v_addc_co_u32_e32 v11, vcc, 0, v79, vcc
	flat_load_ushort v14, v[10:11]
	v_add_co_u32_e32 v10, vcc, v76, v30
	v_addc_co_u32_e32 v11, vcc, 0, v77, vcc
	flat_load_ushort v10, v[10:11]
	v_add_u32_e32 v11, 0x1200, v96
	s_waitcnt vmcnt(0) lgkmcnt(0)
	ds_write_b16 v11, v12 offset:9216
	v_add_u32_e32 v11, 0x1440, v96
	ds_write_b16 v11, v13 offset:9216
	v_add_u32_e32 v11, 0x1680, v96
	;; [unrolled: 2-line block ×3, first 2 shown]
	ds_write_b16 v11, v10 offset:9216
	v_add_co_u32_e32 v10, vcc, v90, v30
	v_addc_co_u32_e32 v11, vcc, 0, v91, vcc
	v_add_co_u32_e32 v12, vcc, v88, v30
	v_addc_co_u32_e32 v13, vcc, 0, v89, vcc
	flat_load_ushort v10, v[10:11]
	s_nop 0
	flat_load_ushort v11, v[12:13]
	v_add_co_u32_e32 v12, vcc, v86, v30
	v_addc_co_u32_e32 v13, vcc, 0, v87, vcc
	v_add_co_u32_e32 v14, vcc, v84, v30
	v_addc_co_u32_e32 v15, vcc, 0, v85, vcc
	flat_load_ushort v12, v[12:13]
	s_nop 0
	flat_load_ushort v13, v[14:15]
.LBB0_188:                              ;   in Loop: Header=BB0_15 Depth=1
	s_or_b64 exec, exec, s[60:61]
	v_add_u32_e32 v14, 0x1b00, v96
	s_waitcnt vmcnt(0) lgkmcnt(0)
	ds_write_b16 v14, v10 offset:9216
	v_add_u32_e32 v10, 0x1d40, v96
	ds_write_b16 v10, v11 offset:9216
	v_add_u32_e32 v10, 0x1f80, v96
	;; [unrolled: 2-line block ×3, first 2 shown]
	ds_write_b16 v10, v13 offset:9216
.LBB0_189:                              ;   Parent Loop BB0_15 Depth=1
                                        ; =>  This Inner Loop Header: Depth=2
	v_add_co_u32_e32 v10, vcc, v56, v36
	v_addc_co_u32_e32 v11, vcc, 0, v29, vcc
	v_mov_b32_e32 v14, s49
	v_mov_b32_e32 v15, s48
	buffer_store_dword v37, off, s[0:3], 0
	buffer_store_dword v37, off, s[0:3], 0 offset:4
	buffer_store_dword v37, off, s[0:3], 0 offset:8
	;; [unrolled: 1-line block ×3, first 2 shown]
	v_cndmask_b32_e64 v11, v14, v11, s[90:91]
	v_cndmask_b32_e64 v10, v15, v10, s[90:91]
	flat_load_dwordx4 v[10:13], v[10:11]
	v_add_u32_e32 v18, 0x800, v99
	v_add_u32_e32 v46, 0x1000, v99
	s_waitcnt vmcnt(0) lgkmcnt(0)
	ds_write_b128 v35, v[10:13]
	v_add_co_u32_e32 v10, vcc, v58, v36
	v_addc_co_u32_e32 v11, vcc, 0, v31, vcc
	v_cndmask_b32_e64 v11, v14, v11, s[10:11]
	v_cndmask_b32_e64 v10, v15, v10, s[10:11]
	flat_load_dwordx4 v[10:13], v[10:11]
	s_and_b64 vcc, exec, s[58:59]
	s_waitcnt vmcnt(0) lgkmcnt(0)
	ds_write_b128 v0, v[10:13]
	s_waitcnt lgkmcnt(0)
	s_barrier
	ds_read2_b64 v[10:13], v99 offset1:4
	s_waitcnt lgkmcnt(0)
	v_mfma_f32_16x16x16f16 v[14:17], v[10:11], v[6:7], 0
	v_mfma_f32_16x16x16f16 v[10:13], v[12:13], v[8:9], v[14:17]
	s_nop 7
	s_nop 1
	ds_read2_b64 v[14:17], v99 offset0:8 offset1:12
	s_waitcnt lgkmcnt(0)
	v_mfma_f32_16x16x16f16 v[10:13], v[14:15], v[2:3], v[10:13]
	v_mfma_f32_16x16x16f16 v[22:25], v[16:17], v[4:5], v[10:13]
	s_nop 7
	s_nop 1
	ds_read2_b64 v[10:13], v18 offset0:32 offset1:36
	;; [unrolled: 6-line block ×5, first 2 shown]
	s_waitcnt lgkmcnt(0)
	v_mfma_f32_16x16x16f16 v[10:13], v[14:15], v[2:3], v[10:13]
	v_add_u32_e32 v46, 0x1800, v99
	v_mfma_f32_16x16x16f16 v[14:17], v[16:17], v[4:5], v[10:13]
	s_nop 7
	s_nop 0
	ds_read2_b64 v[10:13], v46 offset0:96 offset1:100
	s_waitcnt lgkmcnt(0)
	v_mfma_f32_16x16x16f16 v[122:125], v[10:11], v[6:7], 0
	v_mfma_f32_16x16x16f16 v[10:13], v[12:13], v[8:9], v[122:125]
	s_nop 7
	s_nop 1
	ds_read2_b64 v[122:125], v46 offset0:104 offset1:108
	s_waitcnt lgkmcnt(0)
	v_mfma_f32_16x16x16f16 v[10:13], v[122:123], v[2:3], v[10:13]
	s_barrier
	v_mfma_f32_16x16x16f16 v[10:13], v[124:125], v[4:5], v[10:13]
	s_cbranch_vccnz .LBB0_191
; %bb.190:                              ;   in Loop: Header=BB0_189 Depth=2
	buffer_load_dword v46, off, s[0:3], 0 offset:16 ; 4-byte Folded Reload
	v_mov_b32_e32 v121, v120
	s_waitcnt vmcnt(0)
	ds_read_b32 v46, v46 offset:9216
	s_waitcnt lgkmcnt(0)
	v_cvt_f32_f16_sdwa v123, v46 dst_sel:DWORD dst_unused:UNUSED_PAD src0_sel:WORD_1
	v_cvt_f32_f16_e32 v122, v46
	buffer_load_dword v46, off, s[0:3], 0 offset:20 ; 4-byte Folded Reload
	v_pk_fma_f32 v[22:23], v[50:51], v[122:123], v[22:23]
	s_waitcnt vmcnt(0)
	ds_read_b32 v46, v46 offset:9216
	s_waitcnt lgkmcnt(0)
	v_cvt_f32_f16_sdwa v125, v46 dst_sel:DWORD dst_unused:UNUSED_PAD src0_sel:WORD_1
	v_cvt_f32_f16_e32 v124, v46
	buffer_load_dword v46, off, s[0:3], 0 offset:24 ; 4-byte Folded Reload
	v_pk_fma_f32 v[24:25], v[120:121], v[124:125], v[24:25]
	s_waitcnt vmcnt(0)
	v_add_u32_e32 v46, 0x2400, v46
	ds_read2_b32 v[122:123], v46 offset1:1
	buffer_load_dword v46, off, s[0:3], 0 offset:28 ; 4-byte Folded Reload
	s_waitcnt lgkmcnt(0)
	v_cvt_f32_f16_e32 v124, v122
	v_cvt_f32_f16_sdwa v125, v122 dst_sel:DWORD dst_unused:UNUSED_PAD src0_sel:WORD_1
	v_cvt_f32_f16_e32 v122, v123
	v_cvt_f32_f16_sdwa v123, v123 dst_sel:DWORD dst_unused:UNUSED_PAD src0_sel:WORD_1
	v_pk_fma_f32 v[18:19], v[50:51], v[124:125], v[18:19]
	v_pk_fma_f32 v[20:21], v[120:121], v[122:123], v[20:21]
	s_waitcnt vmcnt(0)
	v_add_u32_e32 v46, 0x2400, v46
	ds_read2_b32 v[122:123], v46 offset1:1
	v_add_u32_e32 v46, 0x2400, v119
	s_waitcnt lgkmcnt(0)
	v_cvt_f32_f16_e32 v124, v122
	v_cvt_f32_f16_sdwa v125, v122 dst_sel:DWORD dst_unused:UNUSED_PAD src0_sel:WORD_1
	v_cvt_f32_f16_e32 v122, v123
	v_cvt_f32_f16_sdwa v123, v123 dst_sel:DWORD dst_unused:UNUSED_PAD src0_sel:WORD_1
	v_pk_fma_f32 v[14:15], v[50:51], v[124:125], v[14:15]
	v_pk_fma_f32 v[16:17], v[120:121], v[122:123], v[16:17]
	ds_read2_b32 v[122:123], v46 offset1:1
	s_waitcnt lgkmcnt(0)
	v_cvt_f32_f16_e32 v124, v122
	v_cvt_f32_f16_sdwa v125, v122 dst_sel:DWORD dst_unused:UNUSED_PAD src0_sel:WORD_1
	v_cvt_f32_f16_e32 v122, v123
	v_cvt_f32_f16_sdwa v123, v123 dst_sel:DWORD dst_unused:UNUSED_PAD src0_sel:WORD_1
	v_pk_fma_f32 v[10:11], v[50:51], v[124:125], v[10:11]
	v_pk_fma_f32 v[12:13], v[120:121], v[122:123], v[12:13]
.LBB0_191:                              ;   in Loop: Header=BB0_189 Depth=2
	v_add_f32_e32 v46, 0x40051340, v22
	v_max_f32_e32 v116, v47, v47
	v_max_f32_e32 v46, v116, v46
	v_cndmask_b32_e64 v46, v47, v46, s[12:13]
	v_add_f32_e32 v116, 0x40051340, v23
	v_max_f32_e32 v46, v46, v46
	v_max_f32_e32 v46, v46, v116
	v_cndmask_b32_e64 v46, v47, v46, s[12:13]
	;; [unrolled: 4-line block ×16, first 2 shown]
	ds_bpermute_b32 v116, v106, v46
	v_max_f32_e32 v46, v46, v46
	v_cndmask_b32_e64 v24, v24, v24, s[12:13]
	v_cndmask_b32_e64 v25, v25, v25, s[12:13]
	;; [unrolled: 1-line block ×3, first 2 shown]
	s_waitcnt lgkmcnt(0)
	v_max_f32_e32 v116, v116, v116
	v_max_f32_e32 v46, v46, v116
	ds_bpermute_b32 v116, v108, v46
	v_cndmask_b32_e64 v20, v20, v20, s[14:15]
	v_cndmask_b32_e64 v21, v21, v21, s[14:15]
	;; [unrolled: 1-line block ×4, first 2 shown]
	s_waitcnt lgkmcnt(0)
	v_max_f32_e32 v116, v116, v116
	v_max_f32_e32 v46, v46, v116
	v_sub_f32_e32 v22, v22, v46
	v_mul_f32_e32 v116, 0x3fb8aa3b, v22
	v_fma_f32 v121, v22, s97, -v116
	v_rndne_f32_e32 v122, v116
	v_fmac_f32_e32 v121, 0x32a5705f, v22
	v_sub_f32_e32 v116, v116, v122
	v_add_f32_e32 v116, v116, v121
	v_exp_f32_e32 v116, v116
	v_cvt_i32_f32_e32 v121, v122
	v_sub_f32_e32 v23, v23, v46
	v_cmp_ngt_f32_e32 vcc, s98, v22
	v_sub_f32_e32 v24, v24, v46
	v_ldexp_f32 v116, v116, v121
	v_mul_f32_e32 v121, 0x3fb8aa3b, v23
	v_fma_f32 v122, v23, s97, -v121
	v_rndne_f32_e32 v123, v121
	v_fmac_f32_e32 v122, 0x32a5705f, v23
	v_sub_f32_e32 v121, v121, v123
	v_add_f32_e32 v121, v121, v122
	v_exp_f32_e32 v121, v121
	v_cvt_i32_f32_e32 v122, v123
	v_cndmask_b32_e32 v116, 0, v116, vcc
	v_cmp_nlt_f32_e32 vcc, s99, v22
	v_cndmask_b32_e32 v116, v100, v116, vcc
	v_ldexp_f32 v121, v121, v122
	v_cmp_ngt_f32_e32 vcc, s98, v23
	v_cndmask_b32_e32 v121, 0, v121, vcc
	v_cmp_nlt_f32_e32 vcc, s99, v23
	v_cndmask_b32_e32 v121, v100, v121, vcc
	v_mov_b32_e32 v23, s53
	v_cndmask_b32_e64 v22, 0, v116, s[12:13]
	v_add_f32_e32 v116, v116, v121
	v_cndmask_b32_e64 v23, v23, v121, s[12:13]
	v_mul_f32_e32 v121, 0x3fb8aa3b, v24
	v_fma_f32 v122, v24, s97, -v121
	v_rndne_f32_e32 v123, v121
	v_fmac_f32_e32 v122, 0x32a5705f, v24
	v_sub_f32_e32 v121, v121, v123
	v_add_f32_e32 v121, v121, v122
	v_exp_f32_e32 v121, v121
	v_cvt_i32_f32_e32 v122, v123
	v_cmp_ngt_f32_e32 vcc, s98, v24
	v_sub_f32_e32 v18, v18, v46
	v_sub_f32_e32 v19, v19, v46
	v_ldexp_f32 v121, v121, v122
	v_cndmask_b32_e32 v121, 0, v121, vcc
	v_cmp_nlt_f32_e32 vcc, s99, v24
	v_cndmask_b32_e32 v121, v100, v121, vcc
	v_mov_b32_e32 v24, s53
	v_add_f32_e32 v116, v116, v121
	v_cndmask_b32_e64 v121, v24, v121, s[12:13]
	v_sub_f32_e32 v24, v25, v46
	v_mul_f32_e32 v25, 0x3fb8aa3b, v24
	v_fma_f32 v122, v24, s97, -v25
	v_rndne_f32_e32 v123, v25
	v_fmac_f32_e32 v122, 0x32a5705f, v24
	v_sub_f32_e32 v25, v25, v123
	v_add_f32_e32 v25, v25, v122
	v_exp_f32_e32 v25, v25
	v_cvt_i32_f32_e32 v122, v123
	v_cmp_ngt_f32_e32 vcc, s98, v24
	v_sub_f32_e32 v20, v20, v46
	v_sub_f32_e32 v21, v21, v46
	v_ldexp_f32 v25, v25, v122
	v_cndmask_b32_e32 v25, 0, v25, vcc
	v_cmp_nlt_f32_e32 vcc, s99, v24
	v_cndmask_b32_e32 v24, v100, v25, vcc
	v_mov_b32_e32 v25, s53
	v_add_f32_e32 v122, v116, v24
	v_cndmask_b32_e64 v116, v25, v24, s[12:13]
	v_mul_f32_e32 v25, 0x3fb8aa3b, v18
	v_cndmask_b32_e64 v24, 0, v122, s[12:13]
	v_fma_f32 v122, v18, s97, -v25
	v_rndne_f32_e32 v123, v25
	v_fmac_f32_e32 v122, 0x32a5705f, v18
	v_sub_f32_e32 v25, v25, v123
	v_add_f32_e32 v25, v25, v122
	v_exp_f32_e32 v25, v25
	v_cvt_i32_f32_e32 v122, v123
	v_cmp_ngt_f32_e32 vcc, s98, v18
	v_sub_f32_e32 v14, v14, v46
	v_sub_f32_e32 v15, v15, v46
	v_ldexp_f32 v25, v25, v122
	v_cndmask_b32_e32 v25, 0, v25, vcc
	v_cmp_nlt_f32_e32 vcc, s99, v18
	v_cndmask_b32_e32 v25, v100, v25, vcc
	v_mov_b32_e32 v18, s53
	v_add_f32_e32 v122, v25, v24
	v_cndmask_b32_e64 v18, v18, v25, s[14:15]
	v_mul_f32_e32 v25, 0x3fb8aa3b, v19
	v_cndmask_b32_e64 v24, v24, v122, s[14:15]
	v_fma_f32 v122, v19, s97, -v25
	v_rndne_f32_e32 v123, v25
	v_fmac_f32_e32 v122, 0x32a5705f, v19
	v_sub_f32_e32 v25, v25, v123
	v_add_f32_e32 v25, v25, v122
	v_exp_f32_e32 v25, v25
	v_cvt_i32_f32_e32 v122, v123
	v_cmp_ngt_f32_e32 vcc, s98, v19
	v_cndmask_b32_e64 v17, v17, v17, s[22:23]
	v_sub_f32_e32 v10, v10, v46
	v_ldexp_f32 v25, v25, v122
	v_cndmask_b32_e32 v25, 0, v25, vcc
	v_cmp_nlt_f32_e32 vcc, s99, v19
	v_cndmask_b32_e32 v25, v100, v25, vcc
	v_mov_b32_e32 v19, s53
	v_add_f32_e32 v122, v25, v24
	v_cndmask_b32_e64 v19, v19, v25, s[16:17]
	v_mul_f32_e32 v25, 0x3fb8aa3b, v20
	v_cndmask_b32_e64 v24, v24, v122, s[16:17]
	v_fma_f32 v122, v20, s97, -v25
	v_rndne_f32_e32 v123, v25
	v_fmac_f32_e32 v122, 0x32a5705f, v20
	v_sub_f32_e32 v25, v25, v123
	v_add_f32_e32 v25, v25, v122
	v_exp_f32_e32 v25, v25
	v_cvt_i32_f32_e32 v122, v123
	v_cmp_ngt_f32_e32 vcc, s98, v20
	v_cndmask_b32_e64 v11, v11, v11, s[4:5]
	v_sub_f32_e32 v11, v11, v46
	v_ldexp_f32 v25, v25, v122
	v_cndmask_b32_e32 v25, 0, v25, vcc
	v_cmp_nlt_f32_e32 vcc, s99, v20
	v_cndmask_b32_e32 v25, v100, v25, vcc
	v_add_f32_e32 v122, v25, v24
	v_mov_b32_e32 v20, s53
	v_cndmask_b32_e64 v123, v20, v25, s[18:19]
	v_cndmask_b32_e64 v20, v24, v122, s[18:19]
	v_mul_f32_e32 v24, 0x3fb8aa3b, v21
	v_fma_f32 v25, v21, s97, -v24
	v_rndne_f32_e32 v122, v24
	v_fmac_f32_e32 v25, 0x32a5705f, v21
	v_sub_f32_e32 v24, v24, v122
	v_add_f32_e32 v24, v24, v25
	v_exp_f32_e32 v24, v24
	v_cvt_i32_f32_e32 v25, v122
	v_cmp_ngt_f32_e32 vcc, s98, v21
	v_cndmask_b32_e64 v12, v12, v12, s[4:5]
	v_cndmask_b32_e64 v13, v13, v13, s[4:5]
	v_ldexp_f32 v24, v24, v25
	v_cndmask_b32_e32 v24, 0, v24, vcc
	v_cmp_nlt_f32_e32 vcc, s99, v21
	v_cndmask_b32_e32 v24, v100, v24, vcc
	v_mov_b32_e32 v21, s53
	v_add_f32_e32 v25, v24, v20
	v_cndmask_b32_e64 v122, v21, v24, s[20:21]
	v_mul_f32_e32 v21, 0x3fb8aa3b, v14
	v_cndmask_b32_e64 v20, v20, v25, s[20:21]
	v_fma_f32 v24, v14, s97, -v21
	v_rndne_f32_e32 v25, v21
	v_fmac_f32_e32 v24, 0x32a5705f, v14
	v_sub_f32_e32 v21, v21, v25
	v_add_f32_e32 v21, v21, v24
	v_exp_f32_e32 v21, v21
	v_cvt_i32_f32_e32 v24, v25
	v_cmp_ngt_f32_e32 vcc, s98, v14
	buffer_store_dword v37, off, s[0:3], 0
	buffer_store_dword v37, off, s[0:3], 0 offset:4
	buffer_store_dword v37, off, s[0:3], 0 offset:8
	;; [unrolled: 1-line block ×3, first 2 shown]
	s_add_i32 s52, s52, -1
	v_ldexp_f32 v21, v21, v24
	v_cndmask_b32_e32 v21, 0, v21, vcc
	v_cmp_nlt_f32_e32 vcc, s99, v14
	v_cndmask_b32_e32 v21, v100, v21, vcc
	v_add_f32_e32 v24, v21, v20
	v_mov_b32_e32 v14, s53
	v_cndmask_b32_e64 v124, v14, v21, s[22:23]
	v_cndmask_b32_e64 v14, v20, v24, s[22:23]
	v_mul_f32_e32 v20, 0x3fb8aa3b, v15
	v_fma_f32 v21, v15, s97, -v20
	v_rndne_f32_e32 v24, v20
	v_fmac_f32_e32 v21, 0x32a5705f, v15
	v_sub_f32_e32 v20, v20, v24
	v_add_f32_e32 v20, v20, v21
	v_exp_f32_e32 v20, v20
	v_cvt_i32_f32_e32 v21, v24
	v_cmp_ngt_f32_e32 vcc, s98, v15
	s_cmp_lg_u32 s52, 0
	v_ldexp_f32 v20, v20, v21
	v_cndmask_b32_e32 v20, 0, v20, vcc
	v_cmp_nlt_f32_e32 vcc, s99, v15
	v_cndmask_b32_e32 v20, v100, v20, vcc
	v_add_f32_e32 v21, v20, v14
	v_mov_b32_e32 v15, s53
	v_cndmask_b32_e64 v125, v15, v20, s[24:25]
	v_cndmask_b32_e64 v15, v14, v21, s[24:25]
	v_sub_f32_e32 v14, v16, v46
	v_mul_f32_e32 v16, 0x3fb8aa3b, v14
	v_fma_f32 v20, v14, s97, -v16
	v_rndne_f32_e32 v21, v16
	v_fmac_f32_e32 v20, 0x32a5705f, v14
	v_sub_f32_e32 v16, v16, v21
	v_add_f32_e32 v16, v16, v20
	v_exp_f32_e32 v16, v16
	v_cvt_i32_f32_e32 v20, v21
	v_cmp_ngt_f32_e32 vcc, s98, v14
	v_ldexp_f32 v16, v16, v20
	v_cndmask_b32_e32 v16, 0, v16, vcc
	v_cmp_nlt_f32_e32 vcc, s99, v14
	v_cndmask_b32_e32 v16, v100, v16, vcc
	v_add_f32_e32 v20, v16, v15
	v_mov_b32_e32 v14, s53
	v_cndmask_b32_e64 v14, v14, v16, s[26:27]
	v_cndmask_b32_e64 v16, v15, v20, s[26:27]
	v_sub_f32_e32 v15, v17, v46
	v_mul_f32_e32 v17, 0x3fb8aa3b, v15
	v_fma_f32 v20, v15, s97, -v17
	v_rndne_f32_e32 v21, v17
	v_fmac_f32_e32 v20, 0x32a5705f, v15
	v_sub_f32_e32 v17, v17, v21
	v_add_f32_e32 v17, v17, v20
	v_exp_f32_e32 v17, v17
	v_cvt_i32_f32_e32 v20, v21
	v_cmp_ngt_f32_e32 vcc, s98, v15
	v_ldexp_f32 v17, v17, v20
	v_cndmask_b32_e32 v17, 0, v17, vcc
	v_cmp_nlt_f32_e32 vcc, s99, v15
	v_cndmask_b32_e32 v17, v100, v17, vcc
	v_mov_b32_e32 v15, s53
	v_add_f32_e32 v20, v17, v16
	v_cndmask_b32_e64 v15, v15, v17, s[28:29]
	v_mul_f32_e32 v17, 0x3fb8aa3b, v10
	v_cndmask_b32_e64 v16, v16, v20, s[28:29]
	v_fma_f32 v20, v10, s97, -v17
	v_rndne_f32_e32 v21, v17
	v_fmac_f32_e32 v20, 0x32a5705f, v10
	v_sub_f32_e32 v17, v17, v21
	v_add_f32_e32 v17, v17, v20
	v_exp_f32_e32 v17, v17
	v_cvt_i32_f32_e32 v20, v21
	v_cmp_ngt_f32_e32 vcc, s98, v10
	v_ldexp_f32 v17, v17, v20
	v_cndmask_b32_e32 v17, 0, v17, vcc
	v_cmp_nlt_f32_e32 vcc, s99, v10
	v_cndmask_b32_e32 v17, v100, v17, vcc
	v_add_f32_e32 v20, v17, v16
	v_mov_b32_e32 v10, s53
	v_cndmask_b32_e64 v105, v10, v17, s[4:5]
	v_cndmask_b32_e64 v10, v16, v20, s[4:5]
	v_mul_f32_e32 v16, 0x3fb8aa3b, v11
	v_fma_f32 v17, v11, s97, -v16
	v_rndne_f32_e32 v20, v16
	v_fmac_f32_e32 v17, 0x32a5705f, v11
	v_sub_f32_e32 v16, v16, v20
	v_add_f32_e32 v16, v16, v17
	v_exp_f32_e32 v16, v16
	v_cvt_i32_f32_e32 v17, v20
	v_cmp_ngt_f32_e32 vcc, s98, v11
	v_ldexp_f32 v16, v16, v17
	v_cndmask_b32_e32 v16, 0, v16, vcc
	v_cmp_nlt_f32_e32 vcc, s99, v11
	v_cndmask_b32_e32 v16, v100, v16, vcc
	v_add_f32_e32 v17, v16, v10
	v_mov_b32_e32 v11, s53
	v_cndmask_b32_e64 v109, v11, v16, s[30:31]
	v_cndmask_b32_e64 v11, v10, v17, s[30:31]
	v_sub_f32_e32 v10, v12, v46
	v_mul_f32_e32 v12, 0x3fb8aa3b, v10
	v_fma_f32 v16, v10, s97, -v12
	v_rndne_f32_e32 v17, v12
	v_fmac_f32_e32 v16, 0x32a5705f, v10
	v_sub_f32_e32 v12, v12, v17
	v_add_f32_e32 v12, v12, v16
	v_exp_f32_e32 v12, v12
	v_cvt_i32_f32_e32 v16, v17
	v_cmp_ngt_f32_e32 vcc, s98, v10
	v_ldexp_f32 v12, v12, v16
	v_cndmask_b32_e32 v12, 0, v12, vcc
	v_cmp_nlt_f32_e32 vcc, s99, v10
	v_cndmask_b32_e32 v12, v100, v12, vcc
	v_add_f32_e32 v16, v12, v11
	v_mov_b32_e32 v10, s53
	v_cndmask_b32_e64 v10, v10, v12, s[34:35]
	v_cndmask_b32_e64 v12, v11, v16, s[34:35]
	v_sub_f32_e32 v11, v13, v46
	v_mul_f32_e32 v13, 0x3fb8aa3b, v11
	v_fma_f32 v16, v11, s97, -v13
	v_rndne_f32_e32 v17, v13
	v_fmac_f32_e32 v16, 0x32a5705f, v11
	v_sub_f32_e32 v13, v13, v17
	v_add_f32_e32 v13, v13, v16
	v_exp_f32_e32 v13, v13
	v_cvt_i32_f32_e32 v16, v17
	v_cmp_ngt_f32_e32 vcc, s98, v11
	v_cvt_f16_f32_e32 v10, v10
	v_ldexp_f32 v13, v13, v16
	v_cndmask_b32_e32 v13, 0, v13, vcc
	v_cmp_nlt_f32_e32 vcc, s99, v11
	v_cndmask_b32_e32 v13, v100, v13, vcc
	v_add_f32_e32 v16, v13, v12
	v_mov_b32_e32 v11, s53
	v_cndmask_b32_e64 v24, v12, v16, s[36:37]
	v_sub_f32_e32 v12, v47, v46
	v_cndmask_b32_e64 v11, v11, v13, s[36:37]
	v_mul_f32_e32 v13, 0x3fb8aa3b, v12
	v_fma_f32 v16, v12, s97, -v13
	v_rndne_f32_e32 v17, v13
	v_fmac_f32_e32 v16, 0x32a5705f, v12
	v_sub_f32_e32 v13, v13, v17
	v_add_f32_e32 v13, v13, v16
	v_exp_f32_e32 v13, v13
	v_cvt_i32_f32_e32 v16, v17
	v_cmp_ngt_f32_e32 vcc, s98, v12
	v_cvt_f16_f32_e32 v11, v11
	v_ldexp_f32 v13, v13, v16
	v_cndmask_b32_e32 v13, 0, v13, vcc
	v_cmp_nlt_f32_e32 vcc, s99, v12
	v_cndmask_b32_e32 v13, v100, v13, vcc
	v_cmp_le_f32_e32 vcc, s93, v12
	v_cndmask_b32_e32 v12, 0, v13, vcc
	v_fmac_f32_e32 v24, v114, v12
	v_cvt_f16_f32_e32 v12, v12
	v_cvt_f16_f32_e32 v13, v23
	v_pk_mul_f16 v59, v12, v59 op_sel_hi:[0,1]
	v_pk_mul_f16 v53, v12, v53 op_sel_hi:[0,1]
	;; [unrolled: 1-line block ×8, first 2 shown]
	v_cvt_f16_f32_e32 v12, v22
	v_pack_b32_f16 v20, v12, v13
	v_cvt_f16_f32_e32 v12, v121
	v_cvt_f16_f32_e32 v13, v116
	v_pack_b32_f16 v21, v12, v13
	v_cvt_f16_f32_e32 v12, v18
	;; [unrolled: 3-line block ×3, first 2 shown]
	v_cvt_f16_f32_e32 v13, v122
	v_cvt_f32_f16_e32 v122, v104
	v_cvt_f32_f16_sdwa v123, v104 dst_sel:DWORD dst_unused:UNUSED_PAD src0_sel:WORD_1
	v_pack_b32_f16 v19, v12, v13
	v_cvt_f16_f32_e32 v12, v124
	v_cvt_f16_f32_e32 v13, v125
	v_cvt_f32_f16_e32 v124, v102
	v_cvt_f32_f16_sdwa v125, v102 dst_sel:DWORD dst_unused:UNUSED_PAD src0_sel:WORD_1
	v_pack_b32_f16 v16, v12, v13
	v_cvt_f16_f32_e32 v12, v14
	v_cvt_f16_f32_e32 v13, v15
	v_pack_b32_f16 v15, v10, v11
	v_add_co_u32_e32 v10, vcc, v52, v36
	v_pack_b32_f16 v17, v12, v13
	v_cvt_f16_f32_e32 v12, v105
	v_cvt_f16_f32_e32 v13, v109
	v_addc_co_u32_e32 v11, vcc, 0, v1, vcc
	v_add_co_u32_e32 v22, vcc, v54, v36
	v_pack_b32_f16 v14, v12, v13
	v_mov_b32_e32 v12, s49
	v_mov_b32_e32 v13, s48
	v_cndmask_b32_e64 v11, v12, v11, s[90:91]
	v_cndmask_b32_e64 v10, v13, v10, s[90:91]
	v_addc_co_u32_e32 v23, vcc, 0, v27, vcc
	v_cndmask_b32_e64 v23, v12, v23, s[10:11]
	v_cndmask_b32_e64 v22, v13, v22, s[10:11]
	flat_load_dwordx4 v[10:13], v[10:11]
	v_add_co_u32_e32 v52, vcc, s50, v52
	s_waitcnt vmcnt(0) lgkmcnt(0)
	ds_write_b128 v35, v[10:13]
	flat_load_dwordx4 v[10:13], v[22:23]
	s_waitcnt vmcnt(0) lgkmcnt(0)
	ds_write_b128 v0, v[10:13]
	s_waitcnt lgkmcnt(0)
	s_barrier
	ds_read_u16 v22, v111 offset:288
	ds_read_u16 v23, v117
	ds_read_u16 v55, v117 offset:32
	v_cvt_f32_f16_e32 v12, v53
	v_cvt_f32_f16_sdwa v13, v53 dst_sel:DWORD dst_unused:UNUSED_PAD src0_sel:WORD_1
	v_cvt_f32_f16_e32 v10, v59
	s_waitcnt lgkmcnt(1)
	v_perm_b32 v23, v23, v22, s33
	ds_read_u16 v22, v97
	ds_read_u16 v105, v97 offset:32
	ds_read_u16 v53, v111 offset:144
	;; [unrolled: 1-line block ×3, first 2 shown]
	v_cvt_f32_f16_sdwa v11, v59 dst_sel:DWORD dst_unused:UNUSED_PAD src0_sel:WORD_1
	s_waitcnt lgkmcnt(1)
	v_perm_b32 v22, v53, v22, s33
	s_nop 1
	v_mfma_f32_16x16x16f16 v[10:13], v[22:23], v[20:21], v[10:13]
	ds_read_u16 v22, v97 offset:2304
	ds_read_u16 v53, v111 offset:2448
	ds_read_u16 v23, v93 offset:288
	ds_read_u16 v59, v117 offset:2304
	s_waitcnt lgkmcnt(2)
	v_perm_b32 v22, v53, v22, s33
	s_waitcnt lgkmcnt(0)
	v_perm_b32 v23, v59, v23, s33
	s_nop 2
	v_cvt_f16_f32_e32 v10, v10
	v_cvt_f16_f32_e32 v11, v11
	v_cvt_f16_f32_e32 v12, v12
	v_cvt_f16_f32_e32 v13, v13
	v_cvt_f32_f16_e32 v10, v10
	v_cvt_f32_f16_e32 v11, v11
	v_cvt_f32_f16_e32 v12, v12
	v_cvt_f32_f16_e32 v13, v13
	s_nop 1
	v_mfma_f32_16x16x16f16 v[10:13], v[22:23], v[18:19], v[10:13]
	ds_read_u16 v22, v97 offset:4608
	ds_read_u16 v53, v111 offset:4752
	ds_read_u16 v23, v107 offset:288
	ds_read_u16 v59, v117 offset:4608
	s_waitcnt lgkmcnt(2)
	v_perm_b32 v22, v53, v22, s33
	s_waitcnt lgkmcnt(0)
	v_perm_b32 v23, v59, v23, s33
	s_nop 2
	v_cvt_f16_f32_e32 v10, v10
	v_cvt_f16_f32_e32 v11, v11
	v_cvt_f16_f32_e32 v12, v12
	v_cvt_f16_f32_e32 v13, v13
	v_cvt_f32_f16_e32 v10, v10
	v_cvt_f32_f16_e32 v11, v11
	v_cvt_f32_f16_e32 v12, v12
	v_cvt_f32_f16_e32 v13, v13
	;; [unrolled: 19-line block ×3, first 2 shown]
	s_nop 1
	v_mfma_f32_16x16x16f16 v[10:13], v[22:23], v[14:15], v[10:13]
	ds_read_u16 v22, v115 offset:288
	s_waitcnt lgkmcnt(0)
	v_perm_b32 v23, v55, v22, s33
	v_perm_b32 v22, v109, v105, s33
	s_nop 6
	v_cvt_f16_f32_e32 v10, v10
	v_cvt_f16_f32_e32 v11, v11
	;; [unrolled: 1-line block ×4, first 2 shown]
	v_pack_b32_f16 v59, v10, v11
	v_cvt_f32_f16_e32 v10, v57
	v_pack_b32_f16 v53, v12, v13
	v_cvt_f32_f16_sdwa v11, v57 dst_sel:DWORD dst_unused:UNUSED_PAD src0_sel:WORD_1
	v_cvt_f32_f16_e32 v12, v47
	v_cvt_f32_f16_sdwa v13, v47 dst_sel:DWORD dst_unused:UNUSED_PAD src0_sel:WORD_1
	s_nop 1
	v_mfma_f32_16x16x16f16 v[10:13], v[22:23], v[20:21], v[10:13]
	ds_read_u16 v22, v97 offset:2336
	ds_read_u16 v47, v111 offset:2480
	ds_read_u16 v23, v103 offset:288
	ds_read_u16 v55, v117 offset:2336
	s_waitcnt lgkmcnt(2)
	v_perm_b32 v22, v47, v22, s33
	s_waitcnt lgkmcnt(0)
	v_perm_b32 v23, v55, v23, s33
	s_nop 2
	v_cvt_f16_f32_e32 v10, v10
	v_cvt_f16_f32_e32 v11, v11
	v_cvt_f16_f32_e32 v12, v12
	v_cvt_f16_f32_e32 v13, v13
	v_cvt_f32_f16_e32 v10, v10
	v_cvt_f32_f16_e32 v11, v11
	v_cvt_f32_f16_e32 v12, v12
	v_cvt_f32_f16_e32 v13, v13
	s_nop 1
	v_mfma_f32_16x16x16f16 v[10:13], v[22:23], v[18:19], v[10:13]
	ds_read_u16 v22, v97 offset:4640
	ds_read_u16 v47, v111 offset:4784
	ds_read_u16 v23, v34 offset:288
	ds_read_u16 v55, v117 offset:4640
	s_waitcnt lgkmcnt(2)
	v_perm_b32 v22, v47, v22, s33
	s_waitcnt lgkmcnt(0)
	v_perm_b32 v23, v55, v23, s33
	s_nop 2
	v_cvt_f16_f32_e32 v10, v10
	v_cvt_f16_f32_e32 v11, v11
	v_cvt_f16_f32_e32 v12, v12
	v_cvt_f16_f32_e32 v13, v13
	v_cvt_f32_f16_e32 v10, v10
	v_cvt_f32_f16_e32 v11, v11
	v_cvt_f32_f16_e32 v12, v12
	v_cvt_f32_f16_e32 v13, v13
	;; [unrolled: 19-line block ×3, first 2 shown]
	s_nop 1
	v_mfma_f32_16x16x16f16 v[10:13], v[22:23], v[14:15], v[10:13]
	s_nop 7
	s_nop 2
	v_cvt_f16_f32_e32 v10, v10
	v_cvt_f16_f32_e32 v11, v11
	;; [unrolled: 1-line block ×4, first 2 shown]
	v_pack_b32_f16 v57, v10, v11
	v_pack_b32_f16 v55, v12, v13
	ds_read_u16 v10, v97 offset:64
	ds_read_u16 v11, v111 offset:208
	;; [unrolled: 1-line block ×8, first 2 shown]
	s_waitcnt lgkmcnt(2)
	v_perm_b32 v22, v47, v22, s33
	v_perm_b32 v13, v13, v12, s33
	;; [unrolled: 1-line block ×3, first 2 shown]
	s_waitcnt lgkmcnt(0)
	v_perm_b32 v23, v102, v23, s33
	v_mfma_f32_16x16x16f16 v[10:13], v[12:13], v[20:21], v[122:125]
	s_nop 7
	s_nop 2
	v_cvt_f16_f32_e32 v10, v10
	v_cvt_f16_f32_e32 v11, v11
	v_cvt_f16_f32_e32 v12, v12
	v_cvt_f16_f32_e32 v13, v13
	v_cvt_f32_f16_e32 v10, v10
	v_cvt_f32_f16_e32 v11, v11
	v_cvt_f32_f16_e32 v12, v12
	v_cvt_f32_f16_e32 v13, v13
	s_nop 1
	v_mfma_f32_16x16x16f16 v[10:13], v[22:23], v[18:19], v[10:13]
	ds_read_u16 v22, v97 offset:4672
	ds_read_u16 v47, v111 offset:4816
	ds_read_u16 v23, v92 offset:288
	ds_read_u16 v102, v117 offset:4672
	s_waitcnt lgkmcnt(2)
	v_perm_b32 v22, v47, v22, s33
	s_waitcnt lgkmcnt(0)
	v_perm_b32 v23, v102, v23, s33
	s_nop 2
	v_cvt_f16_f32_e32 v10, v10
	v_cvt_f16_f32_e32 v11, v11
	v_cvt_f16_f32_e32 v12, v12
	v_cvt_f16_f32_e32 v13, v13
	v_cvt_f32_f16_e32 v10, v10
	v_cvt_f32_f16_e32 v11, v11
	v_cvt_f32_f16_e32 v12, v12
	v_cvt_f32_f16_e32 v13, v13
	s_nop 1
	v_mfma_f32_16x16x16f16 v[10:13], v[22:23], v[16:17], v[10:13]
	ds_read_u16 v22, v97 offset:6976
	ds_read_u16 v47, v111 offset:7120
	ds_read_u16 v23, v28 offset:288
	ds_read_u16 v102, v117 offset:6976
	s_waitcnt lgkmcnt(2)
	v_perm_b32 v22, v47, v22, s33
	s_waitcnt lgkmcnt(0)
	v_perm_b32 v23, v102, v23, s33
	;; [unrolled: 19-line block ×3, first 2 shown]
	s_nop 2
	v_cvt_f16_f32_e32 v10, v10
	v_cvt_f16_f32_e32 v11, v11
	;; [unrolled: 1-line block ×4, first 2 shown]
	v_pack_b32_f16 v104, v10, v11
	v_cvt_f32_f16_e32 v10, v112
	v_pack_b32_f16 v102, v12, v13
	v_cvt_f32_f16_sdwa v11, v112 dst_sel:DWORD dst_unused:UNUSED_PAD src0_sel:WORD_1
	v_cvt_f32_f16_e32 v12, v25
	v_cvt_f32_f16_sdwa v13, v25 dst_sel:DWORD dst_unused:UNUSED_PAD src0_sel:WORD_1
	s_nop 1
	v_mfma_f32_16x16x16f16 v[10:13], v[22:23], v[20:21], v[10:13]
	ds_read_u16 v20, v97 offset:2400
	ds_read_u16 v22, v111 offset:2544
	;; [unrolled: 1-line block ×4, first 2 shown]
	s_waitcnt lgkmcnt(2)
	v_perm_b32 v20, v22, v20, s33
	s_waitcnt lgkmcnt(0)
	v_perm_b32 v21, v23, v21, s33
	s_nop 2
	v_cvt_f16_f32_e32 v10, v10
	v_cvt_f16_f32_e32 v11, v11
	v_cvt_f16_f32_e32 v12, v12
	v_cvt_f16_f32_e32 v13, v13
	v_cvt_f32_f16_e32 v10, v10
	v_cvt_f32_f16_e32 v11, v11
	;; [unrolled: 1-line block ×4, first 2 shown]
	s_nop 1
	v_mfma_f32_16x16x16f16 v[10:13], v[20:21], v[18:19], v[10:13]
	ds_read_u16 v18, v97 offset:4704
	ds_read_u16 v20, v111 offset:4848
	ds_read_u16 v19, v32 offset:288
	ds_read_u16 v21, v117 offset:4704
	s_waitcnt lgkmcnt(2)
	v_perm_b32 v18, v20, v18, s33
	s_waitcnt lgkmcnt(0)
	v_perm_b32 v19, v21, v19, s33
	s_nop 2
	v_cvt_f16_f32_e32 v10, v10
	v_cvt_f16_f32_e32 v11, v11
	;; [unrolled: 1-line block ×4, first 2 shown]
	v_cvt_f32_f16_e32 v10, v10
	v_cvt_f32_f16_e32 v11, v11
	;; [unrolled: 1-line block ×4, first 2 shown]
	s_nop 1
	v_mfma_f32_16x16x16f16 v[16:19], v[18:19], v[16:17], v[10:13]
	s_nop 7
	s_nop 2
	v_cvt_f16_f32_e32 v11, v16
	v_cvt_f16_f32_e32 v12, v17
	;; [unrolled: 1-line block ×4, first 2 shown]
	ds_read_u16 v10, v97 offset:7008
	ds_read_u16 v17, v111 offset:7152
	;; [unrolled: 1-line block ×4, first 2 shown]
	v_cvt_f32_f16_e32 v20, v11
	v_cvt_f32_f16_e32 v21, v12
	s_waitcnt lgkmcnt(2)
	v_perm_b32 v10, v17, v10, s33
	v_cvt_f32_f16_e32 v22, v13
	s_waitcnt lgkmcnt(0)
	v_perm_b32 v11, v19, v18, s33
	v_cvt_f32_f16_e32 v23, v16
	s_barrier
	s_nop 0
	v_mfma_f32_16x16x16f16 v[10:13], v[10:11], v[14:15], v[20:23]
	s_nop 7
	s_nop 2
	v_cvt_f16_f32_e32 v10, v10
	v_cvt_f16_f32_e32 v11, v11
	;; [unrolled: 1-line block ×4, first 2 shown]
	v_pack_b32_f16 v112, v10, v11
	v_mov_b32_e32 v10, s51
	v_addc_co_u32_e32 v1, vcc, v1, v10, vcc
	v_add_co_u32_e32 v54, vcc, s50, v54
	v_addc_co_u32_e32 v27, vcc, v27, v10, vcc
	v_add_co_u32_e32 v56, vcc, s54, v56
	v_mov_b32_e32 v10, s55
	v_addc_co_u32_e32 v29, vcc, v29, v10, vcc
	v_add_co_u32_e32 v58, vcc, s54, v58
	v_addc_co_u32_e32 v31, vcc, v31, v10, vcc
	v_add_co_u32_e32 v60, vcc, s39, v60
	;; [unrolled: 2-line block ×17, first 2 shown]
	v_pack_b32_f16 v110, v12, v13
	v_addc_co_u32_e32 v91, vcc, 0, v91, vcc
	s_cbranch_scc0 .LBB0_194
; %bb.192:                              ;   in Loop: Header=BB0_189 Depth=2
	v_mov_b32_e32 v114, v24
	v_mov_b32_e32 v47, v46
	v_cndmask_b32_e64 v10, 0, 1, s[56:57]
	v_cmp_ne_u32_e64 s[58:59], 1, v10
	s_andn2_b64 vcc, exec, s[56:57]
	s_cbranch_vccz .LBB0_180
	s_branch .LBB0_189
.LBB0_193:                              ;   in Loop: Header=BB0_15 Depth=1
	v_mov_b32_e32 v24, 0
	v_mov_b32_e32 v46, 0xfeffffff
	;; [unrolled: 1-line block ×9, first 2 shown]
	s_branch .LBB0_195
.LBB0_194:                              ;   in Loop: Header=BB0_15 Depth=1
	buffer_load_dword v58, off, s[0:3], 0 offset:152 ; 4-byte Folded Reload
	buffer_load_dword v65, off, s[0:3], 0 offset:156 ; 4-byte Folded Reload
	;; [unrolled: 1-line block ×33, first 2 shown]
	v_mbcnt_lo_u32_b32 v64, -1, 0
	s_waitcnt vmcnt(32)
	v_bfe_u32 v105, v58, 10, 10
.LBB0_195:                              ;   in Loop: Header=BB0_15 Depth=1
	s_lshl_b32 s52, s9, 6
	v_readlane_b32 s56, v126, 4
	v_cmp_eq_u64_e32 vcc, 0, v[48:49]
	s_sub_i32 s9, s56, s52
	v_cmp_ne_u64_e64 s[60:61], 0, v[48:49]
	v_readlane_b32 s57, v126, 5
	s_cbranch_vccnz .LBB0_213
; %bb.196:                              ;   in Loop: Header=BB0_15 Depth=1
	s_waitcnt vmcnt(30)
	v_cmp_le_i32_e32 vcc, s9, v66
                                        ; implicit-def: $sgpr63
	s_and_saveexec_b64 s[56:57], vcc
	s_xor_b64 s[56:57], exec, s[56:57]
	s_cbranch_execz .LBB0_198
; %bb.197:                              ;   in Loop: Header=BB0_15 Depth=1
	v_add_u32_e32 v1, 0x240, v96
	ds_write_b16 v96, v37 offset:9216
	ds_write_b16 v1, v37 offset:9216
	s_mov_b32 s63, 0
.LBB0_198:                              ;   in Loop: Header=BB0_15 Depth=1
	s_or_saveexec_b64 s[58:59], s[56:57]
	s_lshl_b64 s[56:57], s[52:53], 1
	v_mov_b32_e32 v1, s57
	v_add_co_u32_e64 v10, s[56:57], s56, v48
	v_addc_co_u32_e64 v11, s[56:57], v49, v1, s[56:57]
	v_lshlrev_b32_e32 v1, 1, v66
	v_add_co_u32_e64 v1, s[56:57], v10, v1
	v_addc_co_u32_e64 v10, s[56:57], 0, v11, s[56:57]
	v_mov_b32_e32 v11, s63
	v_mov_b32_e32 v12, s63
	s_xor_b64 exec, exec, s[58:59]
	s_cbranch_execz .LBB0_200
; %bb.199:                              ;   in Loop: Header=BB0_15 Depth=1
	v_add_u32_e32 v11, s62, v105
	v_readlane_b32 s64, v126, 13
	v_mul_hi_u32 v12, s64, v11
	v_readlane_b32 s65, v126, 14
	v_add_u32_e32 v12, v11, v12
	v_lshrrev_b32_e32 v12, s65, v12
	v_mul_lo_u32 v12, v12, s96
	v_sub_u32_e32 v11, v11, v12
	v_mad_i64_i32 v[12:13], s[56:57], v11, s88, 0
	v_lshlrev_b64 v[12:13], 1, v[12:13]
	v_add_co_u32_e64 v12, s[56:57], v1, v12
	v_addc_co_u32_e64 v13, s[56:57], v10, v13, s[56:57]
	flat_load_ushort v11, v[12:13]
	s_nop 0
	buffer_load_dword v12, off, s[0:3], 0 offset:68 ; 4-byte Folded Reload
	s_waitcnt vmcnt(0)
	v_add_u32_e32 v12, s62, v12
	v_mul_hi_u32 v13, s64, v12
	v_add_u32_e32 v13, v12, v13
	v_lshrrev_b32_e32 v13, s65, v13
	v_mul_lo_u32 v13, v13, s96
	v_sub_u32_e32 v12, v12, v13
	v_mad_i64_i32 v[12:13], s[56:57], v12, s88, 0
	v_lshlrev_b64 v[12:13], 1, v[12:13]
	v_add_co_u32_e64 v12, s[56:57], v1, v12
	v_addc_co_u32_e64 v13, s[56:57], v10, v13, s[56:57]
	flat_load_ushort v12, v[12:13]
	s_waitcnt lgkmcnt(0)
	ds_write_b16 v96, v11 offset:9216
	v_add_u32_e32 v11, 0x240, v96
	s_waitcnt vmcnt(0)
	ds_write_b16 v11, v12 offset:9216
	buffer_load_dword v11, off, s[0:3], 0 offset:72 ; 4-byte Folded Reload
	s_waitcnt vmcnt(0)
	v_add_u32_e32 v11, s62, v11
	v_mul_hi_u32 v12, s64, v11
	v_add_u32_e32 v12, v11, v12
	v_lshrrev_b32_e32 v12, s65, v12
	v_mul_lo_u32 v12, v12, s96
	v_sub_u32_e32 v11, v11, v12
	v_mad_i64_i32 v[12:13], s[56:57], v11, s88, 0
	v_lshlrev_b64 v[12:13], 1, v[12:13]
	v_add_co_u32_e64 v12, s[56:57], v1, v12
	v_addc_co_u32_e64 v13, s[56:57], v10, v13, s[56:57]
	flat_load_ushort v11, v[12:13]
	s_nop 0
	buffer_load_dword v12, off, s[0:3], 0 offset:76 ; 4-byte Folded Reload
	s_waitcnt vmcnt(0)
	v_add_u32_e32 v12, s62, v12
	v_mul_hi_u32 v13, s64, v12
	v_add_u32_e32 v13, v12, v13
	v_lshrrev_b32_e32 v13, s65, v13
	v_mul_lo_u32 v13, v13, s96
	v_sub_u32_e32 v12, v12, v13
	v_mad_i64_i32 v[12:13], s[56:57], v12, s88, 0
	v_lshlrev_b64 v[12:13], 1, v[12:13]
	v_add_co_u32_e64 v12, s[56:57], v1, v12
	v_addc_co_u32_e64 v13, s[56:57], v10, v13, s[56:57]
	flat_load_ushort v12, v[12:13]
.LBB0_200:                              ;   in Loop: Header=BB0_15 Depth=1
	s_or_b64 exec, exec, s[58:59]
	v_add_u32_e32 v13, 0x480, v96
	s_waitcnt lgkmcnt(0)
	ds_write_b16 v13, v11 offset:9216
	v_add_u32_e32 v11, 0x6c0, v96
	s_waitcnt vmcnt(0)
	ds_write_b16 v11, v12 offset:9216
                                        ; implicit-def: $sgpr63
	s_and_saveexec_b64 s[56:57], vcc
	s_xor_b64 s[56:57], exec, s[56:57]
	s_cbranch_execz .LBB0_202
; %bb.201:                              ;   in Loop: Header=BB0_15 Depth=1
	v_add_u32_e32 v11, 0x900, v96
	ds_write_b16 v11, v37 offset:9216
	v_add_u32_e32 v11, 0xb40, v96
	ds_write_b16 v11, v37 offset:9216
	s_mov_b32 s63, 0
.LBB0_202:                              ;   in Loop: Header=BB0_15 Depth=1
	s_or_saveexec_b64 s[58:59], s[56:57]
	v_mov_b32_e32 v11, s63
	v_mov_b32_e32 v12, s63
	s_xor_b64 exec, exec, s[58:59]
	s_cbranch_execz .LBB0_204
; %bb.203:                              ;   in Loop: Header=BB0_15 Depth=1
	buffer_load_dword v11, off, s[0:3], 0 offset:80 ; 4-byte Folded Reload
	v_readlane_b32 s64, v126, 13
	v_readlane_b32 s65, v126, 14
	s_waitcnt vmcnt(0)
	v_add_u32_e32 v11, s62, v11
	v_mul_hi_u32 v12, s64, v11
	v_add_u32_e32 v12, v11, v12
	v_lshrrev_b32_e32 v12, s65, v12
	v_mul_lo_u32 v12, v12, s96
	v_sub_u32_e32 v11, v11, v12
	v_mad_i64_i32 v[12:13], s[56:57], v11, s88, 0
	v_lshlrev_b64 v[12:13], 1, v[12:13]
	v_add_co_u32_e64 v12, s[56:57], v1, v12
	v_addc_co_u32_e64 v13, s[56:57], v10, v13, s[56:57]
	flat_load_ushort v11, v[12:13]
	s_nop 0
	buffer_load_dword v12, off, s[0:3], 0 offset:84 ; 4-byte Folded Reload
	s_waitcnt vmcnt(0)
	v_add_u32_e32 v12, s62, v12
	v_mul_hi_u32 v13, s64, v12
	v_add_u32_e32 v13, v12, v13
	v_lshrrev_b32_e32 v13, s65, v13
	v_mul_lo_u32 v13, v13, s96
	v_sub_u32_e32 v12, v12, v13
	v_mad_i64_i32 v[12:13], s[56:57], v12, s88, 0
	v_lshlrev_b64 v[12:13], 1, v[12:13]
	v_add_co_u32_e64 v12, s[56:57], v1, v12
	v_addc_co_u32_e64 v13, s[56:57], v10, v13, s[56:57]
	flat_load_ushort v12, v[12:13]
	v_add_u32_e32 v13, 0x900, v96
	s_waitcnt lgkmcnt(0)
	ds_write_b16 v13, v11 offset:9216
	v_add_u32_e32 v11, 0xb40, v96
	s_waitcnt vmcnt(0)
	ds_write_b16 v11, v12 offset:9216
	buffer_load_dword v11, off, s[0:3], 0 offset:88 ; 4-byte Folded Reload
	s_waitcnt vmcnt(0)
	v_add_u32_e32 v11, s62, v11
	v_mul_hi_u32 v12, s64, v11
	v_add_u32_e32 v12, v11, v12
	v_lshrrev_b32_e32 v12, s65, v12
	v_mul_lo_u32 v12, v12, s96
	v_sub_u32_e32 v11, v11, v12
	v_mad_i64_i32 v[12:13], s[56:57], v11, s88, 0
	v_lshlrev_b64 v[12:13], 1, v[12:13]
	v_add_co_u32_e64 v12, s[56:57], v1, v12
	v_addc_co_u32_e64 v13, s[56:57], v10, v13, s[56:57]
	flat_load_ushort v11, v[12:13]
	s_nop 0
	buffer_load_dword v12, off, s[0:3], 0 offset:92 ; 4-byte Folded Reload
	s_waitcnt vmcnt(0)
	v_add_u32_e32 v12, s62, v12
	v_mul_hi_u32 v13, s64, v12
	v_add_u32_e32 v13, v12, v13
	v_lshrrev_b32_e32 v13, s65, v13
	v_mul_lo_u32 v13, v13, s96
	v_sub_u32_e32 v12, v12, v13
	v_mad_i64_i32 v[12:13], s[56:57], v12, s88, 0
	v_lshlrev_b64 v[12:13], 1, v[12:13]
	v_add_co_u32_e64 v12, s[56:57], v1, v12
	v_addc_co_u32_e64 v13, s[56:57], v10, v13, s[56:57]
	flat_load_ushort v12, v[12:13]
.LBB0_204:                              ;   in Loop: Header=BB0_15 Depth=1
	s_or_b64 exec, exec, s[58:59]
	v_add_u32_e32 v13, 0xd80, v96
	s_waitcnt lgkmcnt(0)
	ds_write_b16 v13, v11 offset:9216
	v_add_u32_e32 v11, 0xfc0, v96
	s_waitcnt vmcnt(0)
	ds_write_b16 v11, v12 offset:9216
                                        ; implicit-def: $sgpr63
	s_and_saveexec_b64 s[56:57], vcc
	s_xor_b64 s[56:57], exec, s[56:57]
	s_cbranch_execz .LBB0_206
; %bb.205:                              ;   in Loop: Header=BB0_15 Depth=1
	v_add_u32_e32 v11, 0x1200, v96
	ds_write_b16 v11, v37 offset:9216
	v_add_u32_e32 v11, 0x1440, v96
	ds_write_b16 v11, v37 offset:9216
	s_mov_b32 s63, 0
.LBB0_206:                              ;   in Loop: Header=BB0_15 Depth=1
	s_or_saveexec_b64 s[58:59], s[56:57]
	v_mov_b32_e32 v11, s63
	v_mov_b32_e32 v12, s63
	s_xor_b64 exec, exec, s[58:59]
	s_cbranch_execz .LBB0_208
; %bb.207:                              ;   in Loop: Header=BB0_15 Depth=1
	buffer_load_dword v11, off, s[0:3], 0 offset:96 ; 4-byte Folded Reload
	v_readlane_b32 s64, v126, 13
	v_readlane_b32 s65, v126, 14
	s_waitcnt vmcnt(0)
	v_add_u32_e32 v11, s62, v11
	v_mul_hi_u32 v12, s64, v11
	v_add_u32_e32 v12, v11, v12
	v_lshrrev_b32_e32 v12, s65, v12
	v_mul_lo_u32 v12, v12, s96
	v_sub_u32_e32 v11, v11, v12
	v_mad_i64_i32 v[12:13], s[56:57], v11, s88, 0
	v_lshlrev_b64 v[12:13], 1, v[12:13]
	v_add_co_u32_e64 v12, s[56:57], v1, v12
	v_addc_co_u32_e64 v13, s[56:57], v10, v13, s[56:57]
	flat_load_ushort v11, v[12:13]
	s_nop 0
	buffer_load_dword v12, off, s[0:3], 0 offset:100 ; 4-byte Folded Reload
	s_waitcnt vmcnt(0)
	v_add_u32_e32 v12, s62, v12
	v_mul_hi_u32 v13, s64, v12
	v_add_u32_e32 v13, v12, v13
	v_lshrrev_b32_e32 v13, s65, v13
	v_mul_lo_u32 v13, v13, s96
	v_sub_u32_e32 v12, v12, v13
	v_mad_i64_i32 v[12:13], s[56:57], v12, s88, 0
	v_lshlrev_b64 v[12:13], 1, v[12:13]
	v_add_co_u32_e64 v12, s[56:57], v1, v12
	v_addc_co_u32_e64 v13, s[56:57], v10, v13, s[56:57]
	flat_load_ushort v12, v[12:13]
	v_add_u32_e32 v13, 0x1200, v96
	s_waitcnt lgkmcnt(0)
	ds_write_b16 v13, v11 offset:9216
	v_add_u32_e32 v11, 0x1440, v96
	s_waitcnt vmcnt(0)
	ds_write_b16 v11, v12 offset:9216
	buffer_load_dword v11, off, s[0:3], 0 offset:104 ; 4-byte Folded Reload
	s_waitcnt vmcnt(0)
	v_add_u32_e32 v11, s62, v11
	v_mul_hi_u32 v12, s64, v11
	v_add_u32_e32 v12, v11, v12
	v_lshrrev_b32_e32 v12, s65, v12
	v_mul_lo_u32 v12, v12, s96
	v_sub_u32_e32 v11, v11, v12
	v_mad_i64_i32 v[12:13], s[56:57], v11, s88, 0
	v_lshlrev_b64 v[12:13], 1, v[12:13]
	v_add_co_u32_e64 v12, s[56:57], v1, v12
	v_addc_co_u32_e64 v13, s[56:57], v10, v13, s[56:57]
	flat_load_ushort v11, v[12:13]
	s_nop 0
	buffer_load_dword v12, off, s[0:3], 0 offset:108 ; 4-byte Folded Reload
	s_waitcnt vmcnt(0)
	v_add_u32_e32 v12, s62, v12
	v_mul_hi_u32 v13, s64, v12
	v_add_u32_e32 v13, v12, v13
	v_lshrrev_b32_e32 v13, s65, v13
	v_mul_lo_u32 v13, v13, s96
	v_sub_u32_e32 v12, v12, v13
	v_mad_i64_i32 v[12:13], s[56:57], v12, s88, 0
	v_lshlrev_b64 v[12:13], 1, v[12:13]
	v_add_co_u32_e64 v12, s[56:57], v1, v12
	v_addc_co_u32_e64 v13, s[56:57], v10, v13, s[56:57]
	flat_load_ushort v12, v[12:13]
.LBB0_208:                              ;   in Loop: Header=BB0_15 Depth=1
	s_or_b64 exec, exec, s[58:59]
	v_add_u32_e32 v13, 0x1680, v96
	s_waitcnt lgkmcnt(0)
	ds_write_b16 v13, v11 offset:9216
	v_add_u32_e32 v11, 0x18c0, v96
	s_waitcnt vmcnt(0)
	ds_write_b16 v11, v12 offset:9216
                                        ; implicit-def: $sgpr58
	s_and_saveexec_b64 s[56:57], vcc
	s_xor_b64 s[56:57], exec, s[56:57]
	s_cbranch_execz .LBB0_210
; %bb.209:                              ;   in Loop: Header=BB0_15 Depth=1
	v_add_u32_e32 v1, 0x1b00, v96
	ds_write_b16 v1, v37 offset:9216
	v_add_u32_e32 v1, 0x1d40, v96
	ds_write_b16 v1, v37 offset:9216
	s_mov_b32 s58, 0
                                        ; implicit-def: $vgpr1
                                        ; implicit-def: $vgpr10
.LBB0_210:                              ;   in Loop: Header=BB0_15 Depth=1
	s_or_saveexec_b64 s[56:57], s[56:57]
	v_mov_b32_e32 v11, s58
	v_mov_b32_e32 v12, s58
	s_xor_b64 exec, exec, s[56:57]
	s_cbranch_execz .LBB0_212
; %bb.211:                              ;   in Loop: Header=BB0_15 Depth=1
	buffer_load_dword v11, off, s[0:3], 0 offset:112 ; 4-byte Folded Reload
	v_readlane_b32 s64, v126, 13
	v_readlane_b32 s65, v126, 14
	s_waitcnt vmcnt(0)
	v_add_u32_e32 v11, s62, v11
	v_mul_hi_u32 v12, s64, v11
	v_add_u32_e32 v12, v11, v12
	v_lshrrev_b32_e32 v12, s65, v12
	v_mul_lo_u32 v12, v12, s96
	v_sub_u32_e32 v11, v11, v12
	v_mad_i64_i32 v[12:13], s[58:59], v11, s88, 0
	v_lshlrev_b64 v[12:13], 1, v[12:13]
	v_add_co_u32_e32 v12, vcc, v1, v12
	v_addc_co_u32_e32 v13, vcc, v10, v13, vcc
	flat_load_ushort v11, v[12:13]
	s_nop 0
	buffer_load_dword v12, off, s[0:3], 0 offset:116 ; 4-byte Folded Reload
	s_waitcnt vmcnt(0)
	v_add_u32_e32 v12, s62, v12
	v_mul_hi_u32 v13, s64, v12
	v_add_u32_e32 v13, v12, v13
	v_lshrrev_b32_e32 v13, s65, v13
	v_mul_lo_u32 v13, v13, s96
	v_sub_u32_e32 v12, v12, v13
	v_mad_i64_i32 v[12:13], s[58:59], v12, s88, 0
	v_lshlrev_b64 v[12:13], 1, v[12:13]
	v_add_co_u32_e32 v12, vcc, v1, v12
	v_addc_co_u32_e32 v13, vcc, v10, v13, vcc
	flat_load_ushort v12, v[12:13]
	v_add_u32_e32 v13, 0x1b00, v96
	s_waitcnt lgkmcnt(0)
	ds_write_b16 v13, v11 offset:9216
	v_add_u32_e32 v11, 0x1d40, v96
	s_waitcnt vmcnt(0)
	ds_write_b16 v11, v12 offset:9216
	buffer_load_dword v11, off, s[0:3], 0 offset:120 ; 4-byte Folded Reload
	s_waitcnt vmcnt(0)
	v_add_u32_e32 v11, s62, v11
	v_mul_hi_u32 v12, s64, v11
	v_add_u32_e32 v12, v11, v12
	v_lshrrev_b32_e32 v12, s65, v12
	v_mul_lo_u32 v12, v12, s96
	v_sub_u32_e32 v11, v11, v12
	v_mad_i64_i32 v[12:13], s[58:59], v11, s88, 0
	v_lshlrev_b64 v[12:13], 1, v[12:13]
	v_add_co_u32_e32 v12, vcc, v1, v12
	v_addc_co_u32_e32 v13, vcc, v10, v13, vcc
	flat_load_ushort v11, v[12:13]
	s_nop 0
	buffer_load_dword v12, off, s[0:3], 0 offset:124 ; 4-byte Folded Reload
	s_waitcnt vmcnt(0)
	v_add_u32_e32 v12, s62, v12
	v_mul_hi_u32 v13, s64, v12
	v_add_u32_e32 v13, v12, v13
	v_lshrrev_b32_e32 v13, s65, v13
	v_mul_lo_u32 v13, v13, s96
	v_sub_u32_e32 v12, v12, v13
	v_mad_i64_i32 v[12:13], s[58:59], v12, s88, 0
	v_lshlrev_b64 v[12:13], 1, v[12:13]
	v_add_co_u32_e32 v12, vcc, v1, v12
	v_addc_co_u32_e32 v13, vcc, v10, v13, vcc
	flat_load_ushort v12, v[12:13]
.LBB0_212:                              ;   in Loop: Header=BB0_15 Depth=1
	s_or_b64 exec, exec, s[56:57]
	v_add_u32_e32 v1, 0x1f80, v96
	s_waitcnt lgkmcnt(0)
	ds_write_b16 v1, v11 offset:9216
	v_add_u32_e32 v1, 0x21c0, v96
	s_waitcnt vmcnt(0)
	ds_write_b16 v1, v12 offset:9216
.LBB0_213:                              ;   in Loop: Header=BB0_15 Depth=1
	s_mul_i32 s56, s52, s95
	s_mul_hi_u32 s57, s52, s94
	s_add_i32 s57, s57, s56
	s_mul_i32 s56, s52, s94
	s_lshl_b64 s[56:57], s[56:57], 2
	s_add_u32 s38, s38, s56
	s_addc_u32 s8, s8, s57
	v_add_co_u32_e32 v1, vcc, s38, v42
	v_mov_b32_e32 v10, s8
	v_addc_co_u32_e32 v10, vcc, v10, v43, vcc
	v_lshlrev_b32_e32 v22, 2, v118
	v_add_co_u32_e32 v1, vcc, v1, v22
	s_waitcnt vmcnt(24)
	v_cmp_gt_i32_e64 s[56:57], s9, v70
	v_addc_co_u32_e32 v10, vcc, 0, v10, vcc
	v_mov_b32_e32 v14, s49
	v_mov_b32_e32 v15, s48
	buffer_store_dword v37, off, s[0:3], 0
	buffer_store_dword v37, off, s[0:3], 0 offset:4
	buffer_store_dword v37, off, s[0:3], 0 offset:8
	;; [unrolled: 1-line block ×3, first 2 shown]
	v_cndmask_b32_e64 v11, v14, v10, s[56:57]
	v_cndmask_b32_e64 v10, v15, v1, s[56:57]
	flat_load_dwordx4 v[10:13], v[10:11]
	v_add_co_u32_e32 v1, vcc, s38, v44
	s_waitcnt vmcnt(0)
	v_cmp_gt_i32_e64 s[58:59], s9, v71
	s_mov_b32 s38, s89
	s_waitcnt lgkmcnt(0)
	ds_write_b128 v35, v[10:13]
	v_mov_b32_e32 v10, s8
	v_addc_co_u32_e32 v10, vcc, v10, v45, vcc
	v_add_co_u32_e32 v1, vcc, v1, v22
	v_addc_co_u32_e32 v10, vcc, 0, v10, vcc
	v_cndmask_b32_e64 v11, v14, v10, s[58:59]
	v_cndmask_b32_e64 v10, v15, v1, s[58:59]
	flat_load_dwordx4 v[10:13], v[10:11]
	v_add_u32_e32 v1, 0x800, v99
	s_andn2_b64 vcc, exec, s[60:61]
	s_waitcnt vmcnt(0) lgkmcnt(0)
	ds_write_b128 v0, v[10:13]
	s_waitcnt lgkmcnt(0)
	s_barrier
	ds_read2_b64 v[10:13], v99 offset1:4
	s_waitcnt lgkmcnt(0)
	v_mfma_f32_16x16x16f16 v[14:17], v[10:11], v[6:7], 0
	v_mfma_f32_16x16x16f16 v[10:13], v[12:13], v[8:9], v[14:17]
	s_nop 7
	s_nop 1
	ds_read2_b64 v[14:17], v99 offset0:8 offset1:12
	s_waitcnt lgkmcnt(0)
	v_mfma_f32_16x16x16f16 v[10:13], v[14:15], v[2:3], v[10:13]
	v_mfma_f32_16x16x16f16 v[18:21], v[16:17], v[4:5], v[10:13]
	s_nop 7
	s_nop 1
	ds_read2_b64 v[10:13], v1 offset0:32 offset1:36
	;; [unrolled: 6-line block ×3, first 2 shown]
	s_waitcnt lgkmcnt(0)
	v_mfma_f32_16x16x16f16 v[10:13], v[14:15], v[2:3], v[10:13]
	v_add_u32_e32 v1, 0x1000, v99
	v_mfma_f32_16x16x16f16 v[14:17], v[16:17], v[4:5], v[10:13]
	s_nop 7
	s_nop 0
	ds_read2_b64 v[10:13], v1 offset0:64 offset1:68
	s_waitcnt lgkmcnt(0)
	v_mfma_f32_16x16x16f16 v[48:51], v[10:11], v[6:7], 0
	v_mfma_f32_16x16x16f16 v[10:13], v[12:13], v[8:9], v[48:51]
	s_nop 7
	s_nop 1
	ds_read2_b64 v[48:51], v1 offset0:72 offset1:76
	s_waitcnt lgkmcnt(0)
	v_mfma_f32_16x16x16f16 v[10:13], v[48:49], v[2:3], v[10:13]
	v_add_u32_e32 v1, 0x1800, v99
	v_mfma_f32_16x16x16f16 v[10:13], v[50:51], v[4:5], v[10:13]
	ds_read2_b64 v[48:51], v1 offset0:96 offset1:100
	s_waitcnt lgkmcnt(0)
	v_mfma_f32_16x16x16f16 v[60:63], v[48:49], v[6:7], 0
	v_mfma_f32_16x16x16f16 v[6:9], v[50:51], v[8:9], v[60:63]
	ds_read2_b64 v[48:51], v1 offset0:104 offset1:108
	s_waitcnt lgkmcnt(0)
	s_barrier
	v_mfma_f32_16x16x16f16 v[6:9], v[48:49], v[2:3], v[6:9]
	v_mfma_f32_16x16x16f16 v[2:5], v[50:51], v[4:5], v[6:9]
	s_cbranch_vccnz .LBB0_215
; %bb.214:                              ;   in Loop: Header=BB0_15 Depth=1
	buffer_load_dword v1, off, s[0:3], 0 offset:16 ; 4-byte Folded Reload
	s_waitcnt vmcnt(0)
	ds_read_b32 v1, v1 offset:9216
	s_waitcnt lgkmcnt(0)
	s_nop 4
	v_cvt_f32_f16_sdwa v7, v1 dst_sel:DWORD dst_unused:UNUSED_PAD src0_sel:WORD_1
	v_cvt_f32_f16_e32 v6, v1
	buffer_load_dword v1, off, s[0:3], 0 offset:20 ; 4-byte Folded Reload
	v_pk_fma_f32 v[18:19], v[120:121], v[6:7], v[18:19] op_sel_hi:[0,1,1]
	s_waitcnt vmcnt(0)
	ds_read_b32 v1, v1 offset:9216
	s_waitcnt lgkmcnt(0)
	v_cvt_f32_f16_sdwa v9, v1 dst_sel:DWORD dst_unused:UNUSED_PAD src0_sel:WORD_1
	v_cvt_f32_f16_e32 v8, v1
	buffer_load_dword v1, off, s[0:3], 0 offset:24 ; 4-byte Folded Reload
	v_pk_fma_f32 v[20:21], v[120:121], v[8:9], v[20:21] op_sel_hi:[0,1,1]
	s_waitcnt vmcnt(0)
	v_add_u32_e32 v1, 0x2400, v1
	ds_read2_b32 v[6:7], v1 offset1:1
	buffer_load_dword v1, off, s[0:3], 0 offset:28 ; 4-byte Folded Reload
	s_waitcnt lgkmcnt(0)
	v_cvt_f32_f16_e32 v8, v6
	v_cvt_f32_f16_sdwa v9, v6 dst_sel:DWORD dst_unused:UNUSED_PAD src0_sel:WORD_1
	v_cvt_f32_f16_e32 v6, v7
	v_cvt_f32_f16_sdwa v7, v7 dst_sel:DWORD dst_unused:UNUSED_PAD src0_sel:WORD_1
	v_pk_fma_f32 v[14:15], v[120:121], v[8:9], v[14:15] op_sel_hi:[0,1,1]
	v_pk_fma_f32 v[16:17], v[120:121], v[6:7], v[16:17] op_sel_hi:[0,1,1]
	s_waitcnt vmcnt(0)
	v_add_u32_e32 v1, 0x2400, v1
	ds_read2_b32 v[6:7], v1 offset1:1
	v_add_u32_e32 v1, 0x2400, v119
	s_waitcnt lgkmcnt(0)
	v_cvt_f32_f16_e32 v8, v6
	v_cvt_f32_f16_sdwa v9, v6 dst_sel:DWORD dst_unused:UNUSED_PAD src0_sel:WORD_1
	v_cvt_f32_f16_e32 v6, v7
	v_cvt_f32_f16_sdwa v7, v7 dst_sel:DWORD dst_unused:UNUSED_PAD src0_sel:WORD_1
	v_pk_fma_f32 v[10:11], v[120:121], v[8:9], v[10:11] op_sel_hi:[0,1,1]
	v_pk_fma_f32 v[12:13], v[120:121], v[6:7], v[12:13] op_sel_hi:[0,1,1]
	ds_read2_b32 v[6:7], v1 offset1:1
	s_waitcnt lgkmcnt(0)
	v_cvt_f32_f16_e32 v8, v6
	v_cvt_f32_f16_sdwa v9, v6 dst_sel:DWORD dst_unused:UNUSED_PAD src0_sel:WORD_1
	v_cvt_f32_f16_e32 v6, v7
	v_cvt_f32_f16_sdwa v7, v7 dst_sel:DWORD dst_unused:UNUSED_PAD src0_sel:WORD_1
	v_pk_fma_f32 v[2:3], v[120:121], v[8:9], v[2:3] op_sel_hi:[0,1,1]
	v_pk_fma_f32 v[4:5], v[120:121], v[6:7], v[4:5] op_sel_hi:[0,1,1]
.LBB0_215:                              ;   in Loop: Header=BB0_15 Depth=1
	s_nop 7
	s_nop 0
	buffer_load_dword v8, off, s[0:3], 0 offset:32 ; 4-byte Folded Reload
	v_add_f32_e32 v1, 0x40051340, v18
	v_max_f32_e32 v6, v46, v46
	v_cmp_gt_u32_e64 s[88:89], s9, v72
	v_max_f32_e32 v1, v6, v1
	v_cndmask_b32_e64 v1, v46, v1, s[88:89]
	v_add_f32_e32 v6, 0x40051340, v19
	v_max_f32_e32 v7, v1, v1
	v_cmp_gt_u32_e64 s[86:87], s9, v80
	v_max_f32_e32 v6, v7, v6
	v_cndmask_b32_e64 v1, v1, v6, s[86:87]
	;; [unrolled: 5-line block ×15, first 2 shown]
	v_add_f32_e32 v6, 0x40051340, v5
	v_max_f32_e32 v7, v1, v1
	v_cmp_gt_u32_e32 vcc, s9, v114
	v_max_f32_e32 v6, v7, v6
	v_cndmask_b32_e32 v1, v1, v6, vcc
	s_waitcnt vmcnt(0)
	v_and_b32_e32 v6, 64, v8
	v_add_u32_e32 v6, 64, v6
	v_xor_b32_e32 v7, 32, v8
	v_cmp_lt_i32_e64 s[92:93], v7, v6
	v_cndmask_b32_e64 v7, v8, v7, s[92:93]
	v_lshlrev_b32_e32 v9, 2, v7
	ds_bpermute_b32 v7, v9, v1
	v_max_f32_e32 v1, v1, v1
	v_cndmask_b32_e64 v20, v20, v20, s[86:87]
	v_cndmask_b32_e64 v21, v21, v21, s[86:87]
	;; [unrolled: 1-line block ×3, first 2 shown]
	s_waitcnt lgkmcnt(0)
	v_max_f32_e32 v7, v7, v7
	v_max_f32_e32 v7, v1, v7
	v_xor_b32_e32 v1, 16, v8
	v_cmp_lt_i32_e64 s[92:93], v1, v6
	v_cndmask_b32_e64 v1, v8, v1, s[92:93]
	v_lshlrev_b32_e32 v1, 2, v1
	ds_bpermute_b32 v6, v1, v7
	v_cndmask_b32_e64 v11, v11, v11, s[72:73]
	v_cndmask_b32_e64 v13, v13, v13, s[72:73]
	;; [unrolled: 1-line block ×4, first 2 shown]
	s_waitcnt lgkmcnt(0)
	v_max_f32_e32 v6, v6, v6
	v_max_f32_e32 v8, v7, v6
	v_sub_f32_e32 v6, v18, v8
	v_mul_f32_e32 v7, 0x3fb8aa3b, v6
	v_fma_f32 v18, v6, s97, -v7
	v_rndne_f32_e32 v23, v7
	v_fmac_f32_e32 v18, 0x32a5705f, v6
	v_sub_f32_e32 v7, v7, v23
	v_add_f32_e32 v7, v7, v18
	v_exp_f32_e32 v7, v7
	v_cvt_i32_f32_e32 v18, v23
	v_cmp_ngt_f32_e64 s[92:93], s98, v6
	v_sub_f32_e32 v14, v14, v8
	v_sub_f32_e32 v15, v15, v8
	v_ldexp_f32 v7, v7, v18
	v_cndmask_b32_e64 v7, 0, v7, s[92:93]
	v_cmp_nlt_f32_e64 s[92:93], s99, v6
	v_cndmask_b32_e64 v6, v100, v7, s[92:93]
	v_sub_f32_e32 v7, v19, v8
	v_mul_f32_e32 v18, 0x3fb8aa3b, v7
	v_fma_f32 v19, v7, s97, -v18
	v_rndne_f32_e32 v23, v18
	v_fmac_f32_e32 v19, 0x32a5705f, v7
	v_sub_f32_e32 v18, v18, v23
	v_add_f32_e32 v18, v18, v19
	v_exp_f32_e32 v18, v18
	v_cvt_i32_f32_e32 v19, v23
	v_cndmask_b32_e64 v6, 0, v6, s[88:89]
	v_cmp_ngt_f32_e64 s[88:89], s98, v7
	v_sub_f32_e32 v10, v10, v8
	v_ldexp_f32 v18, v18, v19
	v_cndmask_b32_e64 v18, 0, v18, s[88:89]
	v_cmp_nlt_f32_e64 s[88:89], s99, v7
	v_cndmask_b32_e64 v18, v100, v18, s[88:89]
	v_mov_b32_e32 v7, s53
	v_add_f32_e32 v19, v18, v6
	v_cndmask_b32_e64 v7, v7, v18, s[86:87]
	v_sub_f32_e32 v18, v20, v8
	v_mul_f32_e32 v20, 0x3fb8aa3b, v18
	v_fma_f32 v23, v18, s97, -v20
	v_rndne_f32_e32 v25, v20
	v_fmac_f32_e32 v23, 0x32a5705f, v18
	v_sub_f32_e32 v20, v20, v25
	v_add_f32_e32 v20, v20, v23
	v_exp_f32_e32 v20, v20
	v_cvt_i32_f32_e32 v23, v25
	v_cndmask_b32_e64 v19, v6, v19, s[86:87]
	v_cmp_ngt_f32_e64 s[86:87], s98, v18
	v_sub_f32_e32 v11, v11, v8
	v_ldexp_f32 v20, v20, v23
	v_cndmask_b32_e64 v20, 0, v20, s[86:87]
	v_cmp_nlt_f32_e64 s[86:87], s99, v18
	v_cndmask_b32_e64 v20, v100, v20, s[86:87]
	v_add_f32_e32 v23, v19, v20
	v_mov_b32_e32 v18, s53
	v_cndmask_b32_e64 v31, v18, v20, s[84:85]
	v_cndmask_b32_e64 v18, v19, v23, s[84:85]
	v_sub_f32_e32 v19, v21, v8
	v_mul_f32_e32 v20, 0x3fb8aa3b, v19
	v_fma_f32 v21, v19, s97, -v20
	v_rndne_f32_e32 v23, v20
	v_fmac_f32_e32 v21, 0x32a5705f, v19
	v_sub_f32_e32 v20, v20, v23
	v_add_f32_e32 v20, v20, v21
	v_exp_f32_e32 v20, v20
	v_cvt_i32_f32_e32 v21, v23
	v_cmp_ngt_f32_e64 s[84:85], s98, v19
	v_cndmask_b32_e64 v23, v16, v16, s[80:81]
	v_sub_f32_e32 v2, v2, v8
	v_ldexp_f32 v20, v20, v21
	v_cndmask_b32_e64 v20, 0, v20, s[84:85]
	v_cmp_nlt_f32_e64 s[84:85], s99, v19
	v_cndmask_b32_e64 v20, v100, v20, s[84:85]
	v_mov_b32_e32 v19, s53
	v_add_f32_e32 v21, v18, v20
	v_cndmask_b32_e64 v47, v19, v20, s[82:83]
	v_mul_f32_e32 v19, 0x3fb8aa3b, v14
	v_cndmask_b32_e64 v18, v18, v21, s[82:83]
	v_fma_f32 v20, v14, s97, -v19
	v_rndne_f32_e32 v21, v19
	v_fmac_f32_e32 v20, 0x32a5705f, v14
	v_sub_f32_e32 v19, v19, v21
	v_add_f32_e32 v19, v19, v20
	v_exp_f32_e32 v19, v19
	v_cvt_i32_f32_e32 v20, v21
	v_cmp_ngt_f32_e64 s[82:83], s98, v14
	v_cndmask_b32_e64 v21, v17, v17, s[80:81]
	v_mul_f32_e32 v17, 0x3fb8aa3b, v15
	v_ldexp_f32 v19, v19, v20
	v_cndmask_b32_e64 v19, 0, v19, s[82:83]
	v_cmp_nlt_f32_e64 s[82:83], s99, v14
	v_cndmask_b32_e64 v19, v100, v19, s[82:83]
	v_add_f32_e32 v20, v19, v18
	v_mov_b32_e32 v14, s53
	v_cndmask_b32_e64 v16, v14, v19, s[80:81]
	v_cndmask_b32_e64 v14, v18, v20, s[80:81]
	v_fma_f32 v18, v15, s97, -v17
	v_rndne_f32_e32 v19, v17
	v_fmac_f32_e32 v18, 0x32a5705f, v15
	v_sub_f32_e32 v17, v17, v19
	v_add_f32_e32 v17, v17, v18
	v_exp_f32_e32 v17, v17
	v_cvt_i32_f32_e32 v18, v19
	v_cmp_ngt_f32_e64 s[80:81], s98, v15
	v_sub_f32_e32 v3, v3, v8
	v_cndmask_b32_e64 v5, v5, v5, s[64:65]
	v_ldexp_f32 v17, v17, v18
	v_cndmask_b32_e64 v17, 0, v17, s[80:81]
	v_cmp_nlt_f32_e64 s[80:81], s99, v15
	v_cndmask_b32_e64 v17, v100, v17, s[80:81]
	v_add_f32_e32 v18, v17, v14
	v_mov_b32_e32 v15, s53
	v_cndmask_b32_e64 v17, v15, v17, s[78:79]
	v_cndmask_b32_e64 v15, v14, v18, s[78:79]
	v_sub_f32_e32 v14, v23, v8
	v_mul_f32_e32 v18, 0x3fb8aa3b, v14
	v_fma_f32 v19, v14, s97, -v18
	v_rndne_f32_e32 v20, v18
	v_fmac_f32_e32 v19, 0x32a5705f, v14
	v_sub_f32_e32 v18, v18, v20
	v_add_f32_e32 v18, v18, v19
	v_exp_f32_e32 v18, v18
	v_cvt_i32_f32_e32 v19, v20
	v_cmp_ngt_f32_e64 s[78:79], s98, v14
	v_cndmask_b32_e64 v4, v4, v4, s[64:65]
	s_mov_b32 s93, 0xc1a00000
	v_ldexp_f32 v18, v18, v19
	v_cndmask_b32_e64 v18, 0, v18, s[78:79]
	v_cmp_nlt_f32_e64 s[78:79], s99, v14
	v_cndmask_b32_e64 v18, v100, v18, s[78:79]
	v_add_f32_e32 v19, v18, v15
	v_mov_b32_e32 v14, s53
	v_cndmask_b32_e64 v48, v14, v18, s[76:77]
	v_cndmask_b32_e64 v14, v15, v19, s[76:77]
	v_sub_f32_e32 v15, v21, v8
	v_mul_f32_e32 v18, 0x3fb8aa3b, v15
	v_fma_f32 v19, v15, s97, -v18
	v_rndne_f32_e32 v20, v18
	v_fmac_f32_e32 v19, 0x32a5705f, v15
	v_sub_f32_e32 v18, v18, v20
	v_add_f32_e32 v18, v18, v19
	v_exp_f32_e32 v18, v18
	v_cvt_i32_f32_e32 v19, v20
	v_cmp_ngt_f32_e64 s[76:77], s98, v15
	s_mul_i32 s8, s52, s47
	s_mul_hi_u32 s9, s52, s46
	v_ldexp_f32 v18, v18, v19
	v_cndmask_b32_e64 v18, 0, v18, s[76:77]
	v_cmp_nlt_f32_e64 s[76:77], s99, v15
	v_cndmask_b32_e64 v18, v100, v18, s[76:77]
	v_mov_b32_e32 v15, s53
	v_add_f32_e32 v19, v18, v14
	v_cndmask_b32_e64 v49, v15, v18, s[74:75]
	v_mul_f32_e32 v15, 0x3fb8aa3b, v10
	v_cndmask_b32_e64 v14, v14, v19, s[74:75]
	v_fma_f32 v18, v10, s97, -v15
	v_rndne_f32_e32 v19, v15
	v_fmac_f32_e32 v18, 0x32a5705f, v10
	v_sub_f32_e32 v15, v15, v19
	v_add_f32_e32 v15, v15, v18
	v_exp_f32_e32 v15, v15
	v_cvt_i32_f32_e32 v18, v19
	v_cmp_ngt_f32_e64 s[74:75], s98, v10
	s_add_i32 s9, s9, s8
	s_mul_i32 s8, s52, s46
	v_ldexp_f32 v15, v15, v18
	v_cndmask_b32_e64 v15, 0, v15, s[74:75]
	v_cmp_nlt_f32_e64 s[74:75], s99, v10
	v_cndmask_b32_e64 v15, v100, v15, s[74:75]
	v_add_f32_e32 v18, v15, v14
	v_mov_b32_e32 v10, s53
	v_cndmask_b32_e64 v50, v10, v15, s[72:73]
	v_cndmask_b32_e64 v10, v14, v18, s[72:73]
	v_mul_f32_e32 v14, 0x3fb8aa3b, v11
	v_fma_f32 v15, v11, s97, -v14
	v_rndne_f32_e32 v18, v14
	v_fmac_f32_e32 v15, 0x32a5705f, v11
	v_sub_f32_e32 v14, v14, v18
	v_add_f32_e32 v14, v14, v15
	v_exp_f32_e32 v14, v14
	v_cvt_i32_f32_e32 v15, v18
	v_cmp_ngt_f32_e64 s[72:73], s98, v11
	s_lshl_b64 s[8:9], s[8:9], 2
	s_add_u32 s8, s42, s8
	v_ldexp_f32 v14, v14, v15
	v_cndmask_b32_e64 v14, 0, v14, s[72:73]
	v_cmp_nlt_f32_e64 s[72:73], s99, v11
	v_cndmask_b32_e64 v14, v100, v14, s[72:73]
	v_add_f32_e32 v15, v14, v10
	v_mov_b32_e32 v11, s53
	v_cndmask_b32_e64 v51, v11, v14, s[70:71]
	v_cndmask_b32_e64 v11, v10, v15, s[70:71]
	v_sub_f32_e32 v10, v12, v8
	v_mul_f32_e32 v12, 0x3fb8aa3b, v10
	v_fma_f32 v14, v10, s97, -v12
	v_rndne_f32_e32 v15, v12
	v_fmac_f32_e32 v14, 0x32a5705f, v10
	v_sub_f32_e32 v12, v12, v15
	v_add_f32_e32 v12, v12, v14
	v_exp_f32_e32 v12, v12
	v_cvt_i32_f32_e32 v14, v15
	v_cmp_ngt_f32_e64 s[70:71], s98, v10
	s_addc_u32 s9, s43, s9
	buffer_store_dword v37, off, s[0:3], 0
	buffer_store_dword v37, off, s[0:3], 0 offset:4
	buffer_store_dword v37, off, s[0:3], 0 offset:8
	;; [unrolled: 1-line block ×3, first 2 shown]
	v_ldexp_f32 v12, v12, v14
	v_cndmask_b32_e64 v12, 0, v12, s[70:71]
	v_cmp_nlt_f32_e64 s[70:71], s99, v10
	v_cndmask_b32_e64 v12, v100, v12, s[70:71]
	v_add_f32_e32 v14, v12, v11
	v_mov_b32_e32 v10, s53
	v_cndmask_b32_e64 v52, v10, v12, s[68:69]
	v_cndmask_b32_e64 v10, v11, v14, s[68:69]
	v_sub_f32_e32 v11, v13, v8
	v_mul_f32_e32 v12, 0x3fb8aa3b, v11
	v_fma_f32 v13, v11, s97, -v12
	v_rndne_f32_e32 v14, v12
	v_fmac_f32_e32 v13, 0x32a5705f, v11
	v_sub_f32_e32 v12, v12, v14
	v_add_f32_e32 v12, v12, v13
	v_exp_f32_e32 v12, v12
	v_cvt_i32_f32_e32 v13, v14
	v_cmp_ngt_f32_e64 s[68:69], s98, v11
	v_ldexp_f32 v12, v12, v13
	v_cndmask_b32_e64 v12, 0, v12, s[68:69]
	v_cmp_nlt_f32_e64 s[68:69], s99, v11
	v_cndmask_b32_e64 v12, v100, v12, s[68:69]
	v_mov_b32_e32 v11, s53
	v_add_f32_e32 v13, v12, v10
	v_cndmask_b32_e64 v11, v11, v12, s[66:67]
	v_mul_f32_e32 v12, 0x3fb8aa3b, v2
	v_cndmask_b32_e64 v10, v10, v13, s[66:67]
	v_fma_f32 v13, v2, s97, -v12
	v_rndne_f32_e32 v14, v12
	v_fmac_f32_e32 v13, 0x32a5705f, v2
	v_sub_f32_e32 v12, v12, v14
	v_add_f32_e32 v12, v12, v13
	v_exp_f32_e32 v12, v12
	v_cvt_i32_f32_e32 v13, v14
	v_cmp_ngt_f32_e64 s[66:67], s98, v2
	v_ldexp_f32 v12, v12, v13
	v_cndmask_b32_e64 v12, 0, v12, s[66:67]
	v_cmp_nlt_f32_e64 s[66:67], s99, v2
	v_cndmask_b32_e64 v12, v100, v12, s[66:67]
	v_add_f32_e32 v13, v12, v10
	v_mov_b32_e32 v2, s53
	v_cndmask_b32_e64 v54, v2, v12, s[64:65]
	v_cndmask_b32_e64 v2, v10, v13, s[64:65]
	v_mul_f32_e32 v10, 0x3fb8aa3b, v3
	v_fma_f32 v12, v3, s97, -v10
	v_rndne_f32_e32 v13, v10
	v_fmac_f32_e32 v12, 0x32a5705f, v3
	v_sub_f32_e32 v10, v10, v13
	v_add_f32_e32 v10, v10, v12
	v_exp_f32_e32 v10, v10
	v_cvt_i32_f32_e32 v12, v13
	v_cmp_ngt_f32_e64 s[64:65], s98, v3
	v_ldexp_f32 v10, v10, v12
	v_cndmask_b32_e64 v10, 0, v10, s[64:65]
	v_cmp_nlt_f32_e64 s[64:65], s99, v3
	v_cndmask_b32_e64 v10, v100, v10, s[64:65]
	v_add_f32_e32 v12, v10, v2
	v_mov_b32_e32 v3, s53
	v_cndmask_b32_e64 v56, v3, v10, s[62:63]
	v_cndmask_b32_e64 v3, v2, v12, s[62:63]
	v_sub_f32_e32 v2, v4, v8
	v_mul_f32_e32 v4, 0x3fb8aa3b, v2
	v_fma_f32 v10, v2, s97, -v4
	v_rndne_f32_e32 v12, v4
	v_fmac_f32_e32 v10, 0x32a5705f, v2
	v_sub_f32_e32 v4, v4, v12
	v_add_f32_e32 v4, v4, v10
	v_exp_f32_e32 v4, v4
	v_cvt_i32_f32_e32 v10, v12
	v_cmp_ngt_f32_e64 s[62:63], s98, v2
	v_ldexp_f32 v4, v4, v10
	v_cndmask_b32_e64 v4, 0, v4, s[62:63]
	v_cmp_nlt_f32_e64 s[62:63], s99, v2
	v_cndmask_b32_e64 v4, v100, v4, s[62:63]
	v_add_f32_e32 v10, v4, v3
	v_mov_b32_e32 v2, s53
	v_cndmask_b32_e64 v2, v2, v4, s[60:61]
	v_cndmask_b32_e64 v4, v3, v10, s[60:61]
	v_sub_f32_e32 v3, v5, v8
	v_mul_f32_e32 v5, 0x3fb8aa3b, v3
	v_fma_f32 v10, v3, s97, -v5
	v_rndne_f32_e32 v12, v5
	v_fmac_f32_e32 v10, 0x32a5705f, v3
	v_sub_f32_e32 v5, v5, v12
	v_add_f32_e32 v5, v5, v10
	v_exp_f32_e32 v5, v5
	v_cvt_i32_f32_e32 v10, v12
	v_cmp_ngt_f32_e64 s[60:61], s98, v3
	v_cvt_f16_f32_e32 v2, v2
	v_ldexp_f32 v5, v5, v10
	v_cndmask_b32_e64 v5, 0, v5, s[60:61]
	v_cmp_nlt_f32_e64 s[60:61], s99, v3
	v_cndmask_b32_e64 v5, v100, v5, s[60:61]
	v_add_f32_e32 v10, v5, v4
	v_mov_b32_e32 v3, s53
	v_cndmask_b32_e32 v18, v4, v10, vcc
	v_sub_f32_e32 v4, v46, v8
	v_cndmask_b32_e32 v3, v3, v5, vcc
	v_mul_f32_e32 v5, 0x3fb8aa3b, v4
	v_fma_f32 v10, v4, s97, -v5
	v_rndne_f32_e32 v12, v5
	v_fmac_f32_e32 v10, 0x32a5705f, v4
	v_sub_f32_e32 v5, v5, v12
	v_add_f32_e32 v5, v5, v10
	v_exp_f32_e32 v5, v5
	v_cvt_i32_f32_e32 v10, v12
	v_cmp_ngt_f32_e32 vcc, s98, v4
	v_cvt_f16_f32_e32 v3, v3
	v_ldexp_f32 v5, v5, v10
	v_cndmask_b32_e32 v5, 0, v5, vcc
	v_cmp_nlt_f32_e32 vcc, s99, v4
	v_cndmask_b32_e32 v5, v100, v5, vcc
	v_cmp_le_f32_e32 vcc, s93, v4
	v_cndmask_b32_e32 v4, 0, v5, vcc
	v_fmac_f32_e32 v18, v24, v4
	v_cvt_f16_f32_e32 v4, v4
	v_cvt_f16_f32_e32 v5, v7
	v_pack_b32_f16 v7, v2, v3
	v_add_co_u32_e32 v2, vcc, s8, v38
	v_pk_mul_f16 v29, v4, v59 op_sel_hi:[0,1]
	v_pk_mul_f16 v27, v4, v53 op_sel_hi:[0,1]
	;; [unrolled: 1-line block ×8, first 2 shown]
	v_cvt_f16_f32_e32 v4, v6
	v_mov_b32_e32 v3, s9
	v_addc_co_u32_e32 v3, vcc, v3, v39, vcc
	v_pack_b32_f16 v14, v4, v5
	v_cvt_f16_f32_e32 v4, v31
	v_cvt_f16_f32_e32 v5, v47
	v_add_co_u32_e32 v2, vcc, v2, v22
	v_addc_co_u32_e32 v3, vcc, 0, v3, vcc
	v_pack_b32_f16 v15, v4, v5
	v_cvt_f16_f32_e32 v4, v16
	v_cvt_f16_f32_e32 v5, v17
	v_add_co_u32_e32 v16, vcc, s8, v40
	v_mov_b32_e32 v17, s9
	v_pack_b32_f16 v12, v4, v5
	v_cvt_f16_f32_e32 v4, v48
	v_cvt_f16_f32_e32 v5, v49
	v_addc_co_u32_e32 v17, vcc, v17, v41, vcc
	v_add_co_u32_e32 v16, vcc, v16, v22
	v_pack_b32_f16 v13, v4, v5
	v_cvt_f16_f32_e32 v4, v50
	v_cvt_f16_f32_e32 v5, v51
	v_addc_co_u32_e32 v17, vcc, 0, v17, vcc
	v_cvt_f32_f16_sdwa v47, v25 dst_sel:DWORD dst_unused:UNUSED_PAD src0_sel:WORD_1
	v_pack_b32_f16 v10, v4, v5
	v_cvt_f16_f32_e32 v4, v52
	v_cvt_f16_f32_e32 v5, v11
	v_cvt_f32_f16_e32 v48, v24
	v_cvt_f32_f16_sdwa v49, v24 dst_sel:DWORD dst_unused:UNUSED_PAD src0_sel:WORD_1
	ds_bpermute_b32 v9, v9, v18
	v_pack_b32_f16 v11, v4, v5
	v_cvt_f16_f32_e32 v4, v54
	v_cvt_f16_f32_e32 v5, v56
	v_readlane_b32 s8, v127, 25
	s_waitcnt lgkmcnt(0)
	v_add_f32_e32 v9, v18, v9
	ds_bpermute_b32 v1, v1, v9
	v_pack_b32_f16 v6, v4, v5
	v_mov_b32_e32 v4, s49
	v_mov_b32_e32 v5, s48
	v_cndmask_b32_e64 v3, v4, v3, s[56:57]
	v_cndmask_b32_e64 v2, v5, v2, s[56:57]
	;; [unrolled: 1-line block ×4, first 2 shown]
	flat_load_dwordx4 v[2:5], v[2:3]
	v_readlane_b32 s9, v127, 26
	s_waitcnt lgkmcnt(0)
	v_add_f32_e32 v9, v9, v1
	s_cmp_lg_u64 s[8:9], 0
	s_waitcnt vmcnt(0)
	ds_write_b128 v35, v[2:5]
	flat_load_dwordx4 v[2:5], v[16:17]
	s_waitcnt vmcnt(0) lgkmcnt(0)
	ds_write_b128 v0, v[2:5]
	s_waitcnt lgkmcnt(0)
	s_barrier
	ds_read_u16 v16, v111 offset:288
	ds_read_u16 v17, v117
	ds_read_u16 v22, v117 offset:32
	v_cvt_f32_f16_e32 v2, v29
	v_cvt_f32_f16_sdwa v3, v29 dst_sel:DWORD dst_unused:UNUSED_PAD src0_sel:WORD_1
	v_cvt_f32_f16_e32 v4, v27
	v_cvt_f32_f16_sdwa v5, v27 dst_sel:DWORD dst_unused:UNUSED_PAD src0_sel:WORD_1
	s_waitcnt lgkmcnt(1)
	v_perm_b32 v17, v17, v16, s33
	ds_read_u16 v16, v97
	ds_read_u16 v27, v97 offset:32
	ds_read_u16 v29, v111 offset:144
	;; [unrolled: 1-line block ×3, first 2 shown]
	s_waitcnt lgkmcnt(1)
	v_perm_b32 v16, v29, v16, s33
	s_nop 1
	v_mfma_f32_16x16x16f16 v[2:5], v[16:17], v[14:15], v[2:5]
	ds_read_u16 v16, v97 offset:2304
	ds_read_u16 v29, v111 offset:2448
	;; [unrolled: 1-line block ×4, first 2 shown]
	s_waitcnt lgkmcnt(2)
	v_perm_b32 v16, v29, v16, s33
	s_waitcnt lgkmcnt(0)
	v_perm_b32 v17, v46, v17, s33
	s_nop 2
	v_cvt_f16_f32_e32 v2, v2
	v_cvt_f16_f32_e32 v3, v3
	;; [unrolled: 1-line block ×4, first 2 shown]
	v_cvt_f32_f16_e32 v2, v2
	v_cvt_f32_f16_e32 v3, v3
	;; [unrolled: 1-line block ×4, first 2 shown]
	s_nop 1
	v_mfma_f32_16x16x16f16 v[2:5], v[16:17], v[12:13], v[2:5]
	ds_read_u16 v16, v97 offset:4608
	ds_read_u16 v29, v111 offset:4752
	;; [unrolled: 1-line block ×4, first 2 shown]
	s_waitcnt lgkmcnt(2)
	v_perm_b32 v16, v29, v16, s33
	s_waitcnt lgkmcnt(0)
	v_perm_b32 v17, v46, v17, s33
	s_nop 2
	v_cvt_f16_f32_e32 v2, v2
	v_cvt_f16_f32_e32 v3, v3
	;; [unrolled: 1-line block ×4, first 2 shown]
	v_cvt_f32_f16_e32 v2, v2
	v_cvt_f32_f16_e32 v3, v3
	;; [unrolled: 1-line block ×4, first 2 shown]
	s_nop 1
	v_mfma_f32_16x16x16f16 v[2:5], v[16:17], v[10:11], v[2:5]
	ds_read_u16 v16, v97 offset:6912
	ds_read_u16 v29, v111 offset:7056
	;; [unrolled: 1-line block ×4, first 2 shown]
	s_waitcnt lgkmcnt(2)
	v_perm_b32 v16, v29, v16, s33
	s_waitcnt lgkmcnt(0)
	v_perm_b32 v17, v46, v17, s33
	v_cvt_f32_f16_e32 v46, v25
	s_nop 1
	v_cvt_f16_f32_e32 v2, v2
	v_cvt_f16_f32_e32 v3, v3
	;; [unrolled: 1-line block ×4, first 2 shown]
	v_cvt_f32_f16_e32 v2, v2
	v_cvt_f32_f16_e32 v3, v3
	;; [unrolled: 1-line block ×4, first 2 shown]
	s_nop 1
	v_mfma_f32_16x16x16f16 v[2:5], v[16:17], v[6:7], v[2:5]
	s_nop 7
	s_nop 2
	v_cvt_f16_f32_e32 v2, v2
	v_cvt_f16_f32_e32 v3, v3
	;; [unrolled: 1-line block ×4, first 2 shown]
	v_pack_b32_f16 v2, v2, v3
	v_pack_b32_f16 v3, v4, v5
	ds_read_u16 v4, v115 offset:288
	s_waitcnt lgkmcnt(0)
	v_perm_b32 v5, v22, v4, s33
	v_perm_b32 v4, v31, v27, s33
	ds_read_u16 v22, v97 offset:2336
	ds_read_u16 v24, v111 offset:2480
	ds_read_u16 v25, v103 offset:288
	ds_read_u16 v27, v117 offset:2336
	v_mfma_f32_16x16x16f16 v[46:49], v[4:5], v[14:15], v[46:49]
	s_nop 7
	s_nop 2
	v_cvt_f16_f32_e32 v4, v46
	v_cvt_f16_f32_e32 v5, v47
	v_cvt_f16_f32_e32 v16, v48
	v_cvt_f16_f32_e32 v17, v49
	v_cvt_f32_f16_e32 v46, v4
	v_cvt_f32_f16_e32 v47, v5
	s_waitcnt lgkmcnt(0)
	v_perm_b32 v5, v27, v25, s33
	v_perm_b32 v4, v24, v22, s33
	v_cvt_f32_f16_e32 v48, v16
	v_cvt_f32_f16_e32 v49, v17
	ds_read_u16 v22, v97 offset:4640
	ds_read_u16 v24, v111 offset:4784
	ds_read_u16 v25, v34 offset:288
	ds_read_u16 v27, v117 offset:4640
	v_mfma_f32_16x16x16f16 v[46:49], v[4:5], v[12:13], v[46:49]
	s_nop 7
	s_nop 2
	v_cvt_f16_f32_e32 v4, v46
	v_cvt_f16_f32_e32 v5, v47
	v_cvt_f16_f32_e32 v16, v48
	v_cvt_f16_f32_e32 v17, v49
	v_cvt_f32_f16_e32 v46, v4
	v_cvt_f32_f16_e32 v47, v5
	s_waitcnt lgkmcnt(0)
	v_perm_b32 v5, v27, v25, s33
	v_perm_b32 v4, v24, v22, s33
	v_cvt_f32_f16_e32 v48, v16
	v_cvt_f32_f16_e32 v49, v17
	;; [unrolled: 18-line block ×3, first 2 shown]
	v_cvt_f32_f16_e32 v22, v23
	v_cvt_f32_f16_sdwa v23, v23 dst_sel:DWORD dst_unused:UNUSED_PAD src0_sel:WORD_1
	v_mfma_f32_16x16x16f16 v[46:49], v[4:5], v[6:7], v[46:49]
	v_cvt_f32_f16_e32 v24, v21
	v_cvt_f32_f16_sdwa v25, v21 dst_sel:DWORD dst_unused:UNUSED_PAD src0_sel:WORD_1
	s_nop 7
	s_nop 0
	v_cvt_f16_f32_e32 v4, v46
	v_cvt_f16_f32_e32 v5, v47
	;; [unrolled: 1-line block ×4, first 2 shown]
	v_pack_b32_f16 v4, v4, v5
	v_pack_b32_f16 v5, v16, v17
	ds_read_u16 v16, v97 offset:64
	ds_read_u16 v27, v111 offset:208
	;; [unrolled: 1-line block ×4, first 2 shown]
	s_waitcnt lgkmcnt(2)
	v_perm_b32 v16, v27, v16, s33
	s_waitcnt lgkmcnt(0)
	v_perm_b32 v17, v29, v17, s33
	ds_read_u16 v27, v97 offset:2368
	ds_read_u16 v29, v111 offset:2512
	ds_read_u16 v31, v26 offset:288
	ds_read_u16 v46, v117 offset:2368
	v_mfma_f32_16x16x16f16 v[22:25], v[16:17], v[14:15], v[22:25]
	s_nop 7
	s_nop 2
	v_cvt_f16_f32_e32 v16, v22
	v_cvt_f16_f32_e32 v17, v23
	v_cvt_f16_f32_e32 v21, v24
	v_cvt_f16_f32_e32 v25, v25
	v_cvt_f32_f16_e32 v22, v16
	v_cvt_f32_f16_e32 v23, v17
	s_waitcnt lgkmcnt(0)
	v_perm_b32 v17, v46, v31, s33
	v_perm_b32 v16, v29, v27, s33
	v_cvt_f32_f16_e32 v24, v21
	v_cvt_f32_f16_e32 v25, v25
	ds_read_u16 v27, v97 offset:4672
	ds_read_u16 v29, v111 offset:4816
	ds_read_u16 v31, v92 offset:288
	ds_read_u16 v46, v117 offset:4672
	v_mfma_f32_16x16x16f16 v[22:25], v[16:17], v[12:13], v[22:25]
	s_nop 7
	s_nop 2
	v_cvt_f16_f32_e32 v16, v22
	v_cvt_f16_f32_e32 v17, v23
	v_cvt_f16_f32_e32 v21, v24
	v_cvt_f16_f32_e32 v25, v25
	v_cvt_f32_f16_e32 v22, v16
	v_cvt_f32_f16_e32 v23, v17
	s_waitcnt lgkmcnt(0)
	v_perm_b32 v17, v46, v31, s33
	v_perm_b32 v16, v29, v27, s33
	v_cvt_f32_f16_e32 v24, v21
	v_cvt_f32_f16_e32 v25, v25
	;; [unrolled: 18-line block ×3, first 2 shown]
	s_nop 1
	v_mfma_f32_16x16x16f16 v[22:25], v[16:17], v[6:7], v[22:25]
	s_nop 7
	s_nop 2
	v_cvt_f16_f32_e32 v16, v22
	v_cvt_f16_f32_e32 v17, v23
	;; [unrolled: 1-line block ×4, first 2 shown]
	v_cvt_f32_f16_sdwa v23, v20 dst_sel:DWORD dst_unused:UNUSED_PAD src0_sel:WORD_1
	v_pack_b32_f16 v16, v16, v17
	v_cvt_f32_f16_e32 v24, v19
	v_pack_b32_f16 v17, v21, v22
	ds_read_u16 v27, v97 offset:96
	ds_read_u16 v29, v111 offset:240
	;; [unrolled: 1-line block ×4, first 2 shown]
	v_cvt_f32_f16_e32 v22, v20
	v_cvt_f32_f16_sdwa v25, v19 dst_sel:DWORD dst_unused:UNUSED_PAD src0_sel:WORD_1
	s_waitcnt lgkmcnt(2)
	v_perm_b32 v20, v29, v27, s33
	s_waitcnt lgkmcnt(0)
	v_perm_b32 v21, v31, v21, s33
	s_nop 1
	v_mfma_f32_16x16x16f16 v[20:23], v[20:21], v[14:15], v[22:25]
	s_nop 6
	ds_read_u16 v24, v97 offset:2400
	ds_read_u16 v25, v111 offset:2544
	;; [unrolled: 1-line block ×4, first 2 shown]
	v_cvt_f16_f32_e32 v14, v20
	v_cvt_f16_f32_e32 v15, v21
	;; [unrolled: 1-line block ×4, first 2 shown]
	v_cvt_f32_f16_e32 v20, v14
	v_cvt_f32_f16_e32 v21, v15
	s_waitcnt lgkmcnt(0)
	v_perm_b32 v15, v29, v27, s33
	v_perm_b32 v14, v25, v24, s33
	v_cvt_f32_f16_e32 v22, v19
	v_cvt_f32_f16_e32 v23, v23
	s_nop 1
	v_mfma_f32_16x16x16f16 v[12:15], v[14:15], v[12:13], v[20:23]
	ds_read_u16 v19, v97 offset:4704
	s_nop 5
	ds_read_u16 v20, v111 offset:4848
	ds_read_u16 v21, v32 offset:288
	;; [unrolled: 1-line block ×3, first 2 shown]
	s_waitcnt lgkmcnt(2)
	v_perm_b32 v20, v20, v19, s33
	s_waitcnt lgkmcnt(0)
	v_perm_b32 v21, v22, v21, s33
	v_cvt_f16_f32_e32 v12, v12
	v_cvt_f16_f32_e32 v13, v13
	;; [unrolled: 1-line block ×4, first 2 shown]
	v_cvt_f32_f16_e32 v12, v12
	v_cvt_f32_f16_e32 v13, v13
	;; [unrolled: 1-line block ×4, first 2 shown]
	s_nop 1
	v_mfma_f32_16x16x16f16 v[12:15], v[20:21], v[10:11], v[12:15]
	s_nop 7
	s_nop 2
	v_cvt_f16_f32_e32 v11, v12
	v_cvt_f16_f32_e32 v12, v13
	v_cvt_f16_f32_e32 v13, v14
	v_cvt_f16_f32_e32 v14, v15
	ds_read_u16 v10, v97 offset:7008
	ds_read_u16 v15, v111 offset:7152
	;; [unrolled: 1-line block ×4, first 2 shown]
	v_cvt_f32_f16_e32 v22, v11
	v_cvt_f32_f16_e32 v23, v12
	s_waitcnt lgkmcnt(2)
	v_perm_b32 v10, v15, v10, s33
	v_cvt_f32_f16_e32 v24, v13
	s_waitcnt lgkmcnt(0)
	v_perm_b32 v11, v20, v19, s33
	v_cvt_f32_f16_e32 v25, v14
	s_barrier
	s_nop 0
	v_mfma_f32_16x16x16f16 v[10:13], v[10:11], v[6:7], v[22:25]
	s_nop 7
	s_nop 2
	v_cvt_f16_f32_e32 v6, v10
	v_cvt_f16_f32_e32 v7, v11
	;; [unrolled: 1-line block ×4, first 2 shown]
	v_pack_b32_f16 v6, v6, v7
	v_pack_b32_f16 v7, v10, v11
	s_cbranch_scc0 .LBB0_217
; %bb.216:                              ;   in Loop: Header=BB0_15 Depth=1
	global_load_dword v1, v37, s[8:9]
	v_max_f32_e32 v10, v8, v8
	s_mov_b64 s[42:43], 0
	s_waitcnt vmcnt(0)
	v_max_f32_e32 v11, v1, v1
	v_max_f32_e32 v10, v10, v11
	v_sub_f32_e32 v11, v8, v10
	v_sub_f32_e32 v1, v1, v10
	v_mul_f32_e32 v12, 0x3fb8aa3b, v11
	v_mul_f32_e32 v13, 0x3fb8aa3b, v1
	v_fma_f32 v14, v11, s97, -v12
	v_rndne_f32_e32 v15, v12
	v_fma_f32 v18, v1, s97, -v13
	v_rndne_f32_e32 v19, v13
	v_fmac_f32_e32 v14, 0x32a5705f, v11
	v_sub_f32_e32 v12, v12, v15
	v_fmac_f32_e32 v18, 0x32a5705f, v1
	v_sub_f32_e32 v13, v13, v19
	v_add_f32_e32 v12, v12, v14
	v_cvt_i32_f32_e32 v15, v15
	v_add_f32_e32 v13, v13, v18
	v_exp_f32_e32 v12, v12
	v_cvt_i32_f32_e32 v19, v19
	v_exp_f32_e32 v13, v13
	v_cmp_ngt_f32_e32 vcc, s98, v11
	v_ldexp_f32 v12, v12, v15
	v_cndmask_b32_e32 v12, 0, v12, vcc
	v_ldexp_f32 v13, v13, v19
	v_cmp_ngt_f32_e32 vcc, s98, v1
	v_cndmask_b32_e32 v13, 0, v13, vcc
	v_cmp_nlt_f32_e32 vcc, s99, v11
	v_cndmask_b32_e32 v12, v100, v12, vcc
	v_cmp_le_f32_e32 vcc, s93, v11
	v_cndmask_b32_e32 v12, 0, v12, vcc
	v_cvt_f16_f32_e32 v21, v12
	v_cmp_nlt_f32_e32 vcc, s99, v1
	v_cndmask_b32_e32 v11, v100, v13, vcc
	v_fmac_f32_e32 v11, v9, v12
	v_pk_mul_f16 v12, v21, v2 op_sel_hi:[0,1]
	v_pk_mul_f16 v13, v21, v3 op_sel_hi:[0,1]
	;; [unrolled: 1-line block ×8, first 2 shown]
	s_branch .LBB0_218
.LBB0_217:                              ;   in Loop: Header=BB0_15 Depth=1
	s_mov_b64 s[42:43], -1
                                        ; implicit-def: $vgpr10_vgpr11
                                        ; implicit-def: $vgpr20_vgpr21
                                        ; implicit-def: $vgpr18_vgpr19
                                        ; implicit-def: $vgpr14_vgpr15
                                        ; implicit-def: $vgpr12_vgpr13
.LBB0_218:                              ;   in Loop: Header=BB0_15 Depth=1
	buffer_load_dword v59, off, s[0:3], 0 offset:128 ; 4-byte Folded Reload
	buffer_load_dword v60, off, s[0:3], 0 offset:36 ; 4-byte Folded Reload
	v_readlane_b32 s72, v126, 63
	v_readlane_b32 s73, v127, 0
	;; [unrolled: 1-line block ×16, first 2 shown]
	s_andn2_b64 vcc, exec, s[42:43]
	v_readlane_b32 s88, v127, 15
	v_readlane_b32 s92, v127, 17
	v_readlane_b32 s89, v127, 16
	s_cbranch_vccnz .LBB0_220
; %bb.219:                              ;   in Loop: Header=BB0_15 Depth=1
	v_pk_mov_b32 v[12:13], v[2:3], v[2:3] op_sel:[0,1]
	v_pk_mov_b32 v[14:15], v[4:5], v[4:5] op_sel:[0,1]
	;; [unrolled: 1-line block ×5, first 2 shown]
.LBB0_220:                              ;   in Loop: Header=BB0_15 Depth=1
	s_mov_b64 s[42:43], exec
	v_readlane_b32 s8, v126, 46
	v_readlane_b32 s9, v126, 47
	s_and_b64 s[8:9], s[42:43], s[8:9]
	s_mov_b32 s89, s38
	s_mov_b64 exec, s[8:9]
	s_cbranch_execz .LBB0_222
; %bb.221:                              ;   in Loop: Header=BB0_15 Depth=1
	buffer_load_dword v1, off, s[0:3], 0 offset:312 ; 4-byte Folded Reload
	s_waitcnt vmcnt(0)
	ds_write2_b32 v1, v10, v11 offset0:32 offset1:33
.LBB0_222:                              ;   in Loop: Header=BB0_15 Depth=1
	s_or_b64 exec, exec, s[42:43]
	v_mov_b32_e32 v1, 50
	s_waitcnt lgkmcnt(0)
	s_barrier
	ds_write2_b32 v69, v12, v13 offset1:1
	ds_write2_b32 v69, v14, v15 offset0:8 offset1:9
	ds_write2_b32 v69, v18, v19 offset0:16 offset1:17
	;; [unrolled: 1-line block ×3, first 2 shown]
	s_waitcnt lgkmcnt(0)
	s_barrier
	s_and_saveexec_b64 s[42:43], s[44:45]
	s_cbranch_execz .LBB0_224
; %bb.223:                              ;   in Loop: Header=BB0_15 Depth=1
	buffer_load_dword v2, off, s[0:3], 0 offset:268 ; 4-byte Folded Reload
	v_readlane_b32 s8, v126, 48
	v_mul_lo_u32 v1, s8, v90
	v_readlane_b32 s8, v127, 20
	s_waitcnt vmcnt(0)
	ds_read_b32 v6, v2 offset:132
	ds_read_b32 v4, v59
	v_or_b32_e32 v2, v1, v68
	v_ashrrev_i32_e32 v3, 31, v2
	v_lshlrev_b64 v[2:3], 3, v[2:3]
	v_add_co_u32_e32 v2, vcc, s89, v2
	s_waitcnt lgkmcnt(0)
	v_cvt_f32_f16_sdwa v5, v4 dst_sel:DWORD dst_unused:UNUSED_PAD src0_sel:WORD_1
	v_cvt_f32_f16_e32 v4, v4
	v_mov_b32_e32 v1, s8
	v_addc_co_u32_e32 v3, vcc, v1, v3, vcc
	v_pk_add_f32 v[4:5], v[4:5], 0 op_sel_hi:[1,0]
	v_div_scale_f32 v1, s[8:9], v6, v6, v5
	v_rcp_f32_e32 v7, v1
	v_fma_f32 v8, -v1, v7, 1.0
	v_fmac_f32_e32 v7, v8, v7
	v_div_scale_f32 v8, vcc, v5, v6, v5
	v_mul_f32_e32 v9, v8, v7
	v_fma_f32 v10, -v1, v9, v8
	v_fmac_f32_e32 v9, v10, v7
	v_fma_f32 v1, -v1, v9, v8
	v_div_fmas_f32 v1, v1, v7, v9
	v_div_fixup_f32 v5, v1, v6, v5
	v_div_scale_f32 v1, s[8:9], v6, v6, v4
	v_rcp_f32_e32 v7, v1
	v_fma_f32 v8, -v1, v7, 1.0
	v_fmac_f32_e32 v7, v8, v7
	v_div_scale_f32 v8, vcc, v4, v6, v4
	v_mul_f32_e32 v9, v8, v7
	v_fma_f32 v10, -v1, v9, v8
	v_fmac_f32_e32 v9, v10, v7
	v_fma_f32 v1, -v1, v9, v8
	v_div_fmas_f32 v1, v1, v7, v9
	v_div_fixup_f32 v4, v1, v6, v4
	v_mov_b32_e32 v1, 0
	global_store_dwordx2 v[2:3], v[4:5], off
.LBB0_224:                              ;   in Loop: Header=BB0_15 Depth=1
	s_or_b64 exec, exec, s[42:43]
	v_cmp_gt_i32_e32 vcc, 50, v1
	s_mov_b64 s[44:45], -1
	s_and_saveexec_b64 s[42:43], vcc
; %bb.225:                              ;   in Loop: Header=BB0_15 Depth=1
	v_cmp_eq_u32_e32 vcc, 0, v1
	s_orn2_b64 s[44:45], vcc, exec
; %bb.226:                              ;   in Loop: Header=BB0_15 Depth=1
	s_or_b64 exec, exec, s[42:43]
                                        ; implicit-def: $vgpr2_vgpr3
	s_and_saveexec_b64 s[42:43], s[44:45]
	s_cbranch_execz .LBB0_266
; %bb.227:                              ;   in Loop: Header=BB0_15 Depth=1
	v_mov_b32_e32 v1, 50
	s_mov_b64 s[44:45], exec
	v_readlane_b32 s8, v127, 32
	v_readlane_b32 s9, v127, 33
	s_and_b64 s[8:9], s[44:45], s[8:9]
	s_mov_b64 exec, s[8:9]
	s_cbranch_execz .LBB0_229
; %bb.228:                              ;   in Loop: Header=BB0_15 Depth=1
	buffer_load_dword v2, off, s[0:3], 0 offset:268 ; 4-byte Folded Reload
	v_readlane_b32 s8, v126, 48
	v_mul_lo_u32 v1, s8, v89
	v_readlane_b32 s8, v127, 20
	s_waitcnt vmcnt(0)
	ds_read_b32 v6, v2 offset:1284
	ds_read_b32 v4, v59 offset:1152
	v_or_b32_e32 v2, v1, v68
	v_ashrrev_i32_e32 v3, 31, v2
	v_lshlrev_b64 v[2:3], 3, v[2:3]
	v_add_co_u32_e32 v2, vcc, s89, v2
	s_waitcnt lgkmcnt(0)
	v_cvt_f32_f16_sdwa v5, v4 dst_sel:DWORD dst_unused:UNUSED_PAD src0_sel:WORD_1
	v_cvt_f32_f16_e32 v4, v4
	v_mov_b32_e32 v1, s8
	v_addc_co_u32_e32 v3, vcc, v1, v3, vcc
	v_pk_add_f32 v[4:5], v[4:5], 0 op_sel_hi:[1,0]
	v_div_scale_f32 v1, s[8:9], v6, v6, v5
	v_rcp_f32_e32 v7, v1
	v_fma_f32 v8, -v1, v7, 1.0
	v_fmac_f32_e32 v7, v8, v7
	v_div_scale_f32 v8, vcc, v5, v6, v5
	v_mul_f32_e32 v9, v8, v7
	v_fma_f32 v10, -v1, v9, v8
	v_fmac_f32_e32 v9, v10, v7
	v_fma_f32 v1, -v1, v9, v8
	v_div_fmas_f32 v1, v1, v7, v9
	v_div_fixup_f32 v5, v1, v6, v5
	v_div_scale_f32 v1, s[8:9], v6, v6, v4
	v_rcp_f32_e32 v7, v1
	v_fma_f32 v8, -v1, v7, 1.0
	v_fmac_f32_e32 v7, v8, v7
	v_div_scale_f32 v8, vcc, v4, v6, v4
	v_mul_f32_e32 v9, v8, v7
	v_fma_f32 v10, -v1, v9, v8
	v_fmac_f32_e32 v9, v10, v7
	v_fma_f32 v1, -v1, v9, v8
	v_div_fmas_f32 v1, v1, v7, v9
	v_div_fixup_f32 v4, v1, v6, v4
	v_mov_b32_e32 v1, 0
	global_store_dwordx2 v[2:3], v[4:5], off
.LBB0_229:                              ;   in Loop: Header=BB0_15 Depth=1
	s_or_b64 exec, exec, s[44:45]
	v_cmp_gt_i32_e32 vcc, 50, v1
	s_mov_b64 s[58:59], -1
	s_and_saveexec_b64 s[44:45], vcc
; %bb.230:                              ;   in Loop: Header=BB0_15 Depth=1
	v_cmp_eq_u32_e32 vcc, 0, v1
	s_orn2_b64 s[58:59], vcc, exec
; %bb.231:                              ;   in Loop: Header=BB0_15 Depth=1
	s_or_b64 exec, exec, s[44:45]
	s_mov_b64 s[56:57], s[40:41]
                                        ; implicit-def: $vgpr2_vgpr3
	s_and_saveexec_b64 s[44:45], s[58:59]
	s_cbranch_execz .LBB0_265
; %bb.232:                              ;   in Loop: Header=BB0_15 Depth=1
	v_mov_b32_e32 v1, 50
	s_mov_b64 s[56:57], exec
	v_readlane_b32 s8, v127, 34
	v_readlane_b32 s9, v127, 35
	s_and_b64 s[8:9], s[56:57], s[8:9]
	s_mov_b64 exec, s[8:9]
	s_cbranch_execz .LBB0_234
; %bb.233:                              ;   in Loop: Header=BB0_15 Depth=1
	buffer_load_dword v2, off, s[0:3], 0 offset:320 ; 4-byte Folded Reload
	v_readlane_b32 s8, v126, 48
	v_mul_lo_u32 v1, s8, v88
	v_readlane_b32 s8, v127, 20
	s_waitcnt vmcnt(0)
	ds_read_b32 v6, v2 offset:132
	buffer_load_dword v2, off, s[0:3], 0 offset:316 ; 4-byte Folded Reload
	s_waitcnt vmcnt(0)
	ds_read_b32 v4, v2
	v_or_b32_e32 v2, v1, v68
	v_ashrrev_i32_e32 v3, 31, v2
	v_lshlrev_b64 v[2:3], 3, v[2:3]
	v_add_co_u32_e32 v2, vcc, s89, v2
	s_waitcnt lgkmcnt(0)
	v_cvt_f32_f16_sdwa v5, v4 dst_sel:DWORD dst_unused:UNUSED_PAD src0_sel:WORD_1
	v_cvt_f32_f16_e32 v4, v4
	v_mov_b32_e32 v1, s8
	v_addc_co_u32_e32 v3, vcc, v1, v3, vcc
	v_pk_add_f32 v[4:5], v[4:5], 0 op_sel_hi:[1,0]
	v_div_scale_f32 v1, s[8:9], v6, v6, v5
	v_rcp_f32_e32 v7, v1
	v_fma_f32 v8, -v1, v7, 1.0
	v_fmac_f32_e32 v7, v8, v7
	v_div_scale_f32 v8, vcc, v5, v6, v5
	v_mul_f32_e32 v9, v8, v7
	v_fma_f32 v10, -v1, v9, v8
	v_fmac_f32_e32 v9, v10, v7
	v_fma_f32 v1, -v1, v9, v8
	v_div_fmas_f32 v1, v1, v7, v9
	v_div_fixup_f32 v5, v1, v6, v5
	v_div_scale_f32 v1, s[8:9], v6, v6, v4
	v_rcp_f32_e32 v7, v1
	v_fma_f32 v8, -v1, v7, 1.0
	v_fmac_f32_e32 v7, v8, v7
	v_div_scale_f32 v8, vcc, v4, v6, v4
	v_mul_f32_e32 v9, v8, v7
	v_fma_f32 v10, -v1, v9, v8
	v_fmac_f32_e32 v9, v10, v7
	v_fma_f32 v1, -v1, v9, v8
	v_div_fmas_f32 v1, v1, v7, v9
	v_div_fixup_f32 v4, v1, v6, v4
	v_mov_b32_e32 v1, 0
	global_store_dwordx2 v[2:3], v[4:5], off
.LBB0_234:                              ;   in Loop: Header=BB0_15 Depth=1
	s_or_b64 exec, exec, s[56:57]
	v_cmp_gt_i32_e32 vcc, 50, v1
	s_mov_b64 s[60:61], -1
	s_and_saveexec_b64 s[56:57], vcc
; %bb.235:                              ;   in Loop: Header=BB0_15 Depth=1
	v_cmp_eq_u32_e32 vcc, 0, v1
	s_orn2_b64 s[60:61], vcc, exec
; %bb.236:                              ;   in Loop: Header=BB0_15 Depth=1
	s_or_b64 exec, exec, s[56:57]
	s_mov_b64 s[58:59], s[40:41]
                                        ; implicit-def: $vgpr2_vgpr3
	s_and_saveexec_b64 s[56:57], s[60:61]
	s_cbranch_execz .LBB0_264
; %bb.237:                              ;   in Loop: Header=BB0_15 Depth=1
	v_mov_b32_e32 v1, 50
	s_mov_b64 s[58:59], exec
	v_readlane_b32 s8, v127, 36
	v_readlane_b32 s9, v127, 37
	s_and_b64 s[8:9], s[58:59], s[8:9]
	s_mov_b64 exec, s[8:9]
	s_cbranch_execz .LBB0_239
; %bb.238:                              ;   in Loop: Header=BB0_15 Depth=1
	buffer_load_dword v2, off, s[0:3], 0 offset:268 ; 4-byte Folded Reload
	v_readlane_b32 s8, v126, 48
	v_mul_lo_u32 v1, s8, v87
	v_readlane_b32 s8, v127, 20
	s_waitcnt vmcnt(0)
	ds_read_b32 v6, v2 offset:3588
	ds_read_b32 v4, v59 offset:3456
	v_or_b32_e32 v2, v1, v68
	v_ashrrev_i32_e32 v3, 31, v2
	v_lshlrev_b64 v[2:3], 3, v[2:3]
	v_add_co_u32_e32 v2, vcc, s89, v2
	s_waitcnt lgkmcnt(0)
	v_cvt_f32_f16_sdwa v5, v4 dst_sel:DWORD dst_unused:UNUSED_PAD src0_sel:WORD_1
	v_cvt_f32_f16_e32 v4, v4
	v_mov_b32_e32 v1, s8
	v_addc_co_u32_e32 v3, vcc, v1, v3, vcc
	v_pk_add_f32 v[4:5], v[4:5], 0 op_sel_hi:[1,0]
	v_div_scale_f32 v1, s[8:9], v6, v6, v5
	v_rcp_f32_e32 v7, v1
	v_fma_f32 v8, -v1, v7, 1.0
	v_fmac_f32_e32 v7, v8, v7
	v_div_scale_f32 v8, vcc, v5, v6, v5
	v_mul_f32_e32 v9, v8, v7
	v_fma_f32 v10, -v1, v9, v8
	v_fmac_f32_e32 v9, v10, v7
	v_fma_f32 v1, -v1, v9, v8
	v_div_fmas_f32 v1, v1, v7, v9
	v_div_fixup_f32 v5, v1, v6, v5
	v_div_scale_f32 v1, s[8:9], v6, v6, v4
	v_rcp_f32_e32 v7, v1
	v_fma_f32 v8, -v1, v7, 1.0
	v_fmac_f32_e32 v7, v8, v7
	v_div_scale_f32 v8, vcc, v4, v6, v4
	v_mul_f32_e32 v9, v8, v7
	v_fma_f32 v10, -v1, v9, v8
	v_fmac_f32_e32 v9, v10, v7
	v_fma_f32 v1, -v1, v9, v8
	v_div_fmas_f32 v1, v1, v7, v9
	v_div_fixup_f32 v4, v1, v6, v4
	v_mov_b32_e32 v1, 0
	global_store_dwordx2 v[2:3], v[4:5], off
.LBB0_239:                              ;   in Loop: Header=BB0_15 Depth=1
	s_or_b64 exec, exec, s[58:59]
	v_cmp_gt_i32_e32 vcc, 50, v1
	s_mov_b64 s[62:63], -1
	s_and_saveexec_b64 s[58:59], vcc
; %bb.240:                              ;   in Loop: Header=BB0_15 Depth=1
	v_cmp_eq_u32_e32 vcc, 0, v1
	s_orn2_b64 s[62:63], vcc, exec
; %bb.241:                              ;   in Loop: Header=BB0_15 Depth=1
	s_or_b64 exec, exec, s[58:59]
	s_mov_b64 s[60:61], s[40:41]
                                        ; implicit-def: $vgpr2_vgpr3
	s_and_saveexec_b64 s[58:59], s[62:63]
	s_cbranch_execz .LBB0_263
; %bb.242:                              ;   in Loop: Header=BB0_15 Depth=1
	v_mov_b32_e32 v1, 50
	s_mov_b64 s[60:61], exec
	v_readlane_b32 s8, v127, 38
	v_readlane_b32 s9, v127, 39
	s_and_b64 s[8:9], s[60:61], s[8:9]
	s_mov_b64 exec, s[8:9]
	s_cbranch_execz .LBB0_244
; %bb.243:                              ;   in Loop: Header=BB0_15 Depth=1
	buffer_load_dword v2, off, s[0:3], 0 offset:332 ; 4-byte Folded Reload
	v_readlane_b32 s8, v126, 48
	v_mul_lo_u32 v1, s8, v86
	v_readlane_b32 s8, v127, 20
	s_waitcnt vmcnt(0)
	ds_read_b32 v6, v2 offset:132
	buffer_load_dword v2, off, s[0:3], 0 offset:328 ; 4-byte Folded Reload
	s_waitcnt vmcnt(0)
	ds_read_b32 v4, v2
	v_or_b32_e32 v2, v1, v68
	v_ashrrev_i32_e32 v3, 31, v2
	v_lshlrev_b64 v[2:3], 3, v[2:3]
	v_add_co_u32_e32 v2, vcc, s89, v2
	s_waitcnt lgkmcnt(0)
	v_cvt_f32_f16_sdwa v5, v4 dst_sel:DWORD dst_unused:UNUSED_PAD src0_sel:WORD_1
	v_cvt_f32_f16_e32 v4, v4
	v_mov_b32_e32 v1, s8
	v_addc_co_u32_e32 v3, vcc, v1, v3, vcc
	v_pk_add_f32 v[4:5], v[4:5], 0 op_sel_hi:[1,0]
	v_div_scale_f32 v1, s[8:9], v6, v6, v5
	v_rcp_f32_e32 v7, v1
	v_fma_f32 v8, -v1, v7, 1.0
	v_fmac_f32_e32 v7, v8, v7
	v_div_scale_f32 v8, vcc, v5, v6, v5
	v_mul_f32_e32 v9, v8, v7
	v_fma_f32 v10, -v1, v9, v8
	v_fmac_f32_e32 v9, v10, v7
	v_fma_f32 v1, -v1, v9, v8
	v_div_fmas_f32 v1, v1, v7, v9
	v_div_fixup_f32 v5, v1, v6, v5
	v_div_scale_f32 v1, s[8:9], v6, v6, v4
	v_rcp_f32_e32 v7, v1
	v_fma_f32 v8, -v1, v7, 1.0
	v_fmac_f32_e32 v7, v8, v7
	v_div_scale_f32 v8, vcc, v4, v6, v4
	v_mul_f32_e32 v9, v8, v7
	v_fma_f32 v10, -v1, v9, v8
	v_fmac_f32_e32 v9, v10, v7
	v_fma_f32 v1, -v1, v9, v8
	v_div_fmas_f32 v1, v1, v7, v9
	v_div_fixup_f32 v4, v1, v6, v4
	v_mov_b32_e32 v1, 0
	global_store_dwordx2 v[2:3], v[4:5], off
.LBB0_244:                              ;   in Loop: Header=BB0_15 Depth=1
	s_or_b64 exec, exec, s[60:61]
	v_cmp_gt_i32_e32 vcc, 50, v1
	s_mov_b64 s[64:65], -1
	s_and_saveexec_b64 s[60:61], vcc
; %bb.245:                              ;   in Loop: Header=BB0_15 Depth=1
	v_cmp_eq_u32_e32 vcc, 0, v1
	s_orn2_b64 s[64:65], vcc, exec
; %bb.246:                              ;   in Loop: Header=BB0_15 Depth=1
	s_or_b64 exec, exec, s[60:61]
	s_mov_b64 s[62:63], s[40:41]
                                        ; implicit-def: $vgpr2_vgpr3
	s_and_saveexec_b64 s[60:61], s[64:65]
	s_cbranch_execz .LBB0_262
; %bb.247:                              ;   in Loop: Header=BB0_15 Depth=1
	v_mov_b32_e32 v1, 50
	s_mov_b64 s[62:63], exec
	v_readlane_b32 s8, v127, 40
	v_readlane_b32 s9, v127, 41
	s_and_b64 s[8:9], s[62:63], s[8:9]
	s_mov_b64 exec, s[8:9]
	s_cbranch_execz .LBB0_249
; %bb.248:                              ;   in Loop: Header=BB0_15 Depth=1
	buffer_load_dword v2, off, s[0:3], 0 offset:268 ; 4-byte Folded Reload
	v_readlane_b32 s8, v126, 48
	v_mul_lo_u32 v1, s8, v85
	v_readlane_b32 s8, v127, 20
	s_waitcnt vmcnt(0)
	ds_read_b32 v6, v2 offset:5892
	ds_read_b32 v4, v59 offset:5760
	v_or_b32_e32 v2, v1, v68
	v_ashrrev_i32_e32 v3, 31, v2
	v_lshlrev_b64 v[2:3], 3, v[2:3]
	v_add_co_u32_e32 v2, vcc, s89, v2
	s_waitcnt lgkmcnt(0)
	v_cvt_f32_f16_sdwa v5, v4 dst_sel:DWORD dst_unused:UNUSED_PAD src0_sel:WORD_1
	v_cvt_f32_f16_e32 v4, v4
	v_mov_b32_e32 v1, s8
	v_addc_co_u32_e32 v3, vcc, v1, v3, vcc
	v_pk_add_f32 v[4:5], v[4:5], 0 op_sel_hi:[1,0]
	v_div_scale_f32 v1, s[8:9], v6, v6, v5
	v_rcp_f32_e32 v7, v1
	v_fma_f32 v8, -v1, v7, 1.0
	v_fmac_f32_e32 v7, v8, v7
	v_div_scale_f32 v8, vcc, v5, v6, v5
	v_mul_f32_e32 v9, v8, v7
	v_fma_f32 v10, -v1, v9, v8
	v_fmac_f32_e32 v9, v10, v7
	v_fma_f32 v1, -v1, v9, v8
	v_div_fmas_f32 v1, v1, v7, v9
	v_div_fixup_f32 v5, v1, v6, v5
	v_div_scale_f32 v1, s[8:9], v6, v6, v4
	v_rcp_f32_e32 v7, v1
	v_fma_f32 v8, -v1, v7, 1.0
	v_fmac_f32_e32 v7, v8, v7
	v_div_scale_f32 v8, vcc, v4, v6, v4
	v_mul_f32_e32 v9, v8, v7
	v_fma_f32 v10, -v1, v9, v8
	v_fmac_f32_e32 v9, v10, v7
	v_fma_f32 v1, -v1, v9, v8
	v_div_fmas_f32 v1, v1, v7, v9
	v_div_fixup_f32 v4, v1, v6, v4
	v_mov_b32_e32 v1, 0
	global_store_dwordx2 v[2:3], v[4:5], off
.LBB0_249:                              ;   in Loop: Header=BB0_15 Depth=1
	s_or_b64 exec, exec, s[62:63]
	v_cmp_gt_i32_e32 vcc, 50, v1
	s_mov_b64 s[66:67], -1
	s_and_saveexec_b64 s[62:63], vcc
; %bb.250:                              ;   in Loop: Header=BB0_15 Depth=1
	v_cmp_eq_u32_e32 vcc, 0, v1
	s_orn2_b64 s[66:67], vcc, exec
; %bb.251:                              ;   in Loop: Header=BB0_15 Depth=1
	s_or_b64 exec, exec, s[62:63]
	s_mov_b64 s[64:65], s[40:41]
                                        ; implicit-def: $vgpr2_vgpr3
	s_and_saveexec_b64 s[62:63], s[66:67]
	s_cbranch_execz .LBB0_261
; %bb.252:                              ;   in Loop: Header=BB0_15 Depth=1
	v_mov_b32_e32 v1, 50
	s_mov_b64 s[64:65], exec
	v_readlane_b32 s8, v127, 42
	v_readlane_b32 s9, v127, 43
	s_and_b64 s[8:9], s[64:65], s[8:9]
	s_mov_b64 exec, s[8:9]
	s_cbranch_execz .LBB0_254
; %bb.253:                              ;   in Loop: Header=BB0_15 Depth=1
	buffer_load_dword v2, off, s[0:3], 0 offset:340 ; 4-byte Folded Reload
	v_readlane_b32 s8, v126, 48
	v_mul_lo_u32 v1, s8, v84
	v_readlane_b32 s8, v127, 20
	s_waitcnt vmcnt(0)
	ds_read_b32 v6, v2 offset:132
	buffer_load_dword v2, off, s[0:3], 0 offset:336 ; 4-byte Folded Reload
	s_waitcnt vmcnt(0)
	ds_read_b32 v4, v2
	v_or_b32_e32 v2, v1, v68
	v_ashrrev_i32_e32 v3, 31, v2
	v_lshlrev_b64 v[2:3], 3, v[2:3]
	v_add_co_u32_e32 v2, vcc, s89, v2
	s_waitcnt lgkmcnt(0)
	v_cvt_f32_f16_sdwa v5, v4 dst_sel:DWORD dst_unused:UNUSED_PAD src0_sel:WORD_1
	v_cvt_f32_f16_e32 v4, v4
	v_mov_b32_e32 v1, s8
	v_addc_co_u32_e32 v3, vcc, v1, v3, vcc
	v_pk_add_f32 v[4:5], v[4:5], 0 op_sel_hi:[1,0]
	v_div_scale_f32 v1, s[8:9], v6, v6, v5
	v_rcp_f32_e32 v7, v1
	v_fma_f32 v8, -v1, v7, 1.0
	v_fmac_f32_e32 v7, v8, v7
	v_div_scale_f32 v8, vcc, v5, v6, v5
	v_mul_f32_e32 v9, v8, v7
	v_fma_f32 v10, -v1, v9, v8
	v_fmac_f32_e32 v9, v10, v7
	v_fma_f32 v1, -v1, v9, v8
	v_div_fmas_f32 v1, v1, v7, v9
	v_div_fixup_f32 v5, v1, v6, v5
	v_div_scale_f32 v1, s[8:9], v6, v6, v4
	v_rcp_f32_e32 v7, v1
	v_fma_f32 v8, -v1, v7, 1.0
	v_fmac_f32_e32 v7, v8, v7
	v_div_scale_f32 v8, vcc, v4, v6, v4
	v_mul_f32_e32 v9, v8, v7
	v_fma_f32 v10, -v1, v9, v8
	v_fmac_f32_e32 v9, v10, v7
	v_fma_f32 v1, -v1, v9, v8
	v_div_fmas_f32 v1, v1, v7, v9
	v_div_fixup_f32 v4, v1, v6, v4
	v_mov_b32_e32 v1, 0
	global_store_dwordx2 v[2:3], v[4:5], off
.LBB0_254:                              ;   in Loop: Header=BB0_15 Depth=1
	s_or_b64 exec, exec, s[64:65]
	v_cmp_gt_i32_e32 vcc, 50, v1
	s_mov_b64 s[68:69], -1
	s_and_saveexec_b64 s[64:65], vcc
; %bb.255:                              ;   in Loop: Header=BB0_15 Depth=1
	v_cmp_eq_u32_e32 vcc, 0, v1
	s_orn2_b64 s[68:69], vcc, exec
; %bb.256:                              ;   in Loop: Header=BB0_15 Depth=1
	s_or_b64 exec, exec, s[64:65]
	s_mov_b64 s[66:67], s[40:41]
                                        ; implicit-def: $vgpr2_vgpr3
	s_and_saveexec_b64 s[64:65], s[68:69]
	s_cbranch_execz .LBB0_260
; %bb.257:                              ;   in Loop: Header=BB0_15 Depth=1
	s_mov_b64 s[68:69], s[40:41]
                                        ; implicit-def: $vgpr2_vgpr3
	s_mov_b64 s[66:67], exec
	v_readlane_b32 s8, v127, 44
	v_readlane_b32 s9, v127, 45
	s_and_b64 s[8:9], s[66:67], s[8:9]
	s_mov_b64 exec, s[8:9]
	s_cbranch_execz .LBB0_259
; %bb.258:                              ;   in Loop: Header=BB0_15 Depth=1
	buffer_load_dword v1, off, s[0:3], 0 offset:268 ; 4-byte Folded Reload
	s_or_b64 s[68:69], s[40:41], exec
	s_waitcnt vmcnt(0)
	ds_read_b32 v1, v1 offset:8196
	ds_read_b32 v2, v59 offset:8064
	s_waitcnt lgkmcnt(0)
	v_cvt_f32_f16_sdwa v3, v2 dst_sel:DWORD dst_unused:UNUSED_PAD src0_sel:WORD_1
	v_cvt_f32_f16_e32 v2, v2
	v_pk_add_f32 v[2:3], v[2:3], 0 op_sel_hi:[1,0]
	v_div_scale_f32 v4, s[8:9], v1, v1, v3
	v_rcp_f32_e32 v5, v4
	v_fma_f32 v6, -v4, v5, 1.0
	v_fmac_f32_e32 v5, v6, v5
	v_div_scale_f32 v6, vcc, v3, v1, v3
	v_mul_f32_e32 v7, v6, v5
	v_fma_f32 v8, -v4, v7, v6
	v_fmac_f32_e32 v7, v8, v5
	v_fma_f32 v4, -v4, v7, v6
	v_div_fmas_f32 v4, v4, v5, v7
	v_div_fixup_f32 v3, v4, v1, v3
	v_div_scale_f32 v4, s[8:9], v1, v1, v2
	v_rcp_f32_e32 v5, v4
	v_fma_f32 v6, -v4, v5, 1.0
	v_fmac_f32_e32 v5, v6, v5
	v_div_scale_f32 v6, vcc, v2, v1, v2
	v_mul_f32_e32 v7, v6, v5
	v_fma_f32 v8, -v4, v7, v6
	v_fmac_f32_e32 v7, v8, v5
	v_fma_f32 v4, -v4, v7, v6
	v_div_fmas_f32 v4, v4, v5, v7
	v_div_fixup_f32 v2, v4, v1, v2
.LBB0_259:                              ;   in Loop: Header=BB0_15 Depth=1
	s_or_b64 exec, exec, s[66:67]
	s_andn2_b64 s[8:9], s[40:41], exec
	s_and_b64 s[66:67], s[68:69], exec
	s_or_b64 s[66:67], s[8:9], s[66:67]
.LBB0_260:                              ;   in Loop: Header=BB0_15 Depth=1
	s_or_b64 exec, exec, s[64:65]
	s_andn2_b64 s[8:9], s[40:41], exec
	s_and_b64 s[64:65], s[66:67], exec
	s_or_b64 s[64:65], s[8:9], s[64:65]
.LBB0_261:                              ;   in Loop: Header=BB0_15 Depth=1
	s_or_b64 exec, exec, s[62:63]
	s_andn2_b64 s[8:9], s[40:41], exec
	s_and_b64 s[62:63], s[64:65], exec
	s_or_b64 s[62:63], s[8:9], s[62:63]
.LBB0_262:                              ;   in Loop: Header=BB0_15 Depth=1
	s_or_b64 exec, exec, s[60:61]
	s_andn2_b64 s[8:9], s[40:41], exec
	s_and_b64 s[60:61], s[62:63], exec
	s_or_b64 s[60:61], s[8:9], s[60:61]
.LBB0_263:                              ;   in Loop: Header=BB0_15 Depth=1
	s_or_b64 exec, exec, s[58:59]
	s_andn2_b64 s[8:9], s[40:41], exec
	s_and_b64 s[58:59], s[60:61], exec
	s_or_b64 s[58:59], s[8:9], s[58:59]
.LBB0_264:                              ;   in Loop: Header=BB0_15 Depth=1
	s_or_b64 exec, exec, s[56:57]
	s_andn2_b64 s[8:9], s[40:41], exec
	s_and_b64 s[56:57], s[58:59], exec
	s_or_b64 s[56:57], s[8:9], s[56:57]
.LBB0_265:                              ;   in Loop: Header=BB0_15 Depth=1
	s_or_b64 exec, exec, s[44:45]
	s_andn2_b64 s[8:9], s[40:41], exec
	s_and_b64 s[40:41], s[56:57], exec
	s_or_b64 s[40:41], s[8:9], s[40:41]
.LBB0_266:                              ;   in Loop: Header=BB0_15 Depth=1
	s_or_b64 exec, exec, s[42:43]
.LBB0_267:                              ;   in Loop: Header=BB0_15 Depth=1
	s_and_saveexec_b64 s[42:43], s[40:41]
	s_cbranch_execz .LBB0_14
; %bb.268:                              ;   in Loop: Header=BB0_15 Depth=1
	v_readlane_b32 s8, v126, 48
	s_waitcnt vmcnt(0)
	v_mul_lo_u32 v1, s8, v60
	v_or_b32_e32 v4, v1, v68
	v_ashrrev_i32_e32 v5, 31, v4
	v_lshlrev_b64 v[4:5], 3, v[4:5]
	v_readlane_b32 s8, v127, 20
	v_mov_b32_e32 v1, s8
	v_add_co_u32_e32 v4, vcc, s89, v4
	v_addc_co_u32_e32 v5, vcc, v1, v5, vcc
	global_store_dwordx2 v[4:5], v[2:3], off
	s_branch .LBB0_14
.LBB0_269:
	v_readlane_b32 s22, v126, 58
	v_readlane_b32 s16, v126, 38
	;; [unrolled: 1-line block ×7, first 2 shown]
	s_andn2_b64 vcc, exec, s[40:41]
	s_cbranch_vccnz .LBB0_12
.LBB0_270:
	v_readlane_b32 s10, v126, 7
	s_abs_i32 s4, s10
	v_cvt_f32_u32_e32 v0, s4
	s_sub_i32 s7, 0, s4
	s_abs_i32 s6, s42
	s_xor_b32 s5, s42, s10
	v_rcp_iflag_f32_e32 v0, v0
	s_ashr_i32 s5, s5, 31
	v_readlane_b32 s14, v126, 6
	v_readlane_b32 s11, v126, 3
	v_mul_f32_e32 v0, 0x4f7ffffe, v0
	v_cvt_u32_f32_e32 v0, v0
	v_readfirstlane_b32 s8, v0
	s_mul_i32 s7, s7, s8
	s_mul_hi_u32 s7, s8, s7
	s_add_i32 s8, s8, s7
	s_mul_hi_u32 s7, s6, s8
	s_mul_i32 s8, s7, s4
	s_sub_i32 s6, s6, s8
	s_add_i32 s9, s7, 1
	s_sub_i32 s8, s6, s4
	s_cmp_ge_u32 s6, s4
	s_cselect_b32 s7, s9, s7
	s_cselect_b32 s6, s8, s6
	s_add_i32 s8, s7, 1
	s_cmp_ge_u32 s6, s4
	s_cselect_b32 s4, s8, s7
	s_abs_i32 s6, s14
	v_cvt_f32_u32_e32 v0, s6
	s_xor_b32 s4, s4, s5
	s_sub_i32 s7, 0, s6
	s_sub_i32 s12, s4, s5
	v_rcp_iflag_f32_e32 v0, v0
	s_mul_i32 s4, s12, s10
	s_sub_i32 s4, s42, s4
	s_abs_i32 s8, s4
	v_mul_f32_e32 v0, 0x4f7ffffe, v0
	v_cvt_u32_f32_e32 v0, v0
	s_xor_b32 s5, s4, s14
	s_ashr_i32 s5, s5, 31
	s_mov_b64 s[42:43], 0
	v_readfirstlane_b32 s9, v0
	s_mul_i32 s7, s7, s9
	s_mul_hi_u32 s7, s9, s7
	s_add_i32 s9, s9, s7
	s_mul_hi_u32 s7, s8, s9
	s_mul_i32 s9, s7, s6
	s_sub_i32 s8, s8, s9
	s_add_i32 s10, s7, 1
	s_sub_i32 s9, s8, s6
	s_cmp_ge_u32 s8, s6
	s_cselect_b32 s7, s10, s7
	s_cselect_b32 s8, s9, s8
	s_add_i32 s9, s7, 1
	s_cmp_ge_u32 s8, s6
	s_cselect_b32 s6, s9, s7
	s_abs_i32 s7, s11
	v_cvt_f32_u32_e32 v0, s7
	s_xor_b32 s6, s6, s5
	s_sub_i32 s8, 0, s7
	s_sub_i32 s13, s6, s5
	v_rcp_iflag_f32_e32 v0, v0
	s_mul_i32 s5, s13, s14
	s_sub_i32 s5, s4, s5
	s_abs_i32 s6, s5
	v_mul_f32_e32 v0, 0x4f7ffffe, v0
	v_cvt_u32_f32_e32 v0, v0
	s_xor_b32 s4, s5, s11
	s_ashr_i32 s4, s4, 31
	v_readfirstlane_b32 s9, v0
	s_mul_i32 s8, s8, s9
	s_mul_hi_u32 s8, s9, s8
	s_add_i32 s9, s9, s8
	s_mul_hi_u32 s8, s6, s9
	s_mul_i32 s9, s8, s7
	s_sub_i32 s6, s6, s9
	s_add_i32 s10, s8, 1
	s_sub_i32 s9, s6, s7
	s_cmp_ge_u32 s6, s7
	s_cselect_b32 s8, s10, s8
	s_cselect_b32 s6, s9, s6
	s_add_i32 s9, s8, 1
	s_cmp_ge_u32 s6, s7
	s_cselect_b32 s6, s9, s8
	s_xor_b32 s6, s6, s4
	s_sub_i32 s4, s6, s4
	s_mul_i32 s6, s4, s11
	s_sub_i32 s5, s5, s6
	s_abs_i32 s9, s5
	v_readlane_b32 s6, v126, 30
	s_ashr_i32 s14, s12, 31
	s_mul_hi_u32 s8, s9, s6
	s_cmp_eq_u64 s[78:79], 0
	s_cbranch_scc1 .LBB0_272
; %bb.271:
	s_abs_i32 s6, s22
	v_cvt_f32_u32_e32 v0, s6
	s_sub_i32 s10, 0, s6
	s_abs_i32 s7, s12
	v_readlane_b32 s20, v126, 21
	v_rcp_iflag_f32_e32 v0, v0
	v_readlane_b32 s21, v126, 22
	v_mul_f32_e32 v0, 0x4f7ffffe, v0
	v_cvt_u32_f32_e32 v0, v0
	v_readfirstlane_b32 s11, v0
	s_mul_i32 s10, s10, s11
	s_mul_hi_u32 s10, s11, s10
	s_add_i32 s11, s11, s10
	s_mul_hi_u32 s10, s7, s11
	s_mul_i32 s10, s10, s6
	s_sub_i32 s7, s7, s10
	s_sub_i32 s10, s7, s6
	s_cmp_ge_u32 s7, s6
	s_cselect_b32 s7, s10, s7
	s_sub_i32 s10, s7, s6
	s_cmp_ge_u32 s7, s6
	s_cselect_b32 s6, s10, s7
	s_xor_b32 s6, s6, s14
	s_sub_i32 s6, s6, s14
	s_ashr_i32 s7, s6, 31
	s_mul_i32 s10, s6, s21
	s_mul_hi_u32 s11, s6, s20
	s_add_i32 s10, s11, s10
	s_mul_i32 s7, s7, s20
	s_add_i32 s10, s10, s7
	s_mul_i32 s6, s6, s20
	s_add_u32 s42, s78, s6
	s_addc_u32 s43, s79, s10
.LBB0_272:
	s_ashr_i32 s16, s5, 31
	v_readlane_b32 s5, v126, 2
	s_mul_i32 s15, s13, s5
	s_add_i32 s15, s15, s4
	v_cmp_le_f32_e64 s[4:5], s17, 0
	s_and_b64 vcc, exec, s[4:5]
	v_mov_b32_e32 v36, 1.0
	s_cbranch_vccnz .LBB0_274
; %bb.273:
	v_readlane_b32 s5, v126, 18
	s_sub_i32 s4, s15, s5
	s_lshl_b32 s4, s4, 1
	s_add_i32 s6, s15, 1
	s_or_b32 s7, s4, 1
	s_cmp_lt_u32 s15, s5
	s_cselect_b64 vcc, -1, 0
	s_and_b64 s[4:5], vcc, exec
	v_mov_b32_e32 v0, s19
	v_mov_b32_e32 v1, s18
	s_cselect_b32 s4, s6, s7
	v_cndmask_b32_e32 v16, v0, v1, vcc
	v_cvt_f32_i32_e32 v0, s4
	v_cmp_neq_f32_e32 vcc, 1.0, v16
	s_mov_b32 s4, 0x3f2aaaab
	s_movk_i32 s6, 0x204
	v_cndmask_b32_e32 v17, 1.0, v0, vcc
	v_cmp_eq_f32_e32 vcc, 0, v17
	v_cndmask_b32_e64 v18, |v16|, 1.0, vcc
	v_frexp_mant_f32_e32 v0, v18
	v_cmp_gt_f32_e64 s[4:5], s4, v0
	v_cndmask_b32_e64 v1, 1.0, 2.0, s[4:5]
	v_mul_f32_e32 v0, v0, v1
	v_add_f32_e32 v3, 1.0, v0
	v_rcp_f32_e32 v8, v3
	v_add_f32_e32 v1, -1.0, v3
	v_sub_f32_e32 v5, v0, v1
	v_add_f32_e32 v1, -1.0, v0
	v_mul_f32_e32 v9, v1, v8
	v_mul_f32_e32 v2, v3, v9
	v_fma_f32 v4, v9, v3, -v2
	v_fmac_f32_e32 v4, v9, v5
	v_add_f32_e32 v0, v2, v4
	v_sub_f32_e32 v3, v1, v0
	v_pk_add_f32 v[6:7], v[0:1], v[2:3] neg_lo:[0,1] neg_hi:[0,1]
	v_mov_b32_e32 v5, v0
	v_pk_add_f32 v[0:1], v[6:7], v[4:5] neg_lo:[0,1] neg_hi:[0,1]
	v_add_f32_e32 v0, v0, v1
	v_add_f32_e32 v0, v3, v0
	v_mul_f32_e32 v1, v8, v0
	v_add_f32_e32 v0, v9, v1
	v_sub_f32_e32 v2, v0, v9
	v_sub_f32_e32 v10, v1, v2
	v_mul_f32_e32 v1, v0, v0
	v_fma_f32 v3, v0, v0, -v1
	v_add_f32_e32 v2, v10, v10
	v_fmac_f32_e32 v3, v0, v2
	v_add_f32_e32 v2, v1, v3
	v_mov_b32_e32 v4, 0x3e91f4c4
	v_fmac_f32_e32 v4, 0x3e76c4e1, v2
	v_mov_b32_e32 v5, 0x3ecccdef
	v_fmac_f32_e32 v5, v2, v4
	v_sub_f32_e32 v1, v2, v1
	v_sub_f32_e32 v11, v3, v1
	v_mul_f32_e32 v1, v2, v5
	v_fma_f32 v3, v2, v5, -v1
	v_fmac_f32_e32 v3, v11, v5
	v_add_f32_e32 v4, v1, v3
	v_add_f32_e32 v5, 0x3f2aaaaa, v4
	v_sub_f32_e32 v1, v4, v1
	v_sub_f32_e32 v1, v3, v1
	v_add_f32_e32 v3, 0xbf2aaaaa, v5
	v_add_f32_e32 v1, 0x31739010, v1
	v_sub_f32_e32 v3, v4, v3
	v_pk_mul_f32 v[6:7], v[0:1], v[2:3]
	v_fma_f32 v4, v2, v0, -v6
	v_pk_add_f32 v[8:9], v[0:1], v[2:3]
	v_fmac_f32_e32 v4, v2, v10
	v_mov_b32_e32 v7, v9
	v_fmac_f32_e32 v4, v11, v0
	v_pk_add_f32 v[2:3], v[6:7], v[4:5]
	v_sub_f32_e32 v1, v2, v6
	v_sub_f32_e32 v1, v4, v1
	;; [unrolled: 1-line block ×3, first 2 shown]
	v_add_f32_e32 v7, v9, v4
	v_mov_b32_e32 v4, v3
	v_pk_mul_f32 v[4:5], v[2:3], v[4:5]
	v_cvt_f64_f32_e32 v[8:9], v18
	v_frexp_exp_i32_f64_e32 v5, v[8:9]
	v_subbrev_co_u32_e64 v5, s[4:5], 0, v5, s[4:5]
	v_cvt_f32_i32_e32 v5, v5
	v_fma_f32 v6, v2, v3, -v4
	v_fmac_f32_e32 v6, v2, v7
	s_mov_b32 s4, 0x3f317218
	v_mul_f32_e32 v2, 0x3f317218, v5
	v_fmac_f32_e32 v6, v1, v3
	v_fma_f32 v8, v5, s4, -v2
	v_fmac_f32_e32 v8, 0xb102e308, v5
	v_ldexp_f32 v9, v0, 1
	v_add_f32_e32 v3, v4, v6
	v_pk_add_f32 v[0:1], v[2:3], v[8:9]
	v_ldexp_f32 v12, v10, 1
	v_mov_b32_e32 v10, v3
	v_mov_b32_e32 v11, v1
	;; [unrolled: 1-line block ×3, first 2 shown]
	v_pk_add_f32 v[4:5], v[10:11], v[4:5] neg_lo:[0,1] neg_hi:[0,1]
	v_mov_b32_e32 v7, v3
	v_pk_add_f32 v[4:5], v[6:7], v[4:5] neg_lo:[0,1] neg_hi:[0,1]
	v_add_f32_e32 v3, v12, v4
	v_add_f32_e32 v3, v3, v5
	v_pk_add_f32 v[4:5], v[0:1], v[2:3] neg_lo:[0,1] neg_hi:[0,1]
	v_pk_add_f32 v[6:7], v[0:1], v[2:3]
	v_mov_b32_e32 v10, v4
	v_mov_b32_e32 v11, v7
	;; [unrolled: 1-line block ×3, first 2 shown]
	v_pk_add_f32 v[10:11], v[8:9], v[10:11]
	v_mov_b32_e32 v2, v11
	v_pk_add_f32 v[12:13], v[2:3], v[0:1] neg_lo:[0,1] neg_hi:[0,1]
	v_mov_b32_e32 v13, v12
	v_mov_b32_e32 v10, v7
	;; [unrolled: 1-line block ×4, first 2 shown]
	v_pk_add_f32 v[4:5], v[8:9], v[4:5] neg_lo:[0,1] neg_hi:[0,1]
	v_pk_add_f32 v[14:15], v[6:7], v[12:13] neg_lo:[0,1] neg_hi:[0,1]
	;; [unrolled: 1-line block ×3, first 2 shown]
	v_mov_b32_e32 v8, v3
	v_pk_add_f32 v[0:1], v[8:9], v[0:1] neg_lo:[0,1] neg_hi:[0,1]
	v_mov_b32_e32 v14, v4
	v_pk_add_f32 v[6:7], v[14:15], v[0:1]
	v_mov_b32_e32 v8, v7
	v_pk_add_f32 v[8:9], v[6:7], v[8:9]
	v_pk_add_f32 v[2:3], v[2:3], v[8:9]
	v_mov_b32_e32 v5, v11
	v_mov_b32_e32 v7, v2
	v_pk_add_f32 v[10:11], v[6:7], v[4:5] neg_lo:[0,1] neg_hi:[0,1]
	v_mov_b32_e32 v1, v8
	v_sub_f32_e32 v3, v6, v10
	v_pk_add_f32 v[0:1], v[0:1], v[10:11] neg_lo:[0,1] neg_hi:[0,1]
	v_sub_f32_e32 v3, v4, v3
	v_add_f32_e32 v0, v0, v3
	v_add_f32_e32 v0, v0, v1
	;; [unrolled: 1-line block ×3, first 2 shown]
	v_sub_f32_e32 v2, v1, v2
	v_sub_f32_e32 v0, v0, v2
	v_mul_f32_e32 v2, v17, v1
	v_fma_f32 v1, v17, v1, -v2
	v_fmac_f32_e32 v1, v17, v0
	v_add_f32_e32 v0, v2, v1
	v_cmp_class_f32_e64 s[4:5], v2, s6
	v_sub_f32_e32 v3, v0, v2
	v_cndmask_b32_e64 v0, v0, v2, s[4:5]
	s_mov_b32 s10, 0x42b17218
	v_mov_b32_e32 v2, 0x37000000
	v_cmp_eq_f32_e64 s[4:5], s10, v0
	v_cndmask_b32_e64 v2, 0, v2, s[4:5]
	v_sub_f32_e32 v1, v1, v3
	v_sub_f32_e32 v3, v0, v2
	s_mov_b32 s4, 0x3fb8aa3b
	v_mul_f32_e32 v4, 0x3fb8aa3b, v3
	v_fma_f32 v5, v3, s4, -v4
	v_rndne_f32_e32 v6, v4
	v_fmac_f32_e32 v5, 0x32a5705f, v3
	v_sub_f32_e32 v4, v4, v6
	v_add_f32_e32 v4, v4, v5
	v_exp_f32_e32 v4, v4
	v_cvt_i32_f32_e32 v5, v6
	s_mov_b32 s7, 0x7f800000
	v_cmp_neq_f32_e64 s[4:5], |v0|, s7
	v_cndmask_b32_e64 v0, 0, v1, s[4:5]
	s_mov_b32 s4, 0xc2ce8ed0
	v_ldexp_f32 v1, v4, v5
	v_cmp_ngt_f32_e64 s[4:5], s4, v3
	v_add_f32_e32 v0, v2, v0
	v_cndmask_b32_e64 v1, 0, v1, s[4:5]
	v_mov_b32_e32 v2, 0x7f800000
	v_cmp_nlt_f32_e64 s[4:5], s10, v3
	v_cndmask_b32_e64 v1, v2, v1, s[4:5]
	v_fma_f32 v0, v1, v0, v1
	v_cmp_class_f32_e64 s[4:5], v1, s6
	v_trunc_f32_e32 v3, v17
	v_cndmask_b32_e64 v0, v0, v1, s[4:5]
	v_cndmask_b32_e64 v1, v16, 1.0, vcc
	v_cmp_eq_f32_e32 vcc, v3, v17
	v_mul_f32_e32 v3, 0.5, v17
	v_trunc_f32_e32 v5, v3
	v_cmp_neq_f32_e64 s[4:5], v5, v3
	s_and_b64 s[4:5], vcc, s[4:5]
	v_cndmask_b32_e64 v3, 1.0, v1, s[4:5]
	s_brev_b32 s17, -2
	v_mov_b32_e32 v4, 0x7fc00000
	v_bfi_b32 v0, s17, v0, v3
	v_cndmask_b32_e32 v3, v4, v0, vcc
	v_cmp_gt_f32_e32 vcc, 0, v1
	v_cndmask_b32_e32 v0, v0, v3, vcc
	v_cmp_eq_f32_e32 vcc, s7, v18
	v_cmp_eq_f32_e64 s[6:7], 0, v1
	v_cmp_gt_f32_e64 s[10:11], 0, v17
	s_xor_b64 s[10:11], s[10:11], s[6:7]
	v_cndmask_b32_e64 v2, v2, 0, s[10:11]
	v_cndmask_b32_e64 v3, 0, v1, s[4:5]
	v_bfi_b32 v2, s17, v2, v3
	s_or_b64 vcc, vcc, s[6:7]
	v_cndmask_b32_e32 v0, v0, v2, vcc
	v_cmp_o_f32_e32 vcc, v1, v1
	v_cndmask_b32_e32 v36, v4, v0, vcc
.LBB0_274:
	v_readlane_b32 s10, v126, 31
	s_mul_i32 s5, s8, s10
	v_readlane_b32 s4, v126, 29
	s_sub_i32 s5, s9, s5
	s_xor_b32 s4, s16, s4
	s_add_i32 s6, s8, 1
	s_sub_i32 s7, s5, s10
	s_cmp_ge_u32 s5, s10
	s_cselect_b32 s6, s6, s8
	s_cselect_b32 s5, s7, s5
	s_add_i32 s7, s6, 1
	s_cmp_ge_u32 s5, s10
	s_cselect_b32 s5, s7, s6
	s_xor_b32 s5, s5, s4
	s_sub_i32 s4, s5, s4
	s_cmp_eq_u64 s[82:83], 0
	v_mov_b32_e32 v8, s23
	s_cbranch_scc1 .LBB0_276
; %bb.275:
	v_readlane_b32 s5, v126, 0
	s_mul_i32 s5, s12, s5
	s_add_i32 s6, s4, s5
	s_ashr_i32 s7, s6, 31
	s_lshl_b64 s[6:7], s[6:7], 2
	s_add_u32 s6, s82, s6
	s_addc_u32 s7, s83, s7
	v_mov_b32_e32 v0, 0
	global_load_dword v0, v0, s[6:7]
	s_waitcnt vmcnt(0)
	v_ashrrev_i32_e32 v1, 31, v0
	v_lshrrev_b32_e32 v1, 26, v1
	v_add_u32_e32 v0, v0, v1
	v_ashrrev_i32_e32 v0, 6, v0
	v_min_i32_e32 v8, s23, v0
.LBB0_276:
	v_readlane_b32 s8, v126, 10
	v_readlane_b32 s9, v126, 11
	s_mul_i32 s5, s12, s9
	s_ashr_i32 s6, s5, 31
	s_add_u32 s5, s72, s5
	s_mul_i32 s15, s15, s8
	s_addc_u32 s7, s73, s6
	s_ashr_i32 s8, s15, 31
	v_and_b32_e32 v74, 0x3ff, v58
	s_add_u32 s6, s5, s15
	v_lshrrev_b32_e32 v0, 5, v74
	s_addc_u32 s7, s7, s8
	s_lshl_b32 s33, s4, 6
	v_lshl_add_u32 v96, v105, 1, v0
	v_and_b32_e32 v98, 31, v74
	v_add_u32_e32 v0, s33, v96
	v_cmp_le_i32_e32 vcc, s96, v0
	v_mad_u32_u24 v100, v96, 36, v98
	s_and_saveexec_b64 s[4:5], vcc
	s_xor_b64 s[4:5], exec, s[4:5]
	s_cbranch_execz .LBB0_278
; %bb.277:
	v_lshl_add_u32 v0, v100, 2, 0
	v_mov_b32_e32 v1, 0
	ds_write_b32 v0, v1
                                        ; implicit-def: $vgpr0
.LBB0_278:
	s_andn2_saveexec_b64 s[4:5], s[4:5]
	s_cbranch_execz .LBB0_280
; %bb.279:
	v_mad_u64_u32 v[0:1], s[8:9], v0, s92, v[98:99]
	v_ashrrev_i32_e32 v1, 31, v0
	v_lshlrev_b64 v[0:1], 3, v[0:1]
	v_mov_b32_e32 v2, s7
	v_add_co_u32_e32 v0, vcc, s6, v0
	v_addc_co_u32_e32 v1, vcc, v2, v1, vcc
	global_load_dwordx2 v[0:1], v[0:1], off
	s_waitcnt vmcnt(0)
	v_cvt_f16_f32_e32 v0, v0
	v_cvt_f16_f32_e32 v1, v1
	v_pack_b32_f16 v0, v0, v1
	v_pk_mul_f16 v0, v65, v0
	v_lshl_add_u32 v1, v100, 2, 0
	ds_write_b32 v1, v0
.LBB0_280:
	s_or_b64 exec, exec, s[4:5]
	v_add_u32_e32 v99, 8, v96
	v_add_u32_e32 v0, s33, v99
	v_cmp_le_i32_e32 vcc, s96, v0
	s_and_saveexec_b64 s[4:5], vcc
	s_xor_b64 s[4:5], exec, s[4:5]
	s_cbranch_execz .LBB0_282
; %bb.281:
	v_mad_u32_u24 v0, v99, 36, v98
	v_lshl_add_u32 v0, v0, 2, 0
	v_mov_b32_e32 v1, 0
	ds_write_b32 v0, v1
                                        ; implicit-def: $vgpr0
.LBB0_282:
	s_andn2_saveexec_b64 s[4:5], s[4:5]
	s_cbranch_execz .LBB0_284
; %bb.283:
	v_mad_u64_u32 v[0:1], s[8:9], v0, s92, v[98:99]
	v_ashrrev_i32_e32 v1, 31, v0
	v_lshlrev_b64 v[0:1], 3, v[0:1]
	v_mov_b32_e32 v2, s7
	v_add_co_u32_e32 v0, vcc, s6, v0
	v_addc_co_u32_e32 v1, vcc, v2, v1, vcc
	global_load_dwordx2 v[0:1], v[0:1], off
	v_mad_u32_u24 v2, v99, 36, v98
	s_waitcnt vmcnt(0)
	v_cvt_f16_f32_e32 v0, v0
	v_cvt_f16_f32_e32 v1, v1
	v_pack_b32_f16 v0, v0, v1
	v_pk_mul_f16 v0, v65, v0
	v_lshl_add_u32 v1, v2, 2, 0
	ds_write_b32 v1, v0
.LBB0_284:
	s_or_b64 exec, exec, s[4:5]
	v_add_u32_e32 v101, 16, v96
	v_add_u32_e32 v0, s33, v101
	v_cmp_le_i32_e32 vcc, s96, v0
	s_and_saveexec_b64 s[4:5], vcc
	s_xor_b64 s[4:5], exec, s[4:5]
	s_cbranch_execz .LBB0_286
; %bb.285:
	v_mad_u32_u24 v0, v101, 36, v98
	v_lshl_add_u32 v0, v0, 2, 0
	v_mov_b32_e32 v1, 0
	ds_write_b32 v0, v1
                                        ; implicit-def: $vgpr0
.LBB0_286:
	s_andn2_saveexec_b64 s[4:5], s[4:5]
	s_cbranch_execz .LBB0_288
; %bb.287:
	v_mad_u64_u32 v[0:1], s[8:9], v0, s92, v[98:99]
	v_ashrrev_i32_e32 v1, 31, v0
	v_lshlrev_b64 v[0:1], 3, v[0:1]
	v_mov_b32_e32 v2, s7
	v_add_co_u32_e32 v0, vcc, s6, v0
	v_addc_co_u32_e32 v1, vcc, v2, v1, vcc
	global_load_dwordx2 v[0:1], v[0:1], off
	v_mad_u32_u24 v2, v101, 36, v98
	s_waitcnt vmcnt(0)
	v_cvt_f16_f32_e32 v0, v0
	v_cvt_f16_f32_e32 v1, v1
	v_pack_b32_f16 v0, v0, v1
	v_pk_mul_f16 v0, v65, v0
	v_lshl_add_u32 v1, v2, 2, 0
	ds_write_b32 v1, v0
.LBB0_288:
	;; [unrolled: 33-line block ×6, first 2 shown]
	s_or_b64 exec, exec, s[4:5]
	v_add_u32_e32 v110, 56, v96
	v_add_u32_e32 v0, s33, v110
	v_cmp_le_i32_e32 vcc, s96, v0
	s_and_saveexec_b64 s[4:5], vcc
	s_xor_b64 s[4:5], exec, s[4:5]
	s_cbranch_execz .LBB0_306
; %bb.305:
	v_mad_u32_u24 v0, v110, 36, v98
	v_lshl_add_u32 v0, v0, 2, 0
	v_mov_b32_e32 v1, 0
	ds_write_b32 v0, v1
                                        ; implicit-def: $vgpr0
                                        ; implicit-def: $vgpr65
.LBB0_306:
	s_andn2_saveexec_b64 s[4:5], s[4:5]
	s_cbranch_execz .LBB0_308
; %bb.307:
	v_mad_u64_u32 v[0:1], s[8:9], v0, s92, v[98:99]
	v_ashrrev_i32_e32 v1, 31, v0
	v_lshlrev_b64 v[0:1], 3, v[0:1]
	v_mov_b32_e32 v2, s7
	v_add_co_u32_e32 v0, vcc, s6, v0
	v_addc_co_u32_e32 v1, vcc, v2, v1, vcc
	global_load_dwordx2 v[0:1], v[0:1], off
	v_mad_u32_u24 v2, v110, 36, v98
	s_waitcnt vmcnt(0)
	v_cvt_f16_f32_e32 v0, v0
	v_cvt_f16_f32_e32 v1, v1
	v_pack_b32_f16 v0, v0, v1
	v_pk_mul_f16 v0, v65, v0
	v_lshl_add_u32 v1, v2, 2, 0
	ds_write_b32 v1, v0
.LBB0_308:
	s_or_b64 exec, exec, s[4:5]
	v_readlane_b32 s6, v126, 19
	v_readlane_b32 s7, v126, 20
	s_mul_i32 s4, s12, s7
	s_mul_hi_u32 s5, s12, s6
	s_add_i32 s4, s5, s4
	s_mul_i32 s5, s14, s6
	v_readlane_b32 s8, v126, 25
	s_add_i32 s4, s4, s5
	s_mul_i32 s5, s12, s6
	v_readlane_b32 s11, v126, 28
	s_add_u32 s5, s76, s5
	s_mul_i32 s6, s13, s11
	s_addc_u32 s4, s77, s4
	v_readlane_b32 s9, v126, 26
	s_ashr_i32 s7, s6, 31
	s_mov_b64 s[16:17], s[8:9]
	s_add_u32 s8, s5, s6
	s_addc_u32 s9, s4, s7
	s_mul_i32 s4, s12, s17
	s_mul_hi_u32 s5, s12, s16
	s_add_i32 s4, s5, s4
	s_mul_i32 s14, s14, s16
	v_readlane_b32 s6, v126, 23
	s_add_i32 s4, s4, s14
	s_mul_i32 s12, s12, s16
	v_readlane_b32 s7, v126, 24
	s_add_u32 s5, s74, s12
	s_mul_i32 s13, s13, s7
	s_addc_u32 s4, s75, s4
	s_ashr_i32 s6, s13, 31
	s_add_u32 s47, s5, s13
	v_lshrrev_b32_e32 v9, 3, v74
	s_addc_u32 s54, s4, s6
	s_movk_i32 s4, 0x900
	v_and_b32_e32 v111, 15, v74
	v_and_b32_e32 v112, 0x7e, v9
	v_mad_u32_u24 v10, v105, s4, 0
	v_mul_u32_u24_e32 v27, 0x90, v111
	v_lshlrev_b32_e32 v28, 2, v112
	v_add3_u32 v0, v10, v27, v28
	s_waitcnt lgkmcnt(0)
	s_barrier
	ds_read2_b64 v[4:7], v0 offset1:4
	ds_read2_b64 v[0:3], v0 offset0:8 offset1:12
	v_add_u32_e32 v97, -1, v8
	v_cmp_ge_i32_e32 vcc, s62, v97
	s_movk_i32 s12, 0x90
	s_mov_b32 s55, 0
	s_and_b64 vcc, exec, vcc
	v_mov_b32_e32 v102, 0
	v_lshlrev_b32_e32 v12, 1, v74
	v_lshl_add_u32 v61, v105, 3, v9
	v_lshlrev_b32_e32 v29, 2, v74
	v_lshrrev_b32_e32 v65, 2, v74
	v_lshl_or_b32 v69, v105, 4, v111
	v_lshl_or_b32 v68, v9, 2, 4
	s_waitcnt vmcnt(0)
	v_lshlrev_b32_e32 v60, 1, v111
	v_readlane_b32 s10, v126, 27
	s_waitcnt lgkmcnt(0)
	s_barrier
	s_cbranch_vccnz .LBB0_324
; %bb.309:
	v_add_u32_e32 v24, s33, v105
	v_readlane_b32 s14, v126, 13
	v_add_u32_e32 v25, 32, v24
	v_mul_hi_u32 v26, s14, v25
	v_readlane_b32 s15, v126, 14
	v_add_u32_e32 v26, v25, v26
	v_lshrrev_b32_e32 v26, s15, v26
	v_mul_lo_u32 v26, v26, s96
	v_sub_u32_e32 v25, v25, v26
	v_mad_i64_i32 v[46:47], s[10:11], v25, s88, 0
	v_add_u32_e32 v25, 36, v24
	v_mul_hi_u32 v26, s14, v25
	v_add_u32_e32 v26, v25, v26
	v_lshrrev_b32_e32 v26, s15, v26
	v_mul_lo_u32 v26, v26, s96
	v_sub_u32_e32 v25, v25, v26
	v_mad_i64_i32 v[48:49], s[10:11], v25, s88, 0
	v_add_u32_e32 v25, 40, v24
	v_mul_hi_u32 v26, s14, v25
	;; [unrolled: 7-line block ×5, first 2 shown]
	v_add_u32_e32 v26, v25, v26
	v_lshrrev_b32_e32 v26, s15, v26
	v_mul_lo_u32 v26, v26, s96
	v_sub_u32_e32 v25, v25, v26
	buffer_store_dword v112, off, s[0:3], 0 offset:52 ; 4-byte Folded Spill
	buffer_store_dword v110, off, s[0:3], 0 offset:48 ; 4-byte Folded Spill
	;; [unrolled: 1-line block ×10, first 2 shown]
	v_mov_b32_e32 v8, s43
	v_add_co_u32_e32 v99, vcc, s42, v12
	v_mad_i64_i32 v[56:57], s[10:11], v25, s88, 0
	v_add_u32_e32 v25, 56, v24
	v_addc_co_u32_e32 v100, vcc, 0, v8, vcc
	v_mul_hi_u32 v8, s14, v24
	v_mul_hi_u32 v26, s14, v25
	v_add_u32_e32 v8, v24, v8
	v_add_u32_e32 v26, v25, v26
	v_lshrrev_b32_e32 v8, s15, v8
	v_lshrrev_b32_e32 v26, s15, v26
	v_mul_lo_u32 v8, v8, s96
	v_mul_i32_i24_e32 v11, 0xfffff790, v105
	v_mul_lo_u32 v26, v26, s96
	v_sub_u32_e32 v8, v24, v8
	v_add3_u32 v101, v10, v11, v12
	v_add_u32_e32 v10, 4, v24
	v_add_u32_e32 v12, 8, v24
	v_add_u32_e32 v14, 12, v24
	v_add_u32_e32 v16, 16, v24
	v_add_u32_e32 v18, 20, v24
	v_add_u32_e32 v20, 24, v24
	v_add_u32_e32 v22, 28, v24
	v_sub_u32_e32 v25, v25, v26
	v_add_u32_e32 v24, 60, v24
	v_mad_i64_i32 v[58:59], s[10:11], v25, s88, 0
	v_mul_hi_u32 v25, s14, v24
	v_add_u32_e32 v25, v24, v25
	v_lshrrev_b32_e32 v25, s15, v25
	v_mul_lo_u32 v25, v25, s96
	v_sub_u32_e32 v24, v24, v25
	v_mad_i64_i32 v[34:35], s[10:11], v24, s88, 0
	v_mbcnt_hi_u32_b32 v24, -1, v64
	v_and_b32_e32 v25, 64, v24
	v_add_u32_e32 v25, 64, v25
	v_xor_b32_e32 v26, 32, v24
	v_cmp_lt_i32_e32 vcc, v26, v25
	v_cndmask_b32_e32 v26, v24, v26, vcc
	v_lshlrev_b32_e32 v117, 2, v26
	v_xor_b32_e32 v26, 16, v24
	v_cmp_lt_i32_e32 vcc, v26, v25
	v_cndmask_b32_e32 v24, v24, v26, vcc
	v_and_b32_e32 v64, 28, v29
	v_lshlrev_b32_e32 v118, 2, v24
	v_mul_u32_u24_e32 v24, 0x90, v61
	v_lshlrev_b32_e32 v25, 2, v64
	v_add3_u32 v119, 0, v24, v25
	v_and_b32_e32 v24, 0xfc, v65
	v_mad_u32_u24 v25, v69, s12, 0
	v_lshl_add_u32 v122, v24, 1, v25
	v_add_u32_e32 v123, v25, v68
	v_mul_u32_u24_e32 v25, 0x48, v24
	s_cmp_lg_u64 s[42:43], 0
	v_or_b32_e32 v25, v25, v111
	s_cselect_b64 s[44:45], -1, 0
	v_lshlrev_b32_e32 v25, 1, v25
	s_add_i32 s38, 0, 0x900
	v_add_u32_e32 v84, s38, v25
	s_add_i32 s38, 0, 0x1200
	v_add_u32_e32 v85, s38, v25
	;; [unrolled: 2-line block ×6, first 2 shown]
	s_add_i32 s38, 0, 0x940
	v_mul_hi_u32 v11, s14, v10
	v_mul_hi_u32 v13, s14, v12
	;; [unrolled: 1-line block ×7, first 2 shown]
	v_add_u32_e32 v96, s38, v25
	s_add_i32 s38, 0, 0x1240
	v_add_u32_e32 v11, v10, v11
	v_add_u32_e32 v13, v12, v13
	;; [unrolled: 1-line block ×8, first 2 shown]
	s_add_i32 s38, 0, 0x1b40
	v_lshrrev_b32_e32 v11, s15, v11
	v_lshrrev_b32_e32 v13, s15, v13
	;; [unrolled: 1-line block ×7, first 2 shown]
	v_add_u32_e32 v72, s38, v25
	s_add_i32 s38, 0, 0x60
	v_mul_lo_u32 v11, v11, s96
	v_mul_lo_u32 v13, v13, s96
	;; [unrolled: 1-line block ×8, first 2 shown]
	buffer_store_dword v27, off, s[0:3], 0 offset:72 ; 4-byte Folded Spill
	buffer_store_dword v28, off, s[0:3], 0 offset:76 ; 4-byte Folded Spill
	;; [unrolled: 1-line block ×3, first 2 shown]
	v_mul_lo_u32 v68, s46, v61
	v_add_u32_e32 v86, s38, v25
	s_add_i32 s38, 0, 0x960
	v_sub_u32_e32 v10, v10, v11
	v_sub_u32_e32 v12, v12, v13
	;; [unrolled: 1-line block ×7, first 2 shown]
	v_lshl_add_u32 v66, s94, 5, v62
	v_lshl_add_u32 v92, s46, 5, v68
	v_or_b32_e32 v26, 3, v65
	v_add_u32_e32 v87, s38, v25
	s_add_i32 s38, 0, 0x1260
	v_mad_i64_i32 v[8:9], s[10:11], v8, s88, 0
	v_mad_i64_i32 v[10:11], s[10:11], v10, s88, 0
	;; [unrolled: 1-line block ×8, first 2 shown]
	s_mov_b64 s[48:49], src_private_base
	v_ashrrev_i32_e32 v63, 31, v62
	v_ashrrev_i32_e32 v67, 31, v66
	buffer_store_dword v69, off, s[0:3], 0 offset:68 ; 4-byte Folded Spill
	v_add_u32_e32 v37, 32, v122
	v_add_u32_e32 v82, 64, v122
	;; [unrolled: 1-line block ×3, first 2 shown]
	s_movk_i32 s12, 0x100
	s_movk_i32 s14, 0xc0
	v_cmp_gt_u32_e64 s[16:17], 47, v24
	v_cmp_gt_u32_e64 s[18:19], 46, v24
	;; [unrolled: 1-line block ×3, first 2 shown]
	s_movk_i32 s22, 0x80
	v_cmp_gt_u32_e64 s[24:25], 31, v24
	v_cmp_gt_u32_e64 s[26:27], 30, v24
	;; [unrolled: 1-line block ×6, first 2 shown]
	v_ashrrev_i32_e32 v69, 31, v68
	v_ashrrev_i32_e32 v93, 31, v92
	v_mul_u32_u24_e32 v24, 0x90, v24
	v_mul_u32_u24_e32 v26, 0x90, v26
	v_add_u32_e32 v75, s38, v25
	s_add_i32 s38, 0, 0x1b60
	v_cmp_gt_u32_e64 s[4:5], 64, v74
	v_cmp_lt_u32_e64 s[6:7], 63, v74
	v_mov_b32_e32 v98, 0
	v_add_u32_e32 v114, 0x1d40, v101
	v_add_u32_e32 v115, 0x1f80, v101
	;; [unrolled: 1-line block ×3, first 2 shown]
	s_mov_b32 s48, 0
	v_cmp_gt_u32_e64 s[40:41], 64, v61
	v_add_u32_e32 v120, 0x1200, v119
	v_cmp_gt_u32_e64 s[10:11], 32, v61
	v_add3_u32 v121, 0, v27, v28
	v_cmp_gt_u32_e64 s[12:13], s12, v74
	v_cmp_gt_u32_e64 s[14:15], s14, v74
	;; [unrolled: 1-line block ×3, first 2 shown]
	buffer_store_dword v61, off, s[0:3], 0 offset:60 ; 4-byte Folded Spill
	v_add_u32_e32 v124, 0, v25
	v_add3_u32 v125, 0, v24, v60
	buffer_store_dword v60, off, s[0:3], 0 offset:56 ; 4-byte Folded Spill
	v_add3_u32 v71, 0, v26, v60
	v_add3_u32 v88, 0, 32, v25
	;; [unrolled: 1-line block ×3, first 2 shown]
	v_add_u32_e32 v77, s38, v25
	v_mov_b32_e32 v24, v36
	v_mov_b32_e32 v25, v36
	s_lshl_b32 s50, s62, 6
	v_mov_b32_e32 v90, 0xfeffffff
	v_lshlrev_b64 v[26:27], 1, v[8:9]
	v_lshlrev_b64 v[28:29], 1, v[10:11]
	v_lshlrev_b64 v[30:31], 1, v[12:13]
	v_lshlrev_b64 v[32:33], 1, v[14:15]
	v_lshlrev_b64 v[38:39], 1, v[16:17]
	v_lshlrev_b64 v[40:41], 1, v[18:19]
	v_lshlrev_b64 v[42:43], 1, v[20:21]
	v_lshlrev_b64 v[44:45], 1, v[22:23]
	v_lshlrev_b64 v[46:47], 1, v[46:47]
	v_lshlrev_b64 v[48:49], 1, v[48:49]
	v_lshlrev_b64 v[50:51], 1, v[50:51]
	v_lshlrev_b64 v[52:53], 1, v[52:53]
	v_lshlrev_b64 v[54:55], 1, v[54:55]
	v_lshlrev_b64 v[56:57], 1, v[56:57]
	v_lshlrev_b64 v[58:59], 1, v[58:59]
	v_lshlrev_b64 v[60:61], 1, v[34:35]
	v_lshlrev_b64 v[62:63], 2, v[62:63]
	v_lshlrev_b32_e32 v83, 2, v64
	v_lshlrev_b64 v[64:65], 2, v[66:67]
	v_add_u32_e32 v79, 0x2400, v37
	v_add_u32_e32 v82, 0x2400, v82
	;; [unrolled: 1-line block ×3, first 2 shown]
	s_mov_b32 s56, 0x3fb8aa3b
	s_mov_b32 s57, 0xc2ce8ed0
	;; [unrolled: 1-line block ×4, first 2 shown]
	v_lshlrev_b64 v[66:67], 2, v[68:69]
	v_lshlrev_b64 v[68:69], 2, v[92:93]
	s_mov_b32 s60, 0x5040100
	v_mov_b32_e32 v34, 0x7f800000
	v_mov_b32_e32 v105, 0
	v_mov_b32_e32 v92, 0
	v_mov_b32_e32 v91, 0
	v_mov_b32_e32 v95, 0
	v_mov_b32_e32 v89, 0
	v_mov_b32_e32 v94, 0
	v_mov_b32_e32 v93, 0
	v_mov_b32_e32 v103, 0
	v_mov_b32_e32 v102, 0
.LBB0_310:                              ; =>This Inner Loop Header: Depth=1
	s_nop 0
	v_cndmask_b32_e64 v8, 0, 1, s[44:45]
	v_cmp_ne_u32_e64 s[38:39], 1, v8
	s_andn2_b64 vcc, exec, s[44:45]
	s_ashr_i32 s51, s50, 31
	s_cbranch_vccnz .LBB0_320
; %bb.311:                              ;   in Loop: Header=BB0_310 Depth=1
                                        ; implicit-def: $sgpr61
	s_and_saveexec_b64 s[52:53], s[6:7]
	s_xor_b64 s[52:53], exec, s[52:53]
	s_cbranch_execz .LBB0_313
; %bb.312:                              ;   in Loop: Header=BB0_310 Depth=1
	v_add_u32_e32 v8, 0x240, v101
	ds_write_b16 v8, v98 offset:9216
	v_add_u32_e32 v8, 0x480, v101
	ds_write_b16 v8, v98 offset:9216
	;; [unrolled: 2-line block ×3, first 2 shown]
	ds_write_b16 v8, v98 offset:9216
	s_mov_b32 s61, 0
.LBB0_313:                              ;   in Loop: Header=BB0_310 Depth=1
	s_or_saveexec_b64 s[52:53], s[52:53]
	s_lshl_b64 s[64:65], s[50:51], 1
	v_mov_b32_e32 v9, s65
	v_add_co_u32_e32 v8, vcc, s64, v99
	v_addc_co_u32_e32 v9, vcc, v100, v9, vcc
	v_mov_b32_e32 v10, s61
	v_mov_b32_e32 v11, s61
	;; [unrolled: 1-line block ×4, first 2 shown]
	s_xor_b64 exec, exec, s[52:53]
	s_cbranch_execz .LBB0_315
; %bb.314:                              ;   in Loop: Header=BB0_310 Depth=1
	v_add_co_u32_e32 v10, vcc, v8, v26
	v_addc_co_u32_e32 v11, vcc, v9, v27, vcc
	flat_load_ushort v12, v[10:11]
	v_add_co_u32_e32 v10, vcc, v8, v28
	v_addc_co_u32_e32 v11, vcc, v9, v29, vcc
	flat_load_ushort v13, v[10:11]
	;; [unrolled: 3-line block ×4, first 2 shown]
	v_add_u32_e32 v11, 0x240, v101
	s_waitcnt vmcnt(0) lgkmcnt(0)
	ds_write_b16 v101, v12 offset:9216
	ds_write_b16 v11, v13 offset:9216
	v_add_u32_e32 v11, 0x480, v101
	ds_write_b16 v11, v14 offset:9216
	v_add_u32_e32 v11, 0x6c0, v101
	ds_write_b16 v11, v10 offset:9216
	v_add_co_u32_e32 v10, vcc, v8, v38
	v_addc_co_u32_e32 v11, vcc, v9, v39, vcc
	v_add_co_u32_e32 v12, vcc, v8, v40
	v_addc_co_u32_e32 v13, vcc, v9, v41, vcc
	flat_load_ushort v10, v[10:11]
	s_nop 0
	flat_load_ushort v11, v[12:13]
	v_add_co_u32_e32 v12, vcc, v8, v42
	v_addc_co_u32_e32 v13, vcc, v9, v43, vcc
	v_add_co_u32_e32 v14, vcc, v8, v44
	v_addc_co_u32_e32 v15, vcc, v9, v45, vcc
	flat_load_ushort v12, v[12:13]
	s_nop 0
	flat_load_ushort v13, v[14:15]
.LBB0_315:                              ;   in Loop: Header=BB0_310 Depth=1
	s_or_b64 exec, exec, s[52:53]
	v_add_u32_e32 v14, 0x900, v101
	s_waitcnt vmcnt(0) lgkmcnt(0)
	ds_write_b16 v14, v10 offset:9216
	v_add_u32_e32 v10, 0xb40, v101
	ds_write_b16 v10, v11 offset:9216
	v_add_u32_e32 v10, 0xd80, v101
	;; [unrolled: 2-line block ×3, first 2 shown]
	ds_write_b16 v10, v13 offset:9216
                                        ; implicit-def: $sgpr51
	s_and_saveexec_b64 s[52:53], s[6:7]
	s_xor_b64 s[52:53], exec, s[52:53]
	s_cbranch_execz .LBB0_317
; %bb.316:                              ;   in Loop: Header=BB0_310 Depth=1
	v_add_u32_e32 v8, 0x1200, v101
	ds_write_b16 v8, v98 offset:9216
	v_add_u32_e32 v8, 0x1440, v101
	ds_write_b16 v8, v98 offset:9216
	;; [unrolled: 2-line block ×4, first 2 shown]
	s_mov_b32 s51, 0
                                        ; implicit-def: $vgpr8
                                        ; implicit-def: $vgpr9
.LBB0_317:                              ;   in Loop: Header=BB0_310 Depth=1
	s_or_saveexec_b64 s[52:53], s[52:53]
	v_mov_b32_e32 v10, s51
	v_mov_b32_e32 v11, s51
	;; [unrolled: 1-line block ×4, first 2 shown]
	s_xor_b64 exec, exec, s[52:53]
	s_cbranch_execz .LBB0_319
; %bb.318:                              ;   in Loop: Header=BB0_310 Depth=1
	v_add_co_u32_e32 v10, vcc, v8, v46
	v_addc_co_u32_e32 v11, vcc, v9, v47, vcc
	flat_load_ushort v12, v[10:11]
	v_add_co_u32_e32 v10, vcc, v8, v48
	v_addc_co_u32_e32 v11, vcc, v9, v49, vcc
	flat_load_ushort v13, v[10:11]
	;; [unrolled: 3-line block ×4, first 2 shown]
	v_add_u32_e32 v11, 0x1200, v101
	s_waitcnt vmcnt(0) lgkmcnt(0)
	ds_write_b16 v11, v12 offset:9216
	v_add_u32_e32 v11, 0x1440, v101
	ds_write_b16 v11, v13 offset:9216
	v_add_u32_e32 v11, 0x1680, v101
	;; [unrolled: 2-line block ×3, first 2 shown]
	ds_write_b16 v11, v10 offset:9216
	v_add_co_u32_e32 v10, vcc, v8, v54
	v_addc_co_u32_e32 v11, vcc, v9, v55, vcc
	v_add_co_u32_e32 v12, vcc, v8, v56
	v_addc_co_u32_e32 v13, vcc, v9, v57, vcc
	flat_load_ushort v10, v[10:11]
	s_nop 0
	flat_load_ushort v11, v[12:13]
	v_add_co_u32_e32 v12, vcc, v8, v58
	v_addc_co_u32_e32 v13, vcc, v9, v59, vcc
	v_add_co_u32_e32 v8, vcc, v8, v60
	v_addc_co_u32_e32 v9, vcc, v9, v61, vcc
	flat_load_ushort v12, v[12:13]
	s_nop 0
	flat_load_ushort v13, v[8:9]
.LBB0_319:                              ;   in Loop: Header=BB0_310 Depth=1
	s_or_b64 exec, exec, s[52:53]
	v_add_u32_e32 v8, 0x1b00, v101
	s_waitcnt vmcnt(0) lgkmcnt(0)
	ds_write_b16 v8, v10 offset:9216
	ds_write_b16 v114, v11 offset:9216
	;; [unrolled: 1-line block ×4, first 2 shown]
.LBB0_320:                              ;   in Loop: Header=BB0_310 Depth=1
	s_mul_hi_i32 s53, s50, s94
	s_mul_i32 s52, s50, s94
	s_lshl_b64 s[52:53], s[52:53], 2
	s_add_u32 s51, s47, s52
	s_addc_u32 s52, s54, s53
	v_add_co_u32_e32 v8, vcc, s51, v62
	v_mov_b32_e32 v9, s52
	v_addc_co_u32_e32 v9, vcc, v9, v63, vcc
	v_add_co_u32_e32 v8, vcc, v8, v83
	v_addc_co_u32_e32 v9, vcc, 0, v9, vcc
	v_mov_b32_e32 v12, s49
	v_mov_b32_e32 v13, s48
	buffer_store_dword v98, off, s[0:3], 0
	buffer_store_dword v98, off, s[0:3], 0 offset:4
	buffer_store_dword v98, off, s[0:3], 0 offset:8
	;; [unrolled: 1-line block ×3, first 2 shown]
	v_cndmask_b32_e64 v9, v12, v9, s[40:41]
	v_cndmask_b32_e64 v8, v13, v8, s[40:41]
	flat_load_dwordx4 v[8:11], v[8:9]
	v_add_u32_e32 v16, 0x800, v121
	v_add_u32_e32 v37, 0x1000, v121
	s_waitcnt vmcnt(0) lgkmcnt(0)
	ds_write_b128 v119, v[8:11]
	v_add_co_u32_e32 v8, vcc, s51, v64
	v_mov_b32_e32 v9, s52
	v_addc_co_u32_e32 v9, vcc, v9, v65, vcc
	v_add_co_u32_e32 v8, vcc, v8, v83
	v_addc_co_u32_e32 v9, vcc, 0, v9, vcc
	v_cndmask_b32_e64 v9, v12, v9, s[10:11]
	v_cndmask_b32_e64 v8, v13, v8, s[10:11]
	flat_load_dwordx4 v[8:11], v[8:9]
	s_and_b64 vcc, exec, s[38:39]
	s_waitcnt vmcnt(0) lgkmcnt(0)
	ds_write_b128 v120, v[8:11]
	s_waitcnt lgkmcnt(0)
	s_barrier
	ds_read2_b64 v[8:11], v121 offset1:4
	s_waitcnt lgkmcnt(0)
	v_mfma_f32_16x16x16f16 v[12:15], v[8:9], v[4:5], 0
	v_mfma_f32_16x16x16f16 v[8:11], v[10:11], v[6:7], v[12:15]
	s_nop 7
	s_nop 1
	ds_read2_b64 v[12:15], v121 offset0:8 offset1:12
	s_waitcnt lgkmcnt(0)
	v_mfma_f32_16x16x16f16 v[8:11], v[12:13], v[0:1], v[8:11]
	v_mfma_f32_16x16x16f16 v[20:23], v[14:15], v[2:3], v[8:11]
	s_nop 7
	s_nop 1
	ds_read2_b64 v[8:11], v16 offset0:32 offset1:36
	;; [unrolled: 6-line block ×5, first 2 shown]
	s_waitcnt lgkmcnt(0)
	v_mfma_f32_16x16x16f16 v[8:11], v[12:13], v[0:1], v[8:11]
	v_add_u32_e32 v37, 0x1800, v121
	v_mfma_f32_16x16x16f16 v[12:15], v[14:15], v[2:3], v[8:11]
	s_nop 7
	s_nop 0
	ds_read2_b64 v[8:11], v37 offset0:96 offset1:100
	s_waitcnt lgkmcnt(0)
	v_mfma_f32_16x16x16f16 v[106:109], v[8:9], v[4:5], 0
	v_mfma_f32_16x16x16f16 v[8:11], v[10:11], v[6:7], v[106:109]
	s_nop 7
	s_nop 1
	ds_read2_b64 v[106:109], v37 offset0:104 offset1:108
	s_waitcnt lgkmcnt(0)
	v_mfma_f32_16x16x16f16 v[8:11], v[106:107], v[0:1], v[8:11]
	s_barrier
	v_mfma_f32_16x16x16f16 v[8:11], v[108:109], v[2:3], v[8:11]
	s_cbranch_vccnz .LBB0_322
; %bb.321:                              ;   in Loop: Header=BB0_310 Depth=1
	ds_read_b32 v37, v122 offset:9216
	s_waitcnt lgkmcnt(0)
	v_cvt_f32_f16_sdwa v107, v37 dst_sel:DWORD dst_unused:UNUSED_PAD src0_sel:WORD_1
	v_cvt_f32_f16_e32 v106, v37
	ds_read_b32 v37, v123 offset:9216
	v_pk_fma_f32 v[20:21], v[24:25], v[106:107], v[20:21]
	ds_read2_b32 v[106:107], v79 offset1:1
	s_waitcnt lgkmcnt(1)
	v_cvt_f32_f16_sdwa v109, v37 dst_sel:DWORD dst_unused:UNUSED_PAD src0_sel:WORD_1
	v_cvt_f32_f16_e32 v108, v37
	v_mov_b32_e32 v37, v36
	v_pk_fma_f32 v[22:23], v[36:37], v[108:109], v[22:23]
	s_waitcnt lgkmcnt(0)
	v_cvt_f32_f16_e32 v108, v106
	v_cvt_f32_f16_sdwa v109, v106 dst_sel:DWORD dst_unused:UNUSED_PAD src0_sel:WORD_1
	v_cvt_f32_f16_e32 v106, v107
	v_cvt_f32_f16_sdwa v107, v107 dst_sel:DWORD dst_unused:UNUSED_PAD src0_sel:WORD_1
	v_pk_fma_f32 v[16:17], v[24:25], v[108:109], v[16:17]
	v_pk_fma_f32 v[18:19], v[36:37], v[106:107], v[18:19]
	ds_read2_b32 v[106:107], v82 offset1:1
	s_waitcnt lgkmcnt(0)
	v_cvt_f32_f16_e32 v108, v106
	v_cvt_f32_f16_sdwa v109, v106 dst_sel:DWORD dst_unused:UNUSED_PAD src0_sel:WORD_1
	v_cvt_f32_f16_e32 v106, v107
	v_cvt_f32_f16_sdwa v107, v107 dst_sel:DWORD dst_unused:UNUSED_PAD src0_sel:WORD_1
	v_pk_fma_f32 v[12:13], v[24:25], v[108:109], v[12:13]
	v_pk_fma_f32 v[14:15], v[36:37], v[106:107], v[14:15]
	ds_read2_b32 v[106:107], v35 offset1:1
	s_waitcnt lgkmcnt(0)
	v_cvt_f32_f16_e32 v108, v106
	v_cvt_f32_f16_sdwa v109, v106 dst_sel:DWORD dst_unused:UNUSED_PAD src0_sel:WORD_1
	v_cvt_f32_f16_e32 v106, v107
	v_cvt_f32_f16_sdwa v107, v107 dst_sel:DWORD dst_unused:UNUSED_PAD src0_sel:WORD_1
	v_pk_fma_f32 v[8:9], v[24:25], v[108:109], v[8:9]
	v_pk_fma_f32 v[10:11], v[36:37], v[106:107], v[10:11]
.LBB0_322:                              ;   in Loop: Header=BB0_310 Depth=1
	v_add_f32_e32 v37, 0x40051340, v20
	v_max_f32_e32 v104, v90, v90
	v_max_f32_e32 v37, v104, v37
	v_cndmask_b32_e64 v37, v90, v37, s[12:13]
	v_add_f32_e32 v104, 0x40051340, v21
	v_max_f32_e32 v37, v37, v37
	v_max_f32_e32 v37, v37, v104
	v_cndmask_b32_e64 v37, v90, v37, s[12:13]
	;; [unrolled: 4-line block ×16, first 2 shown]
	ds_bpermute_b32 v104, v117, v37
	v_max_f32_e32 v37, v37, v37
	v_cndmask_b32_e64 v22, v22, v22, s[12:13]
	v_cndmask_b32_e64 v23, v23, v23, s[12:13]
	;; [unrolled: 1-line block ×3, first 2 shown]
	s_waitcnt lgkmcnt(0)
	v_max_f32_e32 v104, v104, v104
	v_max_f32_e32 v37, v37, v104
	ds_bpermute_b32 v104, v118, v37
	v_cndmask_b32_e64 v18, v18, v18, s[14:15]
	v_cndmask_b32_e64 v19, v19, v19, s[14:15]
	;; [unrolled: 1-line block ×4, first 2 shown]
	s_waitcnt lgkmcnt(0)
	v_max_f32_e32 v104, v104, v104
	v_max_f32_e32 v104, v37, v104
	v_sub_f32_e32 v20, v20, v104
	v_mul_f32_e32 v37, 0x3fb8aa3b, v20
	v_fma_f32 v106, v20, s56, -v37
	v_rndne_f32_e32 v107, v37
	v_fmac_f32_e32 v106, 0x32a5705f, v20
	v_sub_f32_e32 v37, v37, v107
	v_add_f32_e32 v37, v37, v106
	v_exp_f32_e32 v37, v37
	v_cvt_i32_f32_e32 v106, v107
	v_sub_f32_e32 v21, v21, v104
	v_cmp_ngt_f32_e32 vcc, s57, v20
	v_sub_f32_e32 v22, v22, v104
	v_ldexp_f32 v37, v37, v106
	v_mul_f32_e32 v106, 0x3fb8aa3b, v21
	v_fma_f32 v107, v21, s56, -v106
	v_rndne_f32_e32 v108, v106
	v_fmac_f32_e32 v107, 0x32a5705f, v21
	v_sub_f32_e32 v106, v106, v108
	v_add_f32_e32 v106, v106, v107
	v_exp_f32_e32 v106, v106
	v_cvt_i32_f32_e32 v107, v108
	v_cndmask_b32_e32 v37, 0, v37, vcc
	v_cmp_nlt_f32_e32 vcc, s58, v20
	v_cndmask_b32_e32 v37, v34, v37, vcc
	v_ldexp_f32 v106, v106, v107
	v_cmp_ngt_f32_e32 vcc, s57, v21
	v_cndmask_b32_e32 v106, 0, v106, vcc
	v_cmp_nlt_f32_e32 vcc, s58, v21
	v_cndmask_b32_e32 v106, v34, v106, vcc
	v_mov_b32_e32 v21, s55
	v_cndmask_b32_e64 v20, 0, v37, s[12:13]
	v_add_f32_e32 v37, v37, v106
	v_cndmask_b32_e64 v21, v21, v106, s[12:13]
	v_mul_f32_e32 v106, 0x3fb8aa3b, v22
	v_fma_f32 v107, v22, s56, -v106
	v_rndne_f32_e32 v108, v106
	v_fmac_f32_e32 v107, 0x32a5705f, v22
	v_sub_f32_e32 v106, v106, v108
	v_add_f32_e32 v106, v106, v107
	v_exp_f32_e32 v106, v106
	v_cvt_i32_f32_e32 v107, v108
	v_cmp_ngt_f32_e32 vcc, s57, v22
	v_sub_f32_e32 v16, v16, v104
	v_sub_f32_e32 v17, v17, v104
	v_ldexp_f32 v106, v106, v107
	v_cndmask_b32_e32 v106, 0, v106, vcc
	v_cmp_nlt_f32_e32 vcc, s58, v22
	v_cndmask_b32_e32 v106, v34, v106, vcc
	v_mov_b32_e32 v22, s55
	v_add_f32_e32 v37, v37, v106
	v_cndmask_b32_e64 v106, v22, v106, s[12:13]
	v_sub_f32_e32 v22, v23, v104
	v_mul_f32_e32 v23, 0x3fb8aa3b, v22
	v_fma_f32 v107, v22, s56, -v23
	v_rndne_f32_e32 v108, v23
	v_fmac_f32_e32 v107, 0x32a5705f, v22
	v_sub_f32_e32 v23, v23, v108
	v_add_f32_e32 v23, v23, v107
	v_exp_f32_e32 v23, v23
	v_cvt_i32_f32_e32 v107, v108
	v_cmp_ngt_f32_e32 vcc, s57, v22
	v_sub_f32_e32 v18, v18, v104
	v_sub_f32_e32 v19, v19, v104
	v_ldexp_f32 v23, v23, v107
	v_cndmask_b32_e32 v23, 0, v23, vcc
	v_cmp_nlt_f32_e32 vcc, s58, v22
	v_cndmask_b32_e32 v22, v34, v23, vcc
	v_mov_b32_e32 v23, s55
	v_add_f32_e32 v37, v37, v22
	v_cndmask_b32_e64 v107, v23, v22, s[12:13]
	v_mul_f32_e32 v23, 0x3fb8aa3b, v16
	v_cndmask_b32_e64 v22, 0, v37, s[12:13]
	v_fma_f32 v37, v16, s56, -v23
	v_rndne_f32_e32 v108, v23
	v_fmac_f32_e32 v37, 0x32a5705f, v16
	v_sub_f32_e32 v23, v23, v108
	v_add_f32_e32 v23, v23, v37
	v_exp_f32_e32 v23, v23
	v_cvt_i32_f32_e32 v37, v108
	v_cmp_ngt_f32_e32 vcc, s57, v16
	v_sub_f32_e32 v12, v12, v104
	v_sub_f32_e32 v13, v13, v104
	v_ldexp_f32 v23, v23, v37
	v_cndmask_b32_e32 v23, 0, v23, vcc
	v_cmp_nlt_f32_e32 vcc, s58, v16
	v_cndmask_b32_e32 v23, v34, v23, vcc
	v_mov_b32_e32 v16, s55
	v_add_f32_e32 v37, v23, v22
	v_cndmask_b32_e64 v16, v16, v23, s[14:15]
	v_mul_f32_e32 v23, 0x3fb8aa3b, v17
	v_cndmask_b32_e64 v22, v22, v37, s[14:15]
	v_fma_f32 v37, v17, s56, -v23
	v_rndne_f32_e32 v108, v23
	v_fmac_f32_e32 v37, 0x32a5705f, v17
	v_sub_f32_e32 v23, v23, v108
	v_add_f32_e32 v23, v23, v37
	v_exp_f32_e32 v23, v23
	v_cvt_i32_f32_e32 v37, v108
	v_cmp_ngt_f32_e32 vcc, s57, v17
	v_cndmask_b32_e64 v15, v15, v15, s[22:23]
	v_sub_f32_e32 v8, v8, v104
	v_ldexp_f32 v23, v23, v37
	v_cndmask_b32_e32 v23, 0, v23, vcc
	v_cmp_nlt_f32_e32 vcc, s58, v17
	v_cndmask_b32_e32 v23, v34, v23, vcc
	v_mov_b32_e32 v17, s55
	v_add_f32_e32 v37, v23, v22
	v_cndmask_b32_e64 v17, v17, v23, s[16:17]
	v_mul_f32_e32 v23, 0x3fb8aa3b, v18
	v_cndmask_b32_e64 v22, v22, v37, s[16:17]
	v_fma_f32 v37, v18, s56, -v23
	v_rndne_f32_e32 v108, v23
	v_fmac_f32_e32 v37, 0x32a5705f, v18
	v_sub_f32_e32 v23, v23, v108
	v_add_f32_e32 v23, v23, v37
	v_exp_f32_e32 v23, v23
	v_cvt_i32_f32_e32 v37, v108
	v_cmp_ngt_f32_e32 vcc, s57, v18
	v_cndmask_b32_e64 v9, v9, v9, s[4:5]
	v_sub_f32_e32 v9, v9, v104
	v_ldexp_f32 v23, v23, v37
	v_cndmask_b32_e32 v23, 0, v23, vcc
	v_cmp_nlt_f32_e32 vcc, s58, v18
	v_cndmask_b32_e32 v23, v34, v23, vcc
	v_add_f32_e32 v37, v23, v22
	v_mov_b32_e32 v18, s55
	v_cndmask_b32_e64 v108, v18, v23, s[18:19]
	v_cndmask_b32_e64 v18, v22, v37, s[18:19]
	v_mul_f32_e32 v22, 0x3fb8aa3b, v19
	v_fma_f32 v23, v19, s56, -v22
	v_rndne_f32_e32 v37, v22
	v_fmac_f32_e32 v23, 0x32a5705f, v19
	v_sub_f32_e32 v22, v22, v37
	v_add_f32_e32 v22, v22, v23
	v_exp_f32_e32 v22, v22
	v_cvt_i32_f32_e32 v23, v37
	v_cmp_ngt_f32_e32 vcc, s57, v19
	v_cndmask_b32_e64 v10, v10, v10, s[4:5]
	v_cndmask_b32_e64 v11, v11, v11, s[4:5]
	v_ldexp_f32 v22, v22, v23
	v_cndmask_b32_e32 v22, 0, v22, vcc
	v_cmp_nlt_f32_e32 vcc, s58, v19
	v_cndmask_b32_e32 v22, v34, v22, vcc
	v_mov_b32_e32 v19, s55
	v_add_f32_e32 v23, v22, v18
	v_cndmask_b32_e64 v109, v19, v22, s[20:21]
	v_mul_f32_e32 v19, 0x3fb8aa3b, v12
	v_cndmask_b32_e64 v18, v18, v23, s[20:21]
	v_fma_f32 v22, v12, s56, -v19
	v_rndne_f32_e32 v23, v19
	v_fmac_f32_e32 v22, 0x32a5705f, v12
	v_sub_f32_e32 v19, v19, v23
	v_add_f32_e32 v19, v19, v22
	v_exp_f32_e32 v19, v19
	v_cvt_i32_f32_e32 v22, v23
	v_cmp_ngt_f32_e32 vcc, s57, v12
	s_mul_hi_i32 s39, s50, s46
	s_mul_i32 s38, s50, s46
	v_ldexp_f32 v19, v19, v22
	v_cndmask_b32_e32 v19, 0, v19, vcc
	v_cmp_nlt_f32_e32 vcc, s58, v12
	v_cndmask_b32_e32 v19, v34, v19, vcc
	v_add_f32_e32 v22, v19, v18
	v_mov_b32_e32 v12, s55
	v_cndmask_b32_e64 v110, v12, v19, s[22:23]
	v_cndmask_b32_e64 v12, v18, v22, s[22:23]
	v_mul_f32_e32 v18, 0x3fb8aa3b, v13
	v_fma_f32 v19, v13, s56, -v18
	v_rndne_f32_e32 v22, v18
	v_fmac_f32_e32 v19, 0x32a5705f, v13
	v_sub_f32_e32 v18, v18, v22
	v_add_f32_e32 v18, v18, v19
	v_exp_f32_e32 v18, v18
	v_cvt_i32_f32_e32 v19, v22
	v_cmp_ngt_f32_e32 vcc, s57, v13
	s_lshl_b64 s[38:39], s[38:39], 2
	s_add_u32 s38, s8, s38
	v_ldexp_f32 v18, v18, v19
	v_cndmask_b32_e32 v18, 0, v18, vcc
	v_cmp_nlt_f32_e32 vcc, s58, v13
	v_cndmask_b32_e32 v18, v34, v18, vcc
	v_add_f32_e32 v19, v18, v12
	v_mov_b32_e32 v13, s55
	v_cndmask_b32_e64 v111, v13, v18, s[24:25]
	v_cndmask_b32_e64 v13, v12, v19, s[24:25]
	v_sub_f32_e32 v12, v14, v104
	v_mul_f32_e32 v14, 0x3fb8aa3b, v12
	v_fma_f32 v18, v12, s56, -v14
	v_rndne_f32_e32 v19, v14
	v_fmac_f32_e32 v18, 0x32a5705f, v12
	v_sub_f32_e32 v14, v14, v19
	v_add_f32_e32 v14, v14, v18
	v_exp_f32_e32 v14, v14
	v_cvt_i32_f32_e32 v18, v19
	v_cmp_ngt_f32_e32 vcc, s57, v12
	s_addc_u32 s39, s9, s39
	buffer_store_dword v98, off, s[0:3], 0
	buffer_store_dword v98, off, s[0:3], 0 offset:4
	buffer_store_dword v98, off, s[0:3], 0 offset:8
	;; [unrolled: 1-line block ×3, first 2 shown]
	v_ldexp_f32 v14, v14, v18
	v_cndmask_b32_e32 v14, 0, v14, vcc
	v_cmp_nlt_f32_e32 vcc, s58, v12
	v_cndmask_b32_e32 v14, v34, v14, vcc
	v_add_f32_e32 v18, v14, v13
	v_mov_b32_e32 v12, s55
	v_cndmask_b32_e64 v12, v12, v14, s[26:27]
	v_cndmask_b32_e64 v14, v13, v18, s[26:27]
	v_sub_f32_e32 v13, v15, v104
	v_mul_f32_e32 v15, 0x3fb8aa3b, v13
	v_fma_f32 v18, v13, s56, -v15
	v_rndne_f32_e32 v19, v15
	v_fmac_f32_e32 v18, 0x32a5705f, v13
	v_sub_f32_e32 v15, v15, v19
	v_add_f32_e32 v15, v15, v18
	v_exp_f32_e32 v15, v15
	v_cvt_i32_f32_e32 v18, v19
	v_cmp_ngt_f32_e32 vcc, s57, v13
	s_add_i32 s62, s62, 1
	s_add_i32 s50, s50, 64
	v_ldexp_f32 v15, v15, v18
	v_cndmask_b32_e32 v15, 0, v15, vcc
	v_cmp_nlt_f32_e32 vcc, s58, v13
	v_cndmask_b32_e32 v15, v34, v15, vcc
	v_mov_b32_e32 v13, s55
	v_add_f32_e32 v18, v15, v14
	v_cndmask_b32_e64 v13, v13, v15, s[28:29]
	v_mul_f32_e32 v15, 0x3fb8aa3b, v8
	v_cndmask_b32_e64 v14, v14, v18, s[28:29]
	v_fma_f32 v18, v8, s56, -v15
	v_rndne_f32_e32 v19, v15
	v_fmac_f32_e32 v18, 0x32a5705f, v8
	v_sub_f32_e32 v15, v15, v19
	v_add_f32_e32 v15, v15, v18
	v_exp_f32_e32 v15, v15
	v_cvt_i32_f32_e32 v18, v19
	v_cmp_ngt_f32_e32 vcc, s57, v8
	v_ldexp_f32 v15, v15, v18
	v_cndmask_b32_e32 v15, 0, v15, vcc
	v_cmp_nlt_f32_e32 vcc, s58, v8
	v_cndmask_b32_e32 v15, v34, v15, vcc
	v_add_f32_e32 v18, v15, v14
	v_mov_b32_e32 v8, s55
	v_cndmask_b32_e64 v112, v8, v15, s[4:5]
	v_cndmask_b32_e64 v8, v14, v18, s[4:5]
	v_mul_f32_e32 v14, 0x3fb8aa3b, v9
	v_fma_f32 v15, v9, s56, -v14
	v_rndne_f32_e32 v18, v14
	v_fmac_f32_e32 v15, 0x32a5705f, v9
	v_sub_f32_e32 v14, v14, v18
	v_add_f32_e32 v14, v14, v15
	v_exp_f32_e32 v14, v14
	v_cvt_i32_f32_e32 v15, v18
	v_cmp_ngt_f32_e32 vcc, s57, v9
	v_ldexp_f32 v14, v14, v15
	v_cndmask_b32_e32 v14, 0, v14, vcc
	v_cmp_nlt_f32_e32 vcc, s58, v9
	v_cndmask_b32_e32 v14, v34, v14, vcc
	v_add_f32_e32 v15, v14, v8
	v_mov_b32_e32 v9, s55
	v_cndmask_b32_e64 v113, v9, v14, s[30:31]
	v_cndmask_b32_e64 v9, v8, v15, s[30:31]
	v_sub_f32_e32 v8, v10, v104
	v_mul_f32_e32 v10, 0x3fb8aa3b, v8
	v_fma_f32 v14, v8, s56, -v10
	v_rndne_f32_e32 v15, v10
	v_fmac_f32_e32 v14, 0x32a5705f, v8
	v_sub_f32_e32 v10, v10, v15
	v_add_f32_e32 v10, v10, v14
	v_exp_f32_e32 v10, v10
	v_cvt_i32_f32_e32 v14, v15
	v_cmp_ngt_f32_e32 vcc, s57, v8
	v_ldexp_f32 v10, v10, v14
	v_cndmask_b32_e32 v10, 0, v10, vcc
	v_cmp_nlt_f32_e32 vcc, s58, v8
	v_cndmask_b32_e32 v10, v34, v10, vcc
	v_add_f32_e32 v14, v10, v9
	v_mov_b32_e32 v8, s55
	v_cndmask_b32_e64 v8, v8, v10, s[34:35]
	v_cndmask_b32_e64 v10, v9, v14, s[34:35]
	v_sub_f32_e32 v9, v11, v104
	v_mul_f32_e32 v11, 0x3fb8aa3b, v9
	v_fma_f32 v14, v9, s56, -v11
	v_rndne_f32_e32 v15, v11
	v_fmac_f32_e32 v14, 0x32a5705f, v9
	v_sub_f32_e32 v11, v11, v15
	v_add_f32_e32 v11, v11, v14
	v_exp_f32_e32 v11, v11
	v_cvt_i32_f32_e32 v14, v15
	v_cmp_ngt_f32_e32 vcc, s57, v9
	v_cvt_f16_f32_e32 v8, v8
	v_ldexp_f32 v11, v11, v14
	v_cndmask_b32_e32 v11, 0, v11, vcc
	v_cmp_nlt_f32_e32 vcc, s58, v9
	v_cndmask_b32_e32 v11, v34, v11, vcc
	v_add_f32_e32 v14, v11, v10
	v_mov_b32_e32 v9, s55
	v_cndmask_b32_e64 v37, v10, v14, s[36:37]
	v_sub_f32_e32 v10, v90, v104
	v_cndmask_b32_e64 v9, v9, v11, s[36:37]
	v_mul_f32_e32 v11, 0x3fb8aa3b, v10
	v_fma_f32 v14, v10, s56, -v11
	v_rndne_f32_e32 v15, v11
	v_fmac_f32_e32 v14, 0x32a5705f, v10
	v_sub_f32_e32 v11, v11, v15
	v_add_f32_e32 v11, v11, v14
	v_exp_f32_e32 v11, v11
	v_cvt_i32_f32_e32 v14, v15
	v_cmp_ngt_f32_e32 vcc, s57, v10
	v_cvt_f16_f32_e32 v9, v9
	v_ldexp_f32 v11, v11, v14
	v_cndmask_b32_e32 v11, 0, v11, vcc
	v_cmp_nlt_f32_e32 vcc, s58, v10
	v_cndmask_b32_e32 v11, v34, v11, vcc
	v_cmp_le_f32_e32 vcc, s59, v10
	v_cndmask_b32_e32 v10, 0, v11, vcc
	v_fmac_f32_e32 v37, v105, v10
	v_cvt_f16_f32_e32 v10, v10
	v_cvt_f16_f32_e32 v11, v21
	v_mov_b32_e32 v21, s39
	v_pk_mul_f16 v92, v10, v92 op_sel_hi:[0,1]
	v_pk_mul_f16 v91, v10, v91 op_sel_hi:[0,1]
	;; [unrolled: 1-line block ×8, first 2 shown]
	v_cvt_f16_f32_e32 v10, v20
	v_pack_b32_f16 v18, v10, v11
	v_cvt_f16_f32_e32 v10, v106
	v_cvt_f16_f32_e32 v11, v107
	v_cvt_f32_f16_e32 v106, v94
	v_cvt_f32_f16_sdwa v107, v94 dst_sel:DWORD dst_unused:UNUSED_PAD src0_sel:WORD_1
	v_pack_b32_f16 v19, v10, v11
	v_cvt_f16_f32_e32 v10, v16
	v_cvt_f16_f32_e32 v11, v17
	v_pack_b32_f16 v16, v10, v11
	v_cvt_f16_f32_e32 v10, v108
	v_cvt_f16_f32_e32 v11, v109
	v_cvt_f32_f16_e32 v108, v93
	v_cvt_f32_f16_sdwa v109, v93 dst_sel:DWORD dst_unused:UNUSED_PAD src0_sel:WORD_1
	v_pack_b32_f16 v17, v10, v11
	v_cvt_f16_f32_e32 v10, v110
	v_cvt_f16_f32_e32 v11, v111
	v_pack_b32_f16 v14, v10, v11
	v_cvt_f16_f32_e32 v10, v12
	v_cvt_f16_f32_e32 v11, v13
	v_pack_b32_f16 v13, v8, v9
	v_add_co_u32_e32 v8, vcc, s38, v66
	v_mov_b32_e32 v9, s39
	v_addc_co_u32_e32 v9, vcc, v9, v67, vcc
	v_pack_b32_f16 v15, v10, v11
	v_cvt_f16_f32_e32 v10, v112
	v_cvt_f16_f32_e32 v11, v113
	v_add_co_u32_e32 v8, vcc, v8, v83
	v_addc_co_u32_e32 v9, vcc, 0, v9, vcc
	v_add_co_u32_e32 v20, vcc, s38, v68
	v_addc_co_u32_e32 v21, vcc, v21, v69, vcc
	v_pack_b32_f16 v12, v10, v11
	v_mov_b32_e32 v10, s49
	v_mov_b32_e32 v11, s48
	v_add_co_u32_e32 v20, vcc, v20, v83
	v_cndmask_b32_e64 v9, v10, v9, s[40:41]
	v_cndmask_b32_e64 v8, v11, v8, s[40:41]
	v_addc_co_u32_e32 v21, vcc, 0, v21, vcc
	v_cndmask_b32_e64 v21, v10, v21, s[10:11]
	v_cndmask_b32_e64 v20, v11, v20, s[10:11]
	flat_load_dwordx4 v[8:11], v[8:9]
	v_cmp_lt_i32_e32 vcc, s62, v97
	s_and_b64 vcc, exec, vcc
	s_waitcnt vmcnt(0) lgkmcnt(0)
	ds_write_b128 v119, v[8:11]
	flat_load_dwordx4 v[8:11], v[20:21]
	s_waitcnt vmcnt(0) lgkmcnt(0)
	ds_write_b128 v120, v[8:11]
	s_waitcnt lgkmcnt(0)
	s_barrier
	ds_read_u16 v20, v125 offset:288
	ds_read_u16 v21, v71
	ds_read_u16 v95, v71 offset:32
	v_cvt_f32_f16_e32 v10, v91
	v_cvt_f32_f16_sdwa v11, v91 dst_sel:DWORD dst_unused:UNUSED_PAD src0_sel:WORD_1
	v_cvt_f32_f16_e32 v8, v92
	s_waitcnt lgkmcnt(1)
	v_perm_b32 v21, v21, v20, s60
	ds_read_u16 v20, v124
	ds_read_u16 v102, v124 offset:32
	ds_read_u16 v91, v125 offset:144
	;; [unrolled: 1-line block ×3, first 2 shown]
	v_cvt_f32_f16_sdwa v9, v92 dst_sel:DWORD dst_unused:UNUSED_PAD src0_sel:WORD_1
	s_waitcnt lgkmcnt(1)
	v_perm_b32 v20, v91, v20, s60
	s_nop 1
	v_mfma_f32_16x16x16f16 v[8:11], v[20:21], v[18:19], v[8:11]
	ds_read_u16 v20, v124 offset:2304
	ds_read_u16 v91, v125 offset:2448
	ds_read_u16 v21, v84 offset:288
	ds_read_u16 v92, v71 offset:2304
	s_waitcnt lgkmcnt(2)
	v_perm_b32 v20, v91, v20, s60
	s_waitcnt lgkmcnt(0)
	v_perm_b32 v21, v92, v21, s60
	s_nop 2
	v_cvt_f16_f32_e32 v8, v8
	v_cvt_f16_f32_e32 v9, v9
	v_cvt_f16_f32_e32 v10, v10
	v_cvt_f16_f32_e32 v11, v11
	v_cvt_f32_f16_e32 v8, v8
	v_cvt_f32_f16_e32 v9, v9
	v_cvt_f32_f16_e32 v10, v10
	v_cvt_f32_f16_e32 v11, v11
	s_nop 1
	v_mfma_f32_16x16x16f16 v[8:11], v[20:21], v[16:17], v[8:11]
	ds_read_u16 v20, v124 offset:4608
	ds_read_u16 v91, v125 offset:4752
	ds_read_u16 v21, v85 offset:288
	ds_read_u16 v92, v71 offset:4608
	s_waitcnt lgkmcnt(2)
	v_perm_b32 v20, v91, v20, s60
	s_waitcnt lgkmcnt(0)
	v_perm_b32 v21, v92, v21, s60
	s_nop 2
	v_cvt_f16_f32_e32 v8, v8
	v_cvt_f16_f32_e32 v9, v9
	v_cvt_f16_f32_e32 v10, v10
	v_cvt_f16_f32_e32 v11, v11
	v_cvt_f32_f16_e32 v8, v8
	v_cvt_f32_f16_e32 v9, v9
	v_cvt_f32_f16_e32 v10, v10
	v_cvt_f32_f16_e32 v11, v11
	;; [unrolled: 19-line block ×3, first 2 shown]
	s_nop 1
	v_mfma_f32_16x16x16f16 v[8:11], v[20:21], v[12:13], v[8:11]
	ds_read_u16 v20, v88 offset:288
	s_waitcnt lgkmcnt(0)
	v_perm_b32 v21, v95, v20, s60
	v_perm_b32 v20, v103, v102, s60
	s_nop 6
	v_cvt_f16_f32_e32 v8, v8
	v_cvt_f16_f32_e32 v9, v9
	;; [unrolled: 1-line block ×4, first 2 shown]
	v_pack_b32_f16 v92, v8, v9
	v_cvt_f32_f16_e32 v8, v90
	v_pack_b32_f16 v91, v10, v11
	v_cvt_f32_f16_sdwa v9, v90 dst_sel:DWORD dst_unused:UNUSED_PAD src0_sel:WORD_1
	v_cvt_f32_f16_e32 v10, v89
	v_cvt_f32_f16_sdwa v11, v89 dst_sel:DWORD dst_unused:UNUSED_PAD src0_sel:WORD_1
	s_nop 1
	v_mfma_f32_16x16x16f16 v[8:11], v[20:21], v[18:19], v[8:11]
	ds_read_u16 v20, v124 offset:2336
	ds_read_u16 v89, v125 offset:2480
	ds_read_u16 v21, v70 offset:288
	ds_read_u16 v90, v71 offset:2336
	s_waitcnt lgkmcnt(2)
	v_perm_b32 v20, v89, v20, s60
	s_waitcnt lgkmcnt(0)
	v_perm_b32 v21, v90, v21, s60
	s_nop 2
	v_cvt_f16_f32_e32 v8, v8
	v_cvt_f16_f32_e32 v9, v9
	v_cvt_f16_f32_e32 v10, v10
	v_cvt_f16_f32_e32 v11, v11
	v_cvt_f32_f16_e32 v8, v8
	v_cvt_f32_f16_e32 v9, v9
	v_cvt_f32_f16_e32 v10, v10
	v_cvt_f32_f16_e32 v11, v11
	s_nop 1
	v_mfma_f32_16x16x16f16 v[8:11], v[20:21], v[16:17], v[8:11]
	ds_read_u16 v20, v124 offset:4640
	ds_read_u16 v89, v125 offset:4784
	ds_read_u16 v21, v73 offset:288
	ds_read_u16 v90, v71 offset:4640
	s_waitcnt lgkmcnt(2)
	v_perm_b32 v20, v89, v20, s60
	s_waitcnt lgkmcnt(0)
	v_perm_b32 v21, v90, v21, s60
	s_nop 2
	v_cvt_f16_f32_e32 v8, v8
	v_cvt_f16_f32_e32 v9, v9
	v_cvt_f16_f32_e32 v10, v10
	v_cvt_f16_f32_e32 v11, v11
	v_cvt_f32_f16_e32 v8, v8
	v_cvt_f32_f16_e32 v9, v9
	v_cvt_f32_f16_e32 v10, v10
	v_cvt_f32_f16_e32 v11, v11
	;; [unrolled: 19-line block ×3, first 2 shown]
	s_nop 1
	v_mfma_f32_16x16x16f16 v[8:11], v[20:21], v[12:13], v[8:11]
	s_nop 7
	s_nop 2
	v_cvt_f16_f32_e32 v8, v8
	v_cvt_f16_f32_e32 v9, v9
	;; [unrolled: 1-line block ×4, first 2 shown]
	v_pack_b32_f16 v95, v8, v9
	v_pack_b32_f16 v89, v10, v11
	ds_read_u16 v8, v124 offset:64
	ds_read_u16 v10, v125 offset:208
	;; [unrolled: 1-line block ×8, first 2 shown]
	s_waitcnt lgkmcnt(6)
	v_perm_b32 v8, v10, v8, s60
	s_waitcnt lgkmcnt(2)
	v_perm_b32 v20, v90, v20, s60
	v_perm_b32 v9, v11, v9, s60
	s_waitcnt lgkmcnt(0)
	v_perm_b32 v21, v93, v21, s60
	v_mfma_f32_16x16x16f16 v[8:11], v[8:9], v[18:19], v[106:109]
	s_nop 7
	s_nop 2
	v_cvt_f16_f32_e32 v8, v8
	v_cvt_f16_f32_e32 v9, v9
	v_cvt_f16_f32_e32 v10, v10
	v_cvt_f16_f32_e32 v11, v11
	v_cvt_f32_f16_e32 v8, v8
	v_cvt_f32_f16_e32 v9, v9
	v_cvt_f32_f16_e32 v10, v10
	v_cvt_f32_f16_e32 v11, v11
	s_nop 1
	v_mfma_f32_16x16x16f16 v[8:11], v[20:21], v[16:17], v[8:11]
	ds_read_u16 v20, v124 offset:4672
	ds_read_u16 v90, v125 offset:4816
	ds_read_u16 v21, v81 offset:288
	ds_read_u16 v93, v71 offset:4672
	s_waitcnt lgkmcnt(2)
	v_perm_b32 v20, v90, v20, s60
	s_waitcnt lgkmcnt(0)
	v_perm_b32 v21, v93, v21, s60
	s_nop 2
	v_cvt_f16_f32_e32 v8, v8
	v_cvt_f16_f32_e32 v9, v9
	v_cvt_f16_f32_e32 v10, v10
	v_cvt_f16_f32_e32 v11, v11
	v_cvt_f32_f16_e32 v8, v8
	v_cvt_f32_f16_e32 v9, v9
	v_cvt_f32_f16_e32 v10, v10
	v_cvt_f32_f16_e32 v11, v11
	s_nop 1
	v_mfma_f32_16x16x16f16 v[8:11], v[20:21], v[14:15], v[8:11]
	ds_read_u16 v20, v124 offset:6976
	ds_read_u16 v90, v125 offset:7120
	ds_read_u16 v21, v72 offset:288
	ds_read_u16 v93, v71 offset:6976
	s_waitcnt lgkmcnt(2)
	v_perm_b32 v20, v90, v20, s60
	s_waitcnt lgkmcnt(0)
	v_perm_b32 v21, v93, v21, s60
	;; [unrolled: 19-line block ×3, first 2 shown]
	s_nop 2
	v_cvt_f16_f32_e32 v8, v8
	v_cvt_f16_f32_e32 v9, v9
	;; [unrolled: 1-line block ×4, first 2 shown]
	v_pack_b32_f16 v94, v8, v9
	v_cvt_f32_f16_e32 v8, v23
	v_pack_b32_f16 v93, v10, v11
	v_cvt_f32_f16_sdwa v9, v23 dst_sel:DWORD dst_unused:UNUSED_PAD src0_sel:WORD_1
	v_cvt_f32_f16_e32 v10, v22
	v_cvt_f32_f16_sdwa v11, v22 dst_sel:DWORD dst_unused:UNUSED_PAD src0_sel:WORD_1
	s_nop 1
	v_mfma_f32_16x16x16f16 v[8:11], v[20:21], v[18:19], v[8:11]
	ds_read_u16 v18, v124 offset:2400
	ds_read_u16 v20, v125 offset:2544
	;; [unrolled: 1-line block ×4, first 2 shown]
	s_waitcnt lgkmcnt(2)
	v_perm_b32 v18, v20, v18, s60
	s_waitcnt lgkmcnt(0)
	v_perm_b32 v19, v21, v19, s60
	s_nop 2
	v_cvt_f16_f32_e32 v8, v8
	v_cvt_f16_f32_e32 v9, v9
	;; [unrolled: 1-line block ×4, first 2 shown]
	v_cvt_f32_f16_e32 v8, v8
	v_cvt_f32_f16_e32 v9, v9
	v_cvt_f32_f16_e32 v10, v10
	v_cvt_f32_f16_e32 v11, v11
	s_nop 1
	v_mfma_f32_16x16x16f16 v[8:11], v[18:19], v[16:17], v[8:11]
	ds_read_u16 v16, v124 offset:4704
	ds_read_u16 v18, v125 offset:4848
	ds_read_u16 v17, v75 offset:288
	ds_read_u16 v19, v71 offset:4704
	s_waitcnt lgkmcnt(2)
	v_perm_b32 v16, v18, v16, s60
	s_waitcnt lgkmcnt(0)
	v_perm_b32 v17, v19, v17, s60
	s_nop 2
	v_cvt_f16_f32_e32 v8, v8
	v_cvt_f16_f32_e32 v9, v9
	;; [unrolled: 1-line block ×4, first 2 shown]
	v_cvt_f32_f16_e32 v8, v8
	v_cvt_f32_f16_e32 v9, v9
	;; [unrolled: 1-line block ×4, first 2 shown]
	s_nop 1
	v_mfma_f32_16x16x16f16 v[14:17], v[16:17], v[14:15], v[8:11]
	s_nop 7
	s_nop 2
	v_cvt_f16_f32_e32 v9, v14
	v_cvt_f16_f32_e32 v10, v15
	;; [unrolled: 1-line block ×4, first 2 shown]
	ds_read_u16 v8, v124 offset:7008
	ds_read_u16 v15, v125 offset:7152
	;; [unrolled: 1-line block ×4, first 2 shown]
	v_cvt_f32_f16_e32 v18, v9
	v_cvt_f32_f16_e32 v19, v10
	s_waitcnt lgkmcnt(2)
	v_perm_b32 v8, v15, v8, s60
	v_cvt_f32_f16_e32 v20, v11
	s_waitcnt lgkmcnt(0)
	v_perm_b32 v9, v17, v16, s60
	v_cvt_f32_f16_e32 v21, v14
	s_barrier
	s_nop 0
	v_mfma_f32_16x16x16f16 v[8:11], v[8:9], v[12:13], v[18:21]
	s_nop 7
	s_nop 2
	v_cvt_f16_f32_e32 v8, v8
	v_cvt_f16_f32_e32 v9, v9
	v_cvt_f16_f32_e32 v10, v10
	v_cvt_f16_f32_e32 v11, v11
	v_pack_b32_f16 v103, v8, v9
	v_pack_b32_f16 v102, v10, v11
	s_cbranch_vccz .LBB0_325
; %bb.323:                              ;   in Loop: Header=BB0_310 Depth=1
	v_mov_b32_e32 v105, v37
	v_mov_b32_e32 v90, v104
	s_branch .LBB0_310
.LBB0_324:
	v_mov_b32_e32 v37, 0
	v_mov_b32_e32 v104, 0xfeffffff
	;; [unrolled: 1-line block ×9, first 2 shown]
	s_branch .LBB0_326
.LBB0_325:
	buffer_load_dword v105, off, s[0:3], 0 offset:324 ; 4-byte Folded Reload
	buffer_load_dword v96, off, s[0:3], 0 offset:16 ; 4-byte Folded Reload
	;; [unrolled: 1-line block ×17, first 2 shown]
	v_mbcnt_lo_u32_b32 v64, -1, 0
	v_and_b32_e32 v98, 31, v74
	v_and_b32_e32 v111, 15, v74
	v_lshrrev_b32_e32 v65, 2, v74
	v_lshlrev_b32_e32 v29, 2, v74
	v_lshlrev_b32_e32 v12, 1, v74
.LBB0_326:
	s_lshl_b32 s44, s62, 6
	v_readlane_b32 s4, v126, 4
	s_sub_i32 s48, s4, s44
	s_cmp_lg_u64 s[42:43], 0
	s_cselect_b64 s[6:7], -1, 0
	s_ashr_i32 s45, s44, 31
	s_cmp_eq_u64 s[42:43], 0
	v_readlane_b32 s5, v126, 5
	s_cbranch_scc1 .LBB0_360
; %bb.327:
	s_lshl_b64 s[4:5], s[44:45], 1
	s_add_u32 s4, s42, s4
	s_addc_u32 s5, s43, s5
	v_mov_b32_e32 v9, s5
	v_add_co_u32_e64 v8, s[4:5], s4, v12
	v_cmp_gt_i32_e32 vcc, s48, v74
	v_mov_b32_e32 v10, 0
	v_addc_co_u32_e64 v9, s[4:5], 0, v9, s[4:5]
	v_mov_b32_e32 v12, 0
	s_and_saveexec_b64 s[10:11], vcc
	s_cbranch_execz .LBB0_329
; %bb.328:
	s_waitcnt vmcnt(16)
	v_add_u32_e32 v11, s33, v105
	v_readlane_b32 s4, v126, 13
	v_mul_hi_u32 v12, s4, v11
	v_readlane_b32 s5, v126, 14
	v_add_u32_e32 v12, v11, v12
	v_lshrrev_b32_e32 v12, s5, v12
	v_mul_lo_u32 v12, v12, s96
	v_sub_u32_e32 v11, v11, v12
	v_mad_i64_i32 v[12:13], s[4:5], v11, s88, 0
	v_lshlrev_b64 v[12:13], 1, v[12:13]
	v_add_co_u32_e64 v12, s[4:5], v8, v12
	v_addc_co_u32_e64 v13, s[4:5], v9, v13, s[4:5]
	flat_load_ushort v12, v[12:13]
.LBB0_329:
	s_or_b64 exec, exec, s[10:11]
	s_movk_i32 s4, 0x90
	s_waitcnt vmcnt(0)
	v_mad_u32_u24 v11, v105, s4, 0
	v_lshl_add_u32 v13, v74, 1, v11
	s_waitcnt lgkmcnt(0)
	ds_write_b16 v13, v12 offset:9216
	s_and_saveexec_b64 s[10:11], vcc
	s_cbranch_execz .LBB0_331
; %bb.330:
	v_add3_u32 v10, v105, s33, 4
	v_readlane_b32 s4, v126, 13
	v_mul_hi_u32 v12, s4, v10
	v_readlane_b32 s5, v126, 14
	v_add_u32_e32 v12, v10, v12
	v_lshrrev_b32_e32 v12, s5, v12
	v_mul_lo_u32 v12, v12, s96
	v_sub_u32_e32 v10, v10, v12
	v_mad_i64_i32 v[12:13], s[4:5], v10, s88, 0
	v_lshlrev_b64 v[12:13], 1, v[12:13]
	v_add_co_u32_e64 v12, s[4:5], v8, v12
	v_addc_co_u32_e64 v13, s[4:5], v9, v13, s[4:5]
	flat_load_ushort v10, v[12:13]
.LBB0_331:
	s_or_b64 exec, exec, s[10:11]
	v_add_u32_e32 v11, 0x240, v11
	v_lshl_add_u32 v12, v74, 1, v11
	s_waitcnt vmcnt(0) lgkmcnt(0)
	ds_write_b16 v12, v10 offset:9216
	v_mov_b32_e32 v10, 0
	v_mov_b32_e32 v12, 0
	s_and_saveexec_b64 s[10:11], vcc
	s_cbranch_execz .LBB0_333
; %bb.332:
	v_add3_u32 v12, v105, s33, 8
	v_readlane_b32 s4, v126, 13
	v_mul_hi_u32 v13, s4, v12
	v_readlane_b32 s5, v126, 14
	v_add_u32_e32 v13, v12, v13
	v_lshrrev_b32_e32 v13, s5, v13
	v_mul_lo_u32 v13, v13, s96
	v_sub_u32_e32 v12, v12, v13
	v_mad_i64_i32 v[12:13], s[4:5], v12, s88, 0
	v_lshlrev_b64 v[12:13], 1, v[12:13]
	v_add_co_u32_e64 v12, s[4:5], v8, v12
	v_addc_co_u32_e64 v13, s[4:5], v9, v13, s[4:5]
	flat_load_ushort v12, v[12:13]
.LBB0_333:
	s_or_b64 exec, exec, s[10:11]
	v_add_u32_e32 v11, 0x240, v11
	v_lshl_add_u32 v13, v74, 1, v11
	s_waitcnt vmcnt(0) lgkmcnt(0)
	ds_write_b16 v13, v12 offset:9216
	s_and_saveexec_b64 s[10:11], vcc
	s_cbranch_execz .LBB0_335
; %bb.334:
	v_add3_u32 v10, v105, s33, 12
	v_readlane_b32 s4, v126, 13
	v_mul_hi_u32 v12, s4, v10
	v_readlane_b32 s5, v126, 14
	v_add_u32_e32 v12, v10, v12
	v_lshrrev_b32_e32 v12, s5, v12
	v_mul_lo_u32 v12, v12, s96
	v_sub_u32_e32 v10, v10, v12
	v_mad_i64_i32 v[12:13], s[4:5], v10, s88, 0
	v_lshlrev_b64 v[12:13], 1, v[12:13]
	v_add_co_u32_e64 v12, s[4:5], v8, v12
	v_addc_co_u32_e64 v13, s[4:5], v9, v13, s[4:5]
	flat_load_ushort v10, v[12:13]
.LBB0_335:
	s_or_b64 exec, exec, s[10:11]
	v_add_u32_e32 v11, 0x240, v11
	v_lshl_add_u32 v12, v74, 1, v11
	s_waitcnt vmcnt(0) lgkmcnt(0)
	ds_write_b16 v12, v10 offset:9216
	v_mov_b32_e32 v10, 0
	v_mov_b32_e32 v12, 0
	s_and_saveexec_b64 s[10:11], vcc
	s_cbranch_execz .LBB0_337
; %bb.336:
	v_add3_u32 v12, v105, s33, 16
	v_readlane_b32 s4, v126, 13
	v_mul_hi_u32 v13, s4, v12
	v_readlane_b32 s5, v126, 14
	v_add_u32_e32 v13, v12, v13
	v_lshrrev_b32_e32 v13, s5, v13
	v_mul_lo_u32 v13, v13, s96
	v_sub_u32_e32 v12, v12, v13
	v_mad_i64_i32 v[12:13], s[4:5], v12, s88, 0
	v_lshlrev_b64 v[12:13], 1, v[12:13]
	v_add_co_u32_e64 v12, s[4:5], v8, v12
	v_addc_co_u32_e64 v13, s[4:5], v9, v13, s[4:5]
	flat_load_ushort v12, v[12:13]
.LBB0_337:
	s_or_b64 exec, exec, s[10:11]
	v_add_u32_e32 v11, 0x240, v11
	v_lshl_add_u32 v13, v74, 1, v11
	s_waitcnt vmcnt(0) lgkmcnt(0)
	ds_write_b16 v13, v12 offset:9216
	s_and_saveexec_b64 s[10:11], vcc
	s_cbranch_execz .LBB0_339
; %bb.338:
	v_add3_u32 v10, v105, s33, 20
	v_readlane_b32 s4, v126, 13
	v_mul_hi_u32 v12, s4, v10
	v_readlane_b32 s5, v126, 14
	v_add_u32_e32 v12, v10, v12
	v_lshrrev_b32_e32 v12, s5, v12
	v_mul_lo_u32 v12, v12, s96
	v_sub_u32_e32 v10, v10, v12
	v_mad_i64_i32 v[12:13], s[4:5], v10, s88, 0
	v_lshlrev_b64 v[12:13], 1, v[12:13]
	v_add_co_u32_e64 v12, s[4:5], v8, v12
	v_addc_co_u32_e64 v13, s[4:5], v9, v13, s[4:5]
	flat_load_ushort v10, v[12:13]
.LBB0_339:
	s_or_b64 exec, exec, s[10:11]
	v_add_u32_e32 v11, 0x240, v11
	v_lshl_add_u32 v12, v74, 1, v11
	s_waitcnt vmcnt(0) lgkmcnt(0)
	ds_write_b16 v12, v10 offset:9216
	v_mov_b32_e32 v10, 0
	v_mov_b32_e32 v12, 0
	s_and_saveexec_b64 s[10:11], vcc
	s_cbranch_execz .LBB0_341
; %bb.340:
	v_add3_u32 v12, v105, s33, 24
	v_readlane_b32 s4, v126, 13
	v_mul_hi_u32 v13, s4, v12
	v_readlane_b32 s5, v126, 14
	v_add_u32_e32 v13, v12, v13
	v_lshrrev_b32_e32 v13, s5, v13
	v_mul_lo_u32 v13, v13, s96
	v_sub_u32_e32 v12, v12, v13
	v_mad_i64_i32 v[12:13], s[4:5], v12, s88, 0
	v_lshlrev_b64 v[12:13], 1, v[12:13]
	v_add_co_u32_e64 v12, s[4:5], v8, v12
	v_addc_co_u32_e64 v13, s[4:5], v9, v13, s[4:5]
	flat_load_ushort v12, v[12:13]
.LBB0_341:
	s_or_b64 exec, exec, s[10:11]
	v_add_u32_e32 v11, 0x240, v11
	v_lshl_add_u32 v13, v74, 1, v11
	s_waitcnt vmcnt(0) lgkmcnt(0)
	ds_write_b16 v13, v12 offset:9216
	s_and_saveexec_b64 s[10:11], vcc
	s_cbranch_execz .LBB0_343
; %bb.342:
	v_add3_u32 v10, v105, s33, 28
	v_readlane_b32 s4, v126, 13
	v_mul_hi_u32 v12, s4, v10
	v_readlane_b32 s5, v126, 14
	v_add_u32_e32 v12, v10, v12
	v_lshrrev_b32_e32 v12, s5, v12
	v_mul_lo_u32 v12, v12, s96
	v_sub_u32_e32 v10, v10, v12
	v_mad_i64_i32 v[12:13], s[4:5], v10, s88, 0
	v_lshlrev_b64 v[12:13], 1, v[12:13]
	v_add_co_u32_e64 v12, s[4:5], v8, v12
	v_addc_co_u32_e64 v13, s[4:5], v9, v13, s[4:5]
	flat_load_ushort v10, v[12:13]
.LBB0_343:
	s_or_b64 exec, exec, s[10:11]
	v_add_u32_e32 v11, 0x240, v11
	v_lshl_add_u32 v12, v74, 1, v11
	s_waitcnt vmcnt(0) lgkmcnt(0)
	ds_write_b16 v12, v10 offset:9216
	v_mov_b32_e32 v10, 0
	v_mov_b32_e32 v12, 0
	s_and_saveexec_b64 s[10:11], vcc
	s_cbranch_execz .LBB0_345
; %bb.344:
	v_add3_u32 v12, v105, s33, 32
	v_readlane_b32 s4, v126, 13
	v_mul_hi_u32 v13, s4, v12
	v_readlane_b32 s5, v126, 14
	v_add_u32_e32 v13, v12, v13
	v_lshrrev_b32_e32 v13, s5, v13
	v_mul_lo_u32 v13, v13, s96
	v_sub_u32_e32 v12, v12, v13
	v_mad_i64_i32 v[12:13], s[4:5], v12, s88, 0
	v_lshlrev_b64 v[12:13], 1, v[12:13]
	v_add_co_u32_e64 v12, s[4:5], v8, v12
	v_addc_co_u32_e64 v13, s[4:5], v9, v13, s[4:5]
	flat_load_ushort v12, v[12:13]
.LBB0_345:
	s_or_b64 exec, exec, s[10:11]
	v_add_u32_e32 v11, 0x240, v11
	v_lshl_add_u32 v13, v74, 1, v11
	s_waitcnt vmcnt(0) lgkmcnt(0)
	ds_write_b16 v13, v12 offset:9216
	s_and_saveexec_b64 s[10:11], vcc
	s_cbranch_execz .LBB0_347
; %bb.346:
	v_add3_u32 v10, v105, s33, 36
	v_readlane_b32 s4, v126, 13
	v_mul_hi_u32 v12, s4, v10
	v_readlane_b32 s5, v126, 14
	v_add_u32_e32 v12, v10, v12
	v_lshrrev_b32_e32 v12, s5, v12
	v_mul_lo_u32 v12, v12, s96
	v_sub_u32_e32 v10, v10, v12
	v_mad_i64_i32 v[12:13], s[4:5], v10, s88, 0
	v_lshlrev_b64 v[12:13], 1, v[12:13]
	v_add_co_u32_e64 v12, s[4:5], v8, v12
	v_addc_co_u32_e64 v13, s[4:5], v9, v13, s[4:5]
	flat_load_ushort v10, v[12:13]
.LBB0_347:
	s_or_b64 exec, exec, s[10:11]
	v_add_u32_e32 v11, 0x240, v11
	v_lshl_add_u32 v12, v74, 1, v11
	s_waitcnt vmcnt(0) lgkmcnt(0)
	ds_write_b16 v12, v10 offset:9216
	v_mov_b32_e32 v10, 0
	v_mov_b32_e32 v12, 0
	s_and_saveexec_b64 s[10:11], vcc
	s_cbranch_execz .LBB0_349
; %bb.348:
	v_add3_u32 v12, v105, s33, 40
	v_readlane_b32 s4, v126, 13
	v_mul_hi_u32 v13, s4, v12
	v_readlane_b32 s5, v126, 14
	v_add_u32_e32 v13, v12, v13
	v_lshrrev_b32_e32 v13, s5, v13
	v_mul_lo_u32 v13, v13, s96
	v_sub_u32_e32 v12, v12, v13
	v_mad_i64_i32 v[12:13], s[4:5], v12, s88, 0
	v_lshlrev_b64 v[12:13], 1, v[12:13]
	v_add_co_u32_e64 v12, s[4:5], v8, v12
	v_addc_co_u32_e64 v13, s[4:5], v9, v13, s[4:5]
	flat_load_ushort v12, v[12:13]
.LBB0_349:
	s_or_b64 exec, exec, s[10:11]
	v_add_u32_e32 v11, 0x240, v11
	v_lshl_add_u32 v13, v74, 1, v11
	s_waitcnt vmcnt(0) lgkmcnt(0)
	ds_write_b16 v13, v12 offset:9216
	s_and_saveexec_b64 s[10:11], vcc
	s_cbranch_execz .LBB0_351
; %bb.350:
	v_add3_u32 v10, v105, s33, 44
	v_readlane_b32 s4, v126, 13
	v_mul_hi_u32 v12, s4, v10
	v_readlane_b32 s5, v126, 14
	v_add_u32_e32 v12, v10, v12
	v_lshrrev_b32_e32 v12, s5, v12
	v_mul_lo_u32 v12, v12, s96
	v_sub_u32_e32 v10, v10, v12
	v_mad_i64_i32 v[12:13], s[4:5], v10, s88, 0
	v_lshlrev_b64 v[12:13], 1, v[12:13]
	v_add_co_u32_e64 v12, s[4:5], v8, v12
	v_addc_co_u32_e64 v13, s[4:5], v9, v13, s[4:5]
	flat_load_ushort v10, v[12:13]
.LBB0_351:
	s_or_b64 exec, exec, s[10:11]
	v_add_u32_e32 v11, 0x240, v11
	v_lshl_add_u32 v12, v74, 1, v11
	s_waitcnt vmcnt(0) lgkmcnt(0)
	ds_write_b16 v12, v10 offset:9216
	v_mov_b32_e32 v10, 0
	v_mov_b32_e32 v12, 0
	s_and_saveexec_b64 s[10:11], vcc
	s_cbranch_execz .LBB0_353
; %bb.352:
	v_add3_u32 v12, v105, s33, 48
	v_readlane_b32 s4, v126, 13
	v_mul_hi_u32 v13, s4, v12
	v_readlane_b32 s5, v126, 14
	v_add_u32_e32 v13, v12, v13
	v_lshrrev_b32_e32 v13, s5, v13
	v_mul_lo_u32 v13, v13, s96
	v_sub_u32_e32 v12, v12, v13
	v_mad_i64_i32 v[12:13], s[4:5], v12, s88, 0
	v_lshlrev_b64 v[12:13], 1, v[12:13]
	v_add_co_u32_e64 v12, s[4:5], v8, v12
	v_addc_co_u32_e64 v13, s[4:5], v9, v13, s[4:5]
	flat_load_ushort v12, v[12:13]
.LBB0_353:
	s_or_b64 exec, exec, s[10:11]
	v_add_u32_e32 v11, 0x240, v11
	v_lshl_add_u32 v13, v74, 1, v11
	s_waitcnt vmcnt(0) lgkmcnt(0)
	ds_write_b16 v13, v12 offset:9216
	s_and_saveexec_b64 s[10:11], vcc
	s_cbranch_execz .LBB0_355
; %bb.354:
	v_add3_u32 v10, v105, s33, 52
	v_readlane_b32 s4, v126, 13
	v_mul_hi_u32 v12, s4, v10
	v_readlane_b32 s5, v126, 14
	v_add_u32_e32 v12, v10, v12
	v_lshrrev_b32_e32 v12, s5, v12
	v_mul_lo_u32 v12, v12, s96
	v_sub_u32_e32 v10, v10, v12
	v_mad_i64_i32 v[12:13], s[4:5], v10, s88, 0
	v_lshlrev_b64 v[12:13], 1, v[12:13]
	v_add_co_u32_e64 v12, s[4:5], v8, v12
	v_addc_co_u32_e64 v13, s[4:5], v9, v13, s[4:5]
	flat_load_ushort v10, v[12:13]
.LBB0_355:
	s_or_b64 exec, exec, s[10:11]
	v_add_u32_e32 v11, 0x240, v11
	v_lshl_add_u32 v12, v74, 1, v11
	s_waitcnt vmcnt(0) lgkmcnt(0)
	ds_write_b16 v12, v10 offset:9216
	v_mov_b32_e32 v10, 0
	v_mov_b32_e32 v12, 0
	s_and_saveexec_b64 s[10:11], vcc
	s_cbranch_execz .LBB0_357
; %bb.356:
	v_add3_u32 v12, v105, s33, 56
	v_readlane_b32 s4, v126, 13
	v_mul_hi_u32 v13, s4, v12
	v_readlane_b32 s5, v126, 14
	v_add_u32_e32 v13, v12, v13
	v_lshrrev_b32_e32 v13, s5, v13
	v_mul_lo_u32 v13, v13, s96
	v_sub_u32_e32 v12, v12, v13
	v_mad_i64_i32 v[12:13], s[4:5], v12, s88, 0
	v_lshlrev_b64 v[12:13], 1, v[12:13]
	v_add_co_u32_e64 v12, s[4:5], v8, v12
	v_addc_co_u32_e64 v13, s[4:5], v9, v13, s[4:5]
	flat_load_ushort v12, v[12:13]
.LBB0_357:
	s_or_b64 exec, exec, s[10:11]
	v_add_u32_e32 v11, 0x240, v11
	v_lshl_add_u32 v11, v74, 1, v11
	s_waitcnt vmcnt(0) lgkmcnt(0)
	ds_write_b16 v11, v12 offset:9216
	s_and_saveexec_b64 s[4:5], vcc
	s_cbranch_execz .LBB0_359
; %bb.358:
	v_add3_u32 v10, v105, s33, 60
	v_readlane_b32 s10, v126, 13
	v_mul_hi_u32 v12, s10, v10
	v_readlane_b32 s11, v126, 14
	v_add_u32_e32 v12, v10, v12
	v_lshrrev_b32_e32 v12, s11, v12
	v_mul_lo_u32 v12, v12, s96
	v_sub_u32_e32 v10, v10, v12
	v_mad_i64_i32 v[12:13], s[10:11], v10, s88, 0
	v_lshlrev_b64 v[12:13], 1, v[12:13]
	v_add_co_u32_e32 v8, vcc, v8, v12
	v_addc_co_u32_e32 v9, vcc, v9, v13, vcc
	flat_load_ushort v10, v[8:9]
.LBB0_359:
	s_or_b64 exec, exec, s[4:5]
	s_waitcnt vmcnt(0) lgkmcnt(0)
	ds_write_b16 v11, v10 offset:9792
.LBB0_360:
	s_mul_hi_i32 s5, s44, s94
	s_mul_i32 s4, s44, s94
	s_lshl_b64 s[4:5], s[4:5], 2
	v_mov_b32_e32 v8, 0
	s_waitcnt vmcnt(4)
	v_mul_lo_u32 v12, s94, v61
	s_add_u32 s10, s47, s4
	buffer_store_dword v8, off, s[0:3], 0
	buffer_store_dword v8, off, s[0:3], 0 offset:4
	buffer_store_dword v8, off, s[0:3], 0 offset:8
	;; [unrolled: 1-line block ×3, first 2 shown]
	v_and_b32_e32 v8, 28, v29
	v_ashrrev_i32_e32 v13, 31, v12
	s_addc_u32 s11, s54, s5
	v_lshlrev_b32_e32 v34, 2, v8
	v_lshlrev_b64 v[8:9], 2, v[12:13]
	v_mov_b32_e32 v10, s11
	v_add_co_u32_e32 v8, vcc, s10, v8
	v_addc_co_u32_e32 v9, vcc, v10, v9, vcc
	s_mov_b64 s[4:5], src_private_base
	v_add_co_u32_e32 v8, vcc, v8, v34
	v_addc_co_u32_e32 v9, vcc, 0, v9, vcc
	v_mov_b32_e32 v14, s5
	v_cmp_gt_i32_e64 s[34:35], s48, v61
	v_mov_b32_e32 v15, 0
	v_cndmask_b32_e64 v9, v14, v9, s[34:35]
	v_cndmask_b32_e64 v8, v15, v8, s[34:35]
	flat_load_dwordx4 v[8:11], v[8:9]
	v_mul_u32_u24_e32 v13, 0x90, v61
	v_lshl_add_u32 v12, s94, 5, v12
	v_add3_u32 v38, 0, v13, v34
	v_ashrrev_i32_e32 v13, 31, v12
	v_lshlrev_b64 v[12:13], 2, v[12:13]
	v_mov_b32_e32 v17, s11
	v_add_co_u32_e32 v12, vcc, s10, v12
	v_addc_co_u32_e32 v13, vcc, v17, v13, vcc
	v_add_u32_e32 v16, 32, v61
	v_add_co_u32_e32 v12, vcc, v12, v34
	v_addc_co_u32_e32 v13, vcc, 0, v13, vcc
	v_cmp_gt_i32_e64 s[30:31], s48, v16
	v_cndmask_b32_e64 v13, v14, v13, s[30:31]
	v_cndmask_b32_e64 v12, v15, v12, s[30:31]
	s_waitcnt vmcnt(0)
	v_add3_u32 v32, 0, v27, v28
	v_add_u32_e32 v33, 0x800, v32
	v_add_u32_e32 v35, 0x1000, v32
	;; [unrolled: 1-line block ×3, first 2 shown]
	s_movk_i32 s4, 0x90
	s_and_b64 vcc, exec, s[6:7]
	s_waitcnt lgkmcnt(0)
	ds_write_b128 v38, v[8:11]
	flat_load_dwordx4 v[8:11], v[12:13]
	s_waitcnt vmcnt(0) lgkmcnt(0)
	ds_write_b128 v38, v[8:11] offset:4608
	s_waitcnt lgkmcnt(0)
	s_barrier
	ds_read2_b64 v[8:11], v32 offset1:4
	ds_read2_b64 v[16:19], v33 offset0:32 offset1:36
	ds_read2_b64 v[24:27], v35 offset0:64 offset1:68
	;; [unrolled: 1-line block ×3, first 2 shown]
	s_waitcnt lgkmcnt(3)
	v_mfma_f32_16x16x16f16 v[12:15], v[8:9], v[4:5], 0
	s_waitcnt lgkmcnt(2)
	v_mfma_f32_16x16x16f16 v[20:23], v[16:17], v[4:5], 0
	;; [unrolled: 2-line block ×4, first 2 shown]
	v_mfma_f32_16x16x16f16 v[8:11], v[10:11], v[6:7], v[12:15]
	v_mfma_f32_16x16x16f16 v[12:15], v[18:19], v[6:7], v[20:23]
	;; [unrolled: 1-line block ×3, first 2 shown]
	s_nop 5
	ds_read2_b64 v[20:23], v32 offset0:8 offset1:12
	ds_read2_b64 v[24:27], v33 offset0:40 offset1:44
	v_mfma_f32_16x16x16f16 v[4:7], v[42:43], v[6:7], v[44:47]
	ds_read2_b64 v[28:31], v35 offset0:72 offset1:76
	v_and_b32_e32 v35, 0xfc, v65
	s_nop 4
	ds_read2_b64 v[44:47], v39 offset0:104 offset1:108
	s_waitcnt lgkmcnt(3)
	v_mfma_f32_16x16x16f16 v[8:11], v[20:21], v[0:1], v[8:11]
	s_waitcnt lgkmcnt(0)
	s_barrier
	v_mfma_f32_16x16x16f16 v[12:15], v[24:25], v[0:1], v[12:15]
	v_mfma_f32_16x16x16f16 v[40:43], v[28:29], v[0:1], v[16:19]
	;; [unrolled: 1-line block ×3, first 2 shown]
	v_add_u32_e32 v44, 50, v35
	v_mfma_f32_16x16x16f16 v[18:21], v[22:23], v[2:3], v[8:11]
	v_mfma_f32_16x16x16f16 v[22:25], v[26:27], v[2:3], v[12:15]
	;; [unrolled: 1-line block ×4, first 2 shown]
	s_nop 5
	v_add_u32_e32 v40, 32, v35
	v_add_u32_e32 v42, 34, v35
	;; [unrolled: 1-line block ×5, first 2 shown]
	s_cbranch_vccz .LBB0_368
; %bb.361:
	v_mad_u32_u24 v46, v69, s4, 0
	v_lshl_add_u32 v0, v35, 1, v46
	v_add_u32_e32 v1, v46, v68
	ds_read_b32 v9, v0 offset:9216
	ds_read_b32 v7, v1 offset:9216
	v_add_u32_e32 v39, 16, v35
	v_add_u32_e32 v41, 32, v35
	v_lshlrev_b32_e32 v2, 1, v39
	s_movk_i32 s4, 0x2400
	v_lshlrev_b32_e32 v0, 1, v41
	v_add3_u32 v2, v46, v2, s4
	v_add3_u32 v3, v46, v0, s4
	ds_read2_b32 v[0:1], v2 offset1:1
	ds_read2_b32 v[2:3], v3 offset1:1
	s_waitcnt lgkmcnt(2)
	v_cvt_f32_f16_e32 v6, v7
	v_cvt_f32_f16_sdwa v7, v7 dst_sel:DWORD dst_unused:UNUSED_PAD src0_sel:WORD_1
	v_add_u32_e32 v45, 48, v35
	s_waitcnt lgkmcnt(1)
	v_cvt_f32_f16_e32 v10, v1
	v_cvt_f32_f16_sdwa v11, v1 dst_sel:DWORD dst_unused:UNUSED_PAD src0_sel:WORD_1
	v_pk_fma_f32 v[16:17], v[36:37], v[6:7], v[20:21] op_sel_hi:[0,1,1]
	v_cvt_f32_f16_e32 v6, v0
	v_cvt_f32_f16_sdwa v7, v0 dst_sel:DWORD dst_unused:UNUSED_PAD src0_sel:WORD_1
	s_waitcnt lgkmcnt(0)
	v_cvt_f32_f16_e32 v0, v3
	v_cvt_f32_f16_sdwa v1, v3 dst_sel:DWORD dst_unused:UNUSED_PAD src0_sel:WORD_1
	v_lshlrev_b32_e32 v3, 1, v45
	v_add3_u32 v3, v46, v3, s4
	v_pk_fma_f32 v[12:13], v[36:37], v[10:11], v[24:25] op_sel_hi:[0,1,1]
	v_pk_fma_f32 v[10:11], v[36:37], v[6:7], v[22:23] op_sel_hi:[0,1,1]
	ds_read2_b32 v[6:7], v3 offset1:1
	v_cvt_f32_f16_e32 v8, v9
	v_cvt_f32_f16_sdwa v9, v9 dst_sel:DWORD dst_unused:UNUSED_PAD src0_sel:WORD_1
	v_cvt_f32_f16_e32 v50, v2
	v_cvt_f32_f16_sdwa v51, v2 dst_sel:DWORD dst_unused:UNUSED_PAD src0_sel:WORD_1
	s_waitcnt lgkmcnt(0)
	v_cvt_f32_f16_e32 v2, v7
	v_pk_fma_f32 v[14:15], v[36:37], v[8:9], v[18:19] op_sel_hi:[0,1,1]
	v_pk_fma_f32 v[8:9], v[36:37], v[0:1], v[28:29] op_sel_hi:[0,1,1]
	v_cvt_f32_f16_e32 v0, v6
	v_cvt_f32_f16_sdwa v3, v7 dst_sel:DWORD dst_unused:UNUSED_PAD src0_sel:WORD_1
	v_cvt_f32_f16_sdwa v1, v6 dst_sel:DWORD dst_unused:UNUSED_PAD src0_sel:WORD_1
	v_add_u32_e32 v47, 18, v35
	v_add_u32_e32 v48, 34, v35
	v_pk_fma_f32 v[6:7], v[36:37], v[50:51], v[26:27] op_sel_hi:[0,1,1]
	v_add_u32_e32 v46, 50, v35
	v_pk_fma_f32 v[2:3], v[36:37], v[2:3], v[32:33] op_sel_hi:[0,1,1]
	v_pk_fma_f32 v[0:1], v[36:37], v[0:1], v[30:31] op_sel_hi:[0,1,1]
	v_add_u32_e32 v36, 0x1200, v38
	s_cbranch_execnz .LBB0_363
.LBB0_362:
	v_pk_mov_b32 v[0:1], v[30:31], v[30:31] op_sel:[0,1]
	v_pk_mov_b32 v[6:7], v[26:27], v[26:27] op_sel:[0,1]
	;; [unrolled: 1-line block ×4, first 2 shown]
	v_mov_b32_e32 v46, v44
	v_mov_b32_e32 v45, v43
	;; [unrolled: 1-line block ×6, first 2 shown]
	v_pk_mov_b32 v[2:3], v[32:33], v[32:33] op_sel:[0,1]
	v_pk_mov_b32 v[8:9], v[28:29], v[28:29] op_sel:[0,1]
	;; [unrolled: 1-line block ×4, first 2 shown]
.LBB0_363:
	v_add_f32_e32 v4, 0x40051340, v14
	v_max_f32_e32 v5, v104, v104
	v_max_f32_e32 v4, v5, v4
	v_cmp_gt_u32_e64 s[38:39], s48, v35
	v_cndmask_b32_e64 v4, v104, v4, s[38:39]
	v_or_b32_e32 v5, 1, v35
	v_add_f32_e32 v18, 0x40051340, v15
	v_max_f32_e32 v19, v4, v4
	v_max_f32_e32 v18, v19, v18
	v_cmp_gt_u32_e64 s[36:37], s48, v5
	v_cndmask_b32_e64 v4, v4, v18, s[36:37]
	v_or_b32_e32 v5, 2, v35
	;; [unrolled: 6-line block ×3, first 2 shown]
	v_add_f32_e32 v5, 0x40051340, v17
	v_max_f32_e32 v18, v4, v4
	v_max_f32_e32 v5, v18, v5
	v_cmp_gt_u32_e64 s[28:29], s48, v20
	v_cndmask_b32_e64 v4, v4, v5, s[28:29]
	v_add_f32_e32 v5, 0x40051340, v10
	v_max_f32_e32 v18, v4, v4
	v_max_f32_e32 v5, v18, v5
	v_cmp_gt_u32_e64 s[24:25], s48, v39
	v_cndmask_b32_e64 v4, v4, v5, s[24:25]
	v_add_u32_e32 v5, 17, v35
	v_add_f32_e32 v18, 0x40051340, v11
	v_max_f32_e32 v19, v4, v4
	v_max_f32_e32 v18, v19, v18
	v_cmp_gt_u32_e64 s[22:23], s48, v5
	v_cndmask_b32_e64 v4, v4, v18, s[22:23]
	v_add_f32_e32 v5, 0x40051340, v12
	v_max_f32_e32 v18, v4, v4
	v_max_f32_e32 v5, v18, v5
	v_cmp_gt_u32_e64 s[20:21], s48, v47
	v_cndmask_b32_e64 v4, v4, v5, s[20:21]
	v_add_u32_e32 v5, 19, v35
	;; [unrolled: 11-line block ×6, first 2 shown]
	v_add_f32_e32 v18, 0x40051340, v3
	v_max_f32_e32 v19, v4, v4
	v_max_f32_e32 v18, v19, v18
	v_cmp_gt_u32_e32 vcc, s48, v5
	v_mbcnt_hi_u32_b32 v5, -1, v64
	v_cndmask_b32_e32 v4, v4, v18, vcc
	v_and_b32_e32 v18, 64, v5
	v_add_u32_e32 v18, 64, v18
	v_xor_b32_e32 v19, 32, v5
	v_cmp_lt_i32_e64 s[42:43], v19, v18
	v_cndmask_b32_e64 v19, v5, v19, s[42:43]
	v_lshlrev_b32_e32 v19, 2, v19
	ds_bpermute_b32 v21, v19, v4
	v_max_f32_e32 v4, v4, v4
	s_mov_b32 s47, 0x3fb8aa3b
	s_mov_b32 s48, 0xc2ce8ed0
	;; [unrolled: 1-line block ×3, first 2 shown]
	s_waitcnt lgkmcnt(0)
	v_max_f32_e32 v21, v21, v21
	v_max_f32_e32 v4, v4, v21
	v_xor_b32_e32 v21, 16, v5
	v_cmp_lt_i32_e64 s[42:43], v21, v18
	v_cndmask_b32_e64 v5, v5, v21, s[42:43]
	v_lshlrev_b32_e32 v22, 2, v5
	ds_bpermute_b32 v5, v22, v4
	v_cndmask_b32_e64 v16, v16, v16, s[36:37]
	s_mov_b32 s33, 0
	v_cndmask_b32_e64 v17, v17, v17, s[36:37]
	v_cndmask_b32_e64 v11, v11, v11, s[24:25]
	s_waitcnt lgkmcnt(0)
	v_max_f32_e32 v5, v5, v5
	v_max_f32_e32 v18, v4, v5
	v_sub_f32_e32 v4, v14, v18
	v_mul_f32_e32 v5, 0x3fb8aa3b, v4
	v_fma_f32 v14, v4, s47, -v5
	v_rndne_f32_e32 v21, v5
	v_fmac_f32_e32 v14, 0x32a5705f, v4
	v_sub_f32_e32 v5, v5, v21
	v_sub_f32_e32 v15, v15, v18
	v_add_f32_e32 v5, v5, v14
	v_cvt_i32_f32_e32 v14, v21
	v_mul_f32_e32 v21, 0x3fb8aa3b, v15
	v_fma_f32 v23, v15, s47, -v21
	v_rndne_f32_e32 v24, v21
	v_exp_f32_e32 v5, v5
	v_fmac_f32_e32 v23, 0x32a5705f, v15
	v_sub_f32_e32 v21, v21, v24
	v_add_f32_e32 v21, v21, v23
	v_exp_f32_e32 v21, v21
	v_cvt_i32_f32_e32 v23, v24
	v_ldexp_f32 v5, v5, v14
	v_cmp_ngt_f32_e64 s[42:43], s48, v4
	v_cndmask_b32_e64 v5, 0, v5, s[42:43]
	v_mov_b32_e32 v14, 0x7f800000
	v_cmp_nlt_f32_e64 s[42:43], s45, v4
	v_sub_f32_e32 v16, v16, v18
	v_cndmask_b32_e64 v4, v14, v5, s[42:43]
	v_ldexp_f32 v5, v21, v23
	v_mul_f32_e32 v23, 0x3fb8aa3b, v16
	v_fma_f32 v24, v16, s47, -v23
	v_rndne_f32_e32 v25, v23
	v_fmac_f32_e32 v24, 0x32a5705f, v16
	v_sub_f32_e32 v23, v23, v25
	v_add_f32_e32 v23, v23, v24
	v_cndmask_b32_e64 v4, 0, v4, s[38:39]
	v_cmp_ngt_f32_e64 s[38:39], s48, v15
	v_exp_f32_e32 v23, v23
	v_cvt_i32_f32_e32 v24, v25
	v_cndmask_b32_e64 v5, 0, v5, s[38:39]
	v_cmp_nlt_f32_e64 s[38:39], s45, v15
	v_cndmask_b32_e64 v15, v14, v5, s[38:39]
	v_add_f32_e32 v21, v15, v4
	v_mov_b32_e32 v5, s33
	v_cndmask_b32_e64 v15, v5, v15, s[36:37]
	v_cndmask_b32_e64 v5, v4, v21, s[36:37]
	v_ldexp_f32 v21, v23, v24
	v_cmp_ngt_f32_e64 s[36:37], s48, v16
	v_sub_f32_e32 v17, v17, v18
	v_cndmask_b32_e64 v21, 0, v21, s[36:37]
	v_cmp_nlt_f32_e64 s[36:37], s45, v16
	v_mul_f32_e32 v16, 0x3fb8aa3b, v17
	v_fma_f32 v23, v17, s47, -v16
	v_rndne_f32_e32 v24, v16
	v_fmac_f32_e32 v23, 0x32a5705f, v17
	v_sub_f32_e32 v16, v16, v24
	v_add_f32_e32 v16, v16, v23
	v_exp_f32_e32 v25, v16
	v_cvt_i32_f32_e32 v24, v24
	v_cndmask_b32_e64 v21, v14, v21, s[36:37]
	v_mov_b32_e32 v16, s33
	v_sub_f32_e32 v10, v10, v18
	v_add_f32_e32 v23, v5, v21
	v_cndmask_b32_e64 v16, v16, v21, s[26:27]
	v_ldexp_f32 v21, v25, v24
	v_mul_f32_e32 v24, 0x3fb8aa3b, v10
	v_fma_f32 v25, v10, s47, -v24
	v_rndne_f32_e32 v26, v24
	v_fmac_f32_e32 v25, 0x32a5705f, v10
	v_sub_f32_e32 v24, v24, v26
	v_add_f32_e32 v24, v24, v25
	v_exp_f32_e32 v25, v24
	v_cvt_i32_f32_e32 v26, v26
	v_cmp_ngt_f32_e64 s[36:37], s48, v17
	v_cndmask_b32_e64 v21, 0, v21, s[36:37]
	v_cmp_nlt_f32_e64 s[36:37], s45, v17
	v_cndmask_b32_e64 v24, v14, v21, s[36:37]
	v_ldexp_f32 v21, v25, v26
	v_cmp_ngt_f32_e64 s[36:37], s48, v10
	v_cndmask_b32_e64 v21, 0, v21, s[36:37]
	v_cmp_nlt_f32_e64 s[36:37], s45, v10
	v_sub_f32_e32 v11, v11, v18
	v_cndmask_b32_e64 v10, v14, v21, s[36:37]
	v_mul_f32_e32 v21, 0x3fb8aa3b, v11
	v_fma_f32 v25, v11, s47, -v21
	v_rndne_f32_e32 v27, v21
	v_fmac_f32_e32 v25, 0x32a5705f, v11
	v_sub_f32_e32 v21, v21, v27
	v_add_f32_e32 v21, v21, v25
	v_exp_f32_e32 v21, v21
	v_cvt_i32_f32_e32 v25, v27
	v_cndmask_b32_e64 v27, v13, v13, s[24:25]
	v_cndmask_b32_e64 v13, v12, v12, s[24:25]
	v_mov_b32_e32 v26, s33
	v_ldexp_f32 v21, v21, v25
	v_sub_f32_e32 v25, v13, v18
	v_mul_f32_e32 v13, 0x3fb8aa3b, v25
	v_cndmask_b32_e64 v12, v26, v10, s[24:25]
	v_fma_f32 v26, v25, s47, -v13
	v_rndne_f32_e32 v28, v13
	v_fmac_f32_e32 v26, 0x32a5705f, v25
	v_sub_f32_e32 v13, v13, v28
	v_add_f32_e32 v13, v13, v26
	v_exp_f32_e32 v26, v13
	v_cvt_i32_f32_e32 v28, v28
	v_cmp_ngt_f32_e64 s[36:37], s48, v11
	v_cndmask_b32_e64 v21, 0, v21, s[36:37]
	v_cmp_nlt_f32_e64 s[36:37], s45, v11
	v_sub_f32_e32 v27, v27, v18
	v_cndmask_b32_e64 v11, v14, v21, s[36:37]
	v_ldexp_f32 v21, v26, v28
	v_mul_f32_e32 v26, 0x3fb8aa3b, v27
	v_fma_f32 v28, v27, s47, -v26
	v_rndne_f32_e32 v29, v26
	v_fmac_f32_e32 v28, 0x32a5705f, v27
	v_sub_f32_e32 v26, v26, v29
	v_add_f32_e32 v26, v26, v28
	v_exp_f32_e32 v30, v26
	v_cvt_i32_f32_e32 v29, v29
	v_cmp_ngt_f32_e64 s[36:37], s48, v25
	v_cndmask_b32_e64 v21, 0, v21, s[36:37]
	v_cmp_nlt_f32_e64 s[36:37], s45, v25
	v_sub_f32_e32 v6, v6, v18
	v_cndmask_b32_e64 v26, v14, v21, s[36:37]
	v_mov_b32_e32 v28, s33
	v_mul_f32_e32 v25, 0x3fb8aa3b, v6
	v_cndmask_b32_e64 v39, v28, v26, s[20:21]
	v_ldexp_f32 v21, v30, v29
	v_fma_f32 v28, v6, s47, -v25
	v_rndne_f32_e32 v29, v25
	v_fmac_f32_e32 v28, 0x32a5705f, v6
	v_sub_f32_e32 v25, v25, v29
	v_add_f32_e32 v25, v25, v28
	v_exp_f32_e32 v25, v25
	v_cvt_i32_f32_e32 v28, v29
	v_cmp_ngt_f32_e64 s[36:37], s48, v27
	v_cndmask_b32_e64 v21, 0, v21, s[36:37]
	v_cmp_nlt_f32_e64 s[36:37], s45, v27
	v_cndmask_b32_e64 v27, v14, v21, s[36:37]
	v_mov_b32_e32 v21, s33
	v_cndmask_b32_e64 v42, v21, v27, s[18:19]
	v_ldexp_f32 v21, v25, v28
	v_cmp_ngt_f32_e64 s[36:37], s48, v6
	v_cndmask_b32_e64 v7, v7, v7, s[16:17]
	v_cndmask_b32_e64 v21, 0, v21, s[36:37]
	v_cmp_nlt_f32_e64 s[36:37], s45, v6
	v_sub_f32_e32 v7, v7, v18
	v_cndmask_b32_e64 v25, v14, v21, s[36:37]
	v_mov_b32_e32 v28, s33
	v_cndmask_b32_e64 v6, v9, v9, s[16:17]
	v_mul_f32_e32 v9, 0x3fb8aa3b, v7
	s_mul_hi_i32 s37, s44, s46
	s_mul_i32 s36, s44, s46
	v_cndmask_b32_e64 v44, v28, v25, s[16:17]
	v_fma_f32 v21, v7, s47, -v9
	v_rndne_f32_e32 v28, v9
	s_lshl_b64 s[36:37], s[36:37], 2
	v_mul_lo_u32 v46, s46, v61
	v_fmac_f32_e32 v21, 0x32a5705f, v7
	v_sub_f32_e32 v9, v9, v28
	s_add_u32 s38, s8, s36
	v_ashrrev_i32_e32 v47, 31, v46
	v_add_f32_e32 v9, v9, v21
	v_cvt_i32_f32_e32 v21, v28
	s_addc_u32 s39, s9, s37
	v_lshlrev_b64 v[28:29], 2, v[46:47]
	v_mov_b32_e32 v30, s39
	v_add_co_u32_e64 v28, s[36:37], s38, v28
	v_addc_co_u32_e64 v29, s[36:37], v30, v29, s[36:37]
	s_mov_b64 s[8:9], src_private_base
	v_add_co_u32_e64 v28, s[36:37], v28, v34
	v_addc_co_u32_e64 v29, s[36:37], 0, v29, s[36:37]
	v_mov_b32_e32 v41, s9
	v_mov_b32_e32 v45, 0
	;; [unrolled: 1-line block ×3, first 2 shown]
	v_cndmask_b32_e64 v29, v41, v29, s[34:35]
	v_cndmask_b32_e64 v28, v45, v28, s[34:35]
	buffer_store_dword v30, off, s[0:3], 0
	buffer_store_dword v30, off, s[0:3], 0 offset:4
	buffer_store_dword v30, off, s[0:3], 0 offset:8
	;; [unrolled: 1-line block ×3, first 2 shown]
	flat_load_dwordx4 v[30:33], v[28:29]
	v_exp_f32_e32 v9, v9
	v_cndmask_b32_e64 v8, v8, v8, s[16:17]
	v_sub_f32_e32 v28, v8, v18
	v_mul_f32_e32 v8, 0x3fb8aa3b, v28
	v_ldexp_f32 v9, v9, v21
	v_fma_f32 v21, v28, s47, -v8
	v_rndne_f32_e32 v29, v8
	v_fmac_f32_e32 v21, 0x32a5705f, v28
	v_sub_f32_e32 v8, v8, v29
	v_add_f32_e32 v8, v8, v21
	v_exp_f32_e32 v40, v8
	v_cvt_i32_f32_e32 v29, v29
	v_cmp_ngt_f32_e64 s[34:35], s48, v7
	v_cndmask_b32_e64 v9, 0, v9, s[34:35]
	v_cmp_nlt_f32_e64 s[34:35], s45, v7
	v_cndmask_b32_e64 v8, v14, v9, s[34:35]
	v_mov_b32_e32 v7, s33
	v_cndmask_b32_e64 v21, v7, v8, s[12:13]
	v_ldexp_f32 v7, v40, v29
	v_sub_f32_e32 v29, v6, v18
	v_mul_f32_e32 v6, 0x3fb8aa3b, v29
	v_fma_f32 v9, v29, s47, -v6
	v_rndne_f32_e32 v40, v6
	v_fmac_f32_e32 v9, 0x32a5705f, v29
	v_sub_f32_e32 v6, v6, v40
	v_add_f32_e32 v6, v6, v9
	v_exp_f32_e32 v43, v6
	v_cvt_i32_f32_e32 v47, v40
	v_cmp_ngt_f32_e64 s[34:35], s48, v28
	v_cndmask_b32_e64 v7, 0, v7, s[34:35]
	v_cmp_nlt_f32_e64 s[34:35], s45, v28
	v_sub_f32_e32 v0, v0, v18
	v_cndmask_b32_e64 v9, v14, v7, s[34:35]
	v_mov_b32_e32 v6, s33
	v_mul_f32_e32 v7, 0x3fb8aa3b, v0
	v_cndmask_b32_e64 v40, v6, v9, s[14:15]
	v_ldexp_f32 v6, v43, v47
	v_fma_f32 v28, v0, s47, -v7
	v_rndne_f32_e32 v43, v7
	v_fmac_f32_e32 v28, 0x32a5705f, v0
	v_sub_f32_e32 v7, v7, v43
	v_add_f32_e32 v7, v7, v28
	v_exp_f32_e32 v28, v7
	v_cvt_i32_f32_e32 v47, v43
	v_cmp_ngt_f32_e64 s[34:35], s48, v29
	v_cndmask_b32_e64 v6, 0, v6, s[34:35]
	v_cmp_nlt_f32_e64 s[34:35], s45, v29
	v_cndmask_b32_e64 v29, v14, v6, s[34:35]
	v_ldexp_f32 v6, v28, v47
	v_cmp_ngt_f32_e64 s[34:35], s48, v0
	v_cndmask_b32_e64 v1, v1, v1, s[6:7]
	v_cndmask_b32_e64 v6, 0, v6, s[34:35]
	v_cmp_nlt_f32_e64 s[34:35], s45, v0
	v_sub_f32_e32 v1, v1, v18
	v_mov_b32_e32 v7, s33
	v_cndmask_b32_e64 v28, v14, v6, s[34:35]
	v_mul_f32_e32 v6, 0x3fb8aa3b, v1
	v_cndmask_b32_e64 v43, v7, v29, s[10:11]
	v_fma_f32 v7, v1, s47, -v6
	v_rndne_f32_e32 v47, v6
	v_fmac_f32_e32 v7, 0x32a5705f, v1
	v_sub_f32_e32 v6, v6, v47
	v_add_f32_e32 v6, v6, v7
	v_exp_f32_e32 v50, v6
	v_lshl_add_u32 v6, s46, 5, v46
	v_ashrrev_i32_e32 v7, 31, v6
	v_lshlrev_b64 v[6:7], 2, v[6:7]
	v_mov_b32_e32 v46, s39
	v_add_co_u32_e64 v6, s[34:35], s38, v6
	v_addc_co_u32_e64 v7, s[34:35], v46, v7, s[34:35]
	v_add_co_u32_e64 v6, s[34:35], v6, v34
	v_addc_co_u32_e64 v7, s[34:35], 0, v7, s[34:35]
	v_cndmask_b32_e64 v7, v41, v7, s[30:31]
	v_cndmask_b32_e64 v6, v45, v6, s[30:31]
	v_cvt_i32_f32_e32 v51, v47
	s_waitcnt vmcnt(0) lgkmcnt(0)
	ds_write_b128 v38, v[30:33]
	flat_load_dwordx4 v[46:49], v[6:7]
	v_cndmask_b32_e64 v2, v2, v2, s[6:7]
	v_sub_f32_e32 v2, v2, v18
	v_mul_f32_e32 v6, 0x3fb8aa3b, v2
	v_fma_f32 v7, v2, s47, -v6
	v_rndne_f32_e32 v30, v6
	v_fmac_f32_e32 v7, 0x32a5705f, v2
	v_sub_f32_e32 v6, v6, v30
	v_add_f32_e32 v6, v6, v7
	v_exp_f32_e32 v7, v6
	v_cvt_i32_f32_e32 v30, v30
	v_mov_b32_e32 v0, s33
	v_cndmask_b32_e64 v45, v0, v28, s[6:7]
	v_ldexp_f32 v0, v50, v51
	v_cmp_ngt_f32_e64 s[30:31], s48, v1
	v_cndmask_b32_e64 v0, 0, v0, s[30:31]
	v_cmp_nlt_f32_e64 s[30:31], s45, v1
	v_cndmask_b32_e64 v31, v14, v0, s[30:31]
	v_ldexp_f32 v0, v7, v30
	v_cmp_ngt_f32_e64 s[30:31], s48, v2
	v_cndmask_b32_e64 v3, v3, v3, s[6:7]
	v_cndmask_b32_e64 v0, 0, v0, s[30:31]
	v_cmp_nlt_f32_e64 s[30:31], s45, v2
	v_mov_b32_e32 v1, s33
	v_cndmask_b32_e64 v30, v14, v0, s[30:31]
	v_sub_f32_e32 v0, v3, v18
	v_cndmask_b32_e64 v6, v1, v31, s[40:41]
	v_mov_b32_e32 v2, s33
	v_mul_f32_e32 v1, 0x3fb8aa3b, v0
	v_cndmask_b32_e64 v7, v2, v30, s[4:5]
	v_fma_f32 v2, v0, s47, -v1
	v_rndne_f32_e32 v3, v1
	v_fmac_f32_e32 v2, 0x32a5705f, v0
	v_sub_f32_e32 v1, v1, v3
	v_add_f32_e32 v1, v1, v2
	v_cvt_i32_f32_e32 v2, v3
	v_sub_f32_e32 v3, v104, v18
	v_mul_f32_e32 v32, 0x3fb8aa3b, v3
	v_fma_f32 v33, v3, s47, -v32
	v_rndne_f32_e32 v34, v32
	v_fmac_f32_e32 v33, 0x32a5705f, v3
	v_sub_f32_e32 v32, v32, v34
	v_exp_f32_e32 v1, v1
	v_add_f32_e32 v32, v32, v33
	v_exp_f32_e32 v32, v32
	v_cvt_i32_f32_e32 v33, v34
	v_ldexp_f32 v1, v1, v2
	v_cmp_ngt_f32_e64 s[30:31], s48, v0
	v_cndmask_b32_e64 v1, 0, v1, s[30:31]
	v_ldexp_f32 v2, v32, v33
	v_cmp_ngt_f32_e64 s[30:31], s48, v3
	v_cndmask_b32_e64 v2, 0, v2, s[30:31]
	v_cmp_nlt_f32_e64 s[30:31], s45, v3
	s_mov_b32 s8, 0xc1a00000
	v_mov_b32_e32 v17, s33
	v_mov_b32_e32 v13, s33
	v_cndmask_b32_e64 v2, v14, v2, s[30:31]
	v_cmp_le_f32_e64 s[30:31], s8, v3
	v_cndmask_b32_e64 v17, v17, v24, s[28:29]
	v_cndmask_b32_e64 v13, v13, v11, s[22:23]
	;; [unrolled: 1-line block ×3, first 2 shown]
	v_cmp_nlt_f32_e64 s[30:31], s45, v0
	v_cvt_f16_f32_e32 v0, v4
	v_cvt_f16_f32_e32 v2, v15
	;; [unrolled: 1-line block ×9, first 2 shown]
	v_cndmask_b32_e64 v33, v14, v1, s[30:31]
	v_pack_b32_f16 v14, v0, v2
	v_mul_u32_u24_e32 v0, 0x48, v35
	v_mul_u32_u24_e32 v2, 0x90, v35
	v_pack_b32_f16 v15, v4, v15
	v_pack_b32_f16 v12, v12, v13
	;; [unrolled: 1-line block ×3, first 2 shown]
	v_or_b32_e32 v0, v0, v111
	v_mul_u32_u24_e32 v17, 0x90, v20
	v_add3_u32 v4, 0, v2, v60
	v_cvt_f16_f32_e32 v16, v44
	s_waitcnt vmcnt(0) lgkmcnt(0)
	ds_write_b128 v36, v[46:49]
	s_waitcnt lgkmcnt(0)
	s_barrier
	v_lshl_add_u32 v20, v0, 1, 0
	v_add3_u32 v36, 0, v17, v60
	s_mov_b32 s8, 0x5040100
	ds_read_u16 v17, v4 offset:144
	ds_read_u16 v35, v4 offset:176
	;; [unrolled: 1-line block ×3, first 2 shown]
	ds_read_u16 v49, v36
	ds_read_u16 v53, v36 offset:32
	ds_read_u16 v42, v36 offset:64
	;; [unrolled: 1-line block ×12, first 2 shown]
	v_mov_b32_e32 v3, s33
	s_waitcnt lgkmcnt(6)
	v_perm_b32 v51, v49, v50, s8
	ds_read_u16 v50, v20
	ds_read_u16 v58, v20 offset:32
	ds_read_u16 v59, v20 offset:64
	;; [unrolled: 1-line block ×7, first 2 shown]
	v_cndmask_b32_e32 v41, v3, v33, vcc
	v_pk_mul_f16 v1, v34, v92 op_sel_hi:[0,1]
	v_pk_mul_f16 v3, v34, v91 op_sel_hi:[0,1]
	s_waitcnt lgkmcnt(7)
	v_perm_b32 v50, v17, v50, s8
	v_cvt_f32_f16_e32 v0, v1
	v_cvt_f32_f16_sdwa v1, v1 dst_sel:DWORD dst_unused:UNUSED_PAD src0_sel:WORD_1
	v_cvt_f32_f16_e32 v2, v3
	v_cvt_f32_f16_sdwa v3, v3 dst_sel:DWORD dst_unused:UNUSED_PAD src0_sel:WORD_1
	v_cvt_f16_f32_e32 v17, v21
	v_cvt_f16_f32_e32 v21, v40
	v_mfma_f32_16x16x16f16 v[0:3], v[50:51], v[14:15], v[0:3]
	v_cvt_f16_f32_e32 v40, v43
	ds_read_u16 v43, v4 offset:2448
	ds_read_u16 v64, v4 offset:2480
	;; [unrolled: 1-line block ×8, first 2 shown]
	s_waitcnt lgkmcnt(4)
	v_perm_b32 v51, v52, v50, s8
	v_perm_b32 v50, v43, v62, s8
	v_pack_b32_f16 v16, v16, v17
	v_pack_b32_f16 v17, v21, v40
	v_cvt_f16_f32_e32 v40, v45
	v_cvt_f16_f32_e32 v0, v0
	;; [unrolled: 1-line block ×5, first 2 shown]
	v_cvt_f32_f16_e32 v0, v0
	v_cvt_f32_f16_e32 v1, v1
	;; [unrolled: 1-line block ×4, first 2 shown]
	v_cvt_f16_f32_e32 v41, v41
	v_pk_mul_f16 v38, v34, v95 op_sel_hi:[0,1]
	v_mfma_f32_16x16x16f16 v[0:3], v[50:51], v[12:13], v[0:3]
	ds_read_u16 v43, v4 offset:4752
	ds_read_u16 v45, v4 offset:4784
	;; [unrolled: 1-line block ×16, first 2 shown]
	s_waitcnt lgkmcnt(6)
	v_perm_b32 v21, v21, v50, s8
	ds_read_u16 v50, v20 offset:4608
	ds_read_u16 v80, v20 offset:4640
	;; [unrolled: 1-line block ×8, first 2 shown]
	s_waitcnt lgkmcnt(7)
	v_perm_b32 v20, v43, v50, s8
	v_cvt_f16_f32_e32 v43, v6
	v_cvt_f16_f32_e32 v50, v7
	ds_read_u16 v6, v4 offset:7056
	ds_read_u16 v86, v4 offset:7088
	;; [unrolled: 1-line block ×8, first 2 shown]
	v_cvt_f16_f32_e32 v0, v0
	v_cvt_f16_f32_e32 v1, v1
	;; [unrolled: 1-line block ×4, first 2 shown]
	v_cvt_f32_f16_e32 v0, v0
	v_cvt_f32_f16_e32 v1, v1
	;; [unrolled: 1-line block ×4, first 2 shown]
	s_waitcnt lgkmcnt(4)
	v_perm_b32 v7, v51, v7, s8
	v_perm_b32 v6, v6, v52, s8
	v_mfma_f32_16x16x16f16 v[0:3], v[20:21], v[16:17], v[0:3]
	v_pack_b32_f16 v20, v40, v43
	v_pack_b32_f16 v21, v50, v41
	v_pk_mul_f16 v4, v34, v89 op_sel_hi:[0,1]
	v_cvt_f32_f16_e32 v50, v38
	v_cvt_f32_f16_sdwa v51, v38 dst_sel:DWORD dst_unused:UNUSED_PAD src0_sel:WORD_1
	v_cvt_f32_f16_e32 v52, v4
	v_perm_b32 v41, v55, v66, s8
	s_nop 3
	v_cvt_f16_f32_e32 v0, v0
	v_cvt_f16_f32_e32 v1, v1
	;; [unrolled: 1-line block ×4, first 2 shown]
	v_cvt_f32_f16_e32 v0, v0
	v_cvt_f32_f16_e32 v1, v1
	;; [unrolled: 1-line block ×4, first 2 shown]
	v_perm_b32 v40, v64, v60, s8
	s_waitcnt lgkmcnt(0)
	v_mfma_f32_16x16x16f16 v[0:3], v[6:7], v[20:21], v[0:3]
	v_perm_b32 v7, v53, v54, s8
	v_perm_b32 v6, v35, v58, s8
	v_cvt_f32_f16_sdwa v53, v4 dst_sel:DWORD dst_unused:UNUSED_PAD src0_sel:WORD_1
	v_cndmask_b32_e64 v4, v5, v23, s[26:27]
	v_add_f32_e32 v5, v4, v24
	v_cndmask_b32_e64 v23, v4, v5, s[28:29]
	v_add_f32_e32 v10, v10, v23
	v_mfma_f32_16x16x16f16 v[4:7], v[6:7], v[14:15], v[50:53]
	v_cndmask_b32_e64 v10, v23, v10, s[24:25]
	v_add_f32_e32 v11, v11, v10
	v_cndmask_b32_e64 v23, v10, v11, s[22:23]
	v_add_f32_e32 v24, v26, v23
	v_cndmask_b32_e64 v23, v23, v24, s[20:21]
	v_pk_mul_f16 v24, v34, v94 op_sel_hi:[0,1]
	v_pk_mul_f16 v26, v34, v93 op_sel_hi:[0,1]
	s_nop 3
	v_cvt_f16_f32_e32 v4, v4
	v_cvt_f16_f32_e32 v5, v5
	;; [unrolled: 1-line block ×4, first 2 shown]
	v_cvt_f32_f16_e32 v4, v4
	v_cvt_f32_f16_e32 v5, v5
	;; [unrolled: 1-line block ×5, first 2 shown]
	v_cvt_f32_f16_sdwa v51, v24 dst_sel:DWORD dst_unused:UNUSED_PAD src0_sel:WORD_1
	v_mfma_f32_16x16x16f16 v[4:7], v[40:41], v[12:13], v[4:7]
	v_perm_b32 v41, v70, v72, s8
	v_perm_b32 v40, v45, v80, s8
	v_cvt_f32_f16_e32 v52, v26
	v_cvt_f32_f16_sdwa v53, v26 dst_sel:DWORD dst_unused:UNUSED_PAD src0_sel:WORD_1
	v_perm_b32 v11, v77, v88, s8
	v_perm_b32 v10, v86, v82, s8
	s_barrier
	s_nop 3
	v_cvt_f16_f32_e32 v4, v4
	v_cvt_f16_f32_e32 v5, v5
	;; [unrolled: 1-line block ×4, first 2 shown]
	v_cvt_f32_f16_e32 v4, v4
	v_cvt_f32_f16_e32 v5, v5
	;; [unrolled: 1-line block ×4, first 2 shown]
	s_nop 1
	v_mfma_f32_16x16x16f16 v[4:7], v[40:41], v[16:17], v[4:7]
	v_perm_b32 v41, v42, v44, s8
	v_perm_b32 v40, v39, v59, s8
	s_barrier
	s_nop 7
	v_cvt_f16_f32_e32 v4, v4
	v_cvt_f16_f32_e32 v5, v5
	;; [unrolled: 1-line block ×4, first 2 shown]
	v_mfma_f32_16x16x16f16 v[38:41], v[40:41], v[14:15], v[50:53]
	v_cvt_f32_f16_e32 v4, v4
	v_cvt_f32_f16_e32 v5, v5
	;; [unrolled: 1-line block ×4, first 2 shown]
	s_nop 1
	v_mfma_f32_16x16x16f16 v[4:7], v[10:11], v[20:21], v[4:7]
	v_add_f32_e32 v10, v27, v23
	v_cndmask_b32_e64 v23, v23, v10, s[18:19]
	s_nop 1
	v_cvt_f16_f32_e32 v10, v38
	v_cvt_f16_f32_e32 v11, v39
	;; [unrolled: 1-line block ×4, first 2 shown]
	v_cvt_f32_f16_e32 v38, v10
	v_cvt_f32_f16_e32 v39, v11
	v_perm_b32 v11, v56, v67, s8
	v_perm_b32 v10, v65, v61, s8
	v_cvt_f32_f16_e32 v40, v24
	v_cvt_f32_f16_e32 v41, v26
	v_add_f32_e32 v24, v25, v23
	v_cndmask_b32_e64 v23, v23, v24, s[16:17]
	v_mfma_f32_16x16x16f16 v[24:27], v[10:11], v[12:13], v[38:41]
	v_add_f32_e32 v8, v8, v23
	v_cndmask_b32_e64 v8, v23, v8, s[12:13]
	v_add_f32_e32 v9, v9, v8
	v_cndmask_b32_e64 v23, v8, v9, s[14:15]
	s_nop 2
	v_perm_b32 v39, v57, v46, s8
	v_perm_b32 v38, v47, v63, s8
	v_add_f32_e32 v29, v29, v23
	s_nop 0
	v_cvt_f16_f32_e32 v10, v24
	v_cvt_f16_f32_e32 v11, v25
	;; [unrolled: 1-line block ×4, first 2 shown]
	v_cvt_f32_f16_e32 v24, v10
	v_cvt_f32_f16_e32 v25, v11
	v_perm_b32 v11, v71, v73, s8
	v_perm_b32 v10, v62, v81, s8
	v_cvt_f32_f16_e32 v26, v26
	v_cvt_f32_f16_e32 v27, v27
	v_cndmask_b32_e64 v23, v23, v29, s[10:11]
	v_add_f32_e32 v28, v28, v23
	v_mfma_f32_16x16x16f16 v[8:11], v[10:11], v[16:17], v[24:27]
	v_cndmask_b32_e64 v23, v23, v28, s[6:7]
	v_add_f32_e32 v28, v31, v23
	v_cndmask_b32_e64 v23, v23, v28, s[40:41]
	s_nop 3
	v_perm_b32 v25, v78, v90, s8
	s_nop 2
	v_cvt_f16_f32_e32 v8, v8
	v_cvt_f16_f32_e32 v9, v9
	;; [unrolled: 1-line block ×4, first 2 shown]
	v_perm_b32 v24, v87, v83, s8
	v_cvt_f32_f16_e32 v8, v8
	v_cvt_f32_f16_e32 v9, v9
	;; [unrolled: 1-line block ×4, first 2 shown]
	v_pk_mul_f16 v26, v34, v103 op_sel_hi:[0,1]
	v_pk_mul_f16 v27, v34, v102 op_sel_hi:[0,1]
	v_mfma_f32_16x16x16f16 v[8:11], v[24:25], v[20:21], v[8:11]
	v_cvt_f32_f16_e32 v24, v26
	v_cvt_f32_f16_sdwa v25, v26 dst_sel:DWORD dst_unused:UNUSED_PAD src0_sel:WORD_1
	v_cvt_f32_f16_e32 v26, v27
	v_cvt_f32_f16_sdwa v27, v27 dst_sel:DWORD dst_unused:UNUSED_PAD src0_sel:WORD_1
	s_nop 1
	v_mfma_f32_16x16x16f16 v[24:27], v[38:39], v[14:15], v[24:27]
	s_nop 7
	s_nop 2
	v_cvt_f16_f32_e32 v14, v24
	v_cvt_f16_f32_e32 v15, v25
	;; [unrolled: 1-line block ×4, first 2 shown]
	v_cvt_f32_f16_e32 v24, v14
	v_cvt_f32_f16_e32 v25, v15
	v_perm_b32 v15, v48, v68, s8
	v_perm_b32 v14, v69, v49, s8
	v_cvt_f32_f16_e32 v26, v26
	v_cvt_f32_f16_e32 v27, v27
	s_nop 1
	v_mfma_f32_16x16x16f16 v[12:15], v[14:15], v[12:13], v[24:27]
	s_nop 6
	v_perm_b32 v25, v36, v75, s8
	s_nop 2
	v_cvt_f16_f32_e32 v12, v12
	v_cvt_f16_f32_e32 v13, v13
	;; [unrolled: 1-line block ×4, first 2 shown]
	v_perm_b32 v24, v76, v85, s8
	v_cvt_f32_f16_e32 v12, v12
	v_cvt_f32_f16_e32 v13, v13
	;; [unrolled: 1-line block ×4, first 2 shown]
	v_add_f32_e32 v26, v30, v23
	v_cndmask_b32_e64 v23, v23, v26, s[4:5]
	v_mfma_f32_16x16x16f16 v[12:15], v[24:25], v[16:17], v[12:15]
	v_add_f32_e32 v26, v33, v23
	v_perm_b32 v17, v79, v91, s8
	v_perm_b32 v16, v92, v84, s8
	v_cndmask_b32_e32 v23, v23, v26, vcc
	v_fmac_f32_e32 v23, v37, v32
	ds_bpermute_b32 v19, v19, v23
	v_cmp_lt_u32_e32 vcc, 15, v74
	s_nop 3
	v_cvt_f16_f32_e32 v12, v12
	v_cvt_f16_f32_e32 v13, v13
	;; [unrolled: 1-line block ×4, first 2 shown]
	v_cvt_f32_f16_e32 v12, v12
	v_cvt_f32_f16_e32 v13, v13
	;; [unrolled: 1-line block ×4, first 2 shown]
	s_nop 1
	v_mfma_f32_16x16x16f16 v[12:15], v[16:17], v[20:21], v[12:15]
	s_waitcnt lgkmcnt(0)
	v_add_f32_e32 v17, v23, v19
	ds_bpermute_b32 v19, v22, v17
                                        ; implicit-def: $vgpr16
	s_and_saveexec_b64 s[4:5], vcc
	s_xor_b64 s[4:5], exec, s[4:5]
; %bb.364:
	v_lshlrev_b32_e32 v16, 4, v105
                                        ; implicit-def: $vgpr17
                                        ; implicit-def: $vgpr19
                                        ; implicit-def: $vgpr105
                                        ; implicit-def: $vgpr74
                                        ; implicit-def: $vgpr18
; %bb.365:
	s_or_saveexec_b64 s[4:5], s[4:5]
	v_readlane_b32 s9, v126, 12
	v_readlane_b32 s6, v126, 17
	s_xor_b64 exec, exec, s[4:5]
	s_cbranch_execz .LBB0_367
; %bb.366:
	s_add_i32 s6, s6, s9
	s_lshl_b32 s6, s6, 6
	s_mov_b32 s7, 0
	v_lshlrev_b32_e32 v16, 4, v105
	s_lshl_b64 s[6:7], s[6:7], 3
	s_waitcnt lgkmcnt(0)
	v_add_f32_e32 v19, v17, v19
	v_or_b32_e32 v17, v16, v74
	s_add_u32 s6, s86, s6
	s_addc_u32 s7, s87, s7
	v_lshlrev_b32_e32 v17, 3, v17
	global_store_dwordx2 v17, v[18:19], s[6:7]
.LBB0_367:
	s_or_b64 exec, exec, s[4:5]
	v_cvt_f16_f32_e32 v0, v0
	v_cvt_f16_f32_e32 v1, v1
	;; [unrolled: 1-line block ×8, first 2 shown]
	v_pack_b32_f16 v2, v2, v3
	v_pack_b32_f16 v0, v0, v1
	v_pack_b32_f16 v1, v6, v7
	v_pack_b32_f16 v3, v4, v5
	v_cvt_f16_f32_e32 v4, v8
	v_cvt_f16_f32_e32 v6, v10
	;; [unrolled: 1-line block ×8, first 2 shown]
	v_pack_b32_f16 v6, v6, v7
	v_pack_b32_f16 v7, v8, v11
	v_or_b32_e32 v8, v16, v111
	v_mad_i32_i24 v8, v8, 36, v112
	v_readlane_b32 s6, v126, 8
	v_lshl_add_u32 v8, v8, 2, 0
	v_readlane_b32 s7, v126, 9
	v_pack_b32_f16 v4, v4, v5
	v_pack_b32_f16 v5, v9, v10
	ds_write2_b32 v8, v0, v2 offset1:1
	ds_write2_b32 v8, v3, v1 offset0:8 offset1:9
	ds_write2_b32 v8, v4, v6 offset0:16 offset1:17
	;; [unrolled: 1-line block ×3, first 2 shown]
	s_waitcnt lgkmcnt(0)
	s_barrier
	s_load_dword s4, s[6:7], 0x10
	s_load_dword s8, s[6:7], 0x0
	s_mov_b32 s5, 0
	v_lshl_add_u32 v2, v100, 2, 0
	v_add_u32_e32 v7, 0x80, v2
	s_waitcnt lgkmcnt(0)
	s_lshr_b32 s4, s4, 16
	s_cmp_lg_u32 s4, 0
	s_cselect_b64 s[6:7], -1, 0
	s_cmp_lg_u64 s[6:7], 0
	s_addc_u32 s4, s8, 0
	s_lshl_b32 s4, s4, 7
	s_lshl_b64 s[6:7], s[4:5], 3
	s_add_u32 s6, s86, s6
	s_addc_u32 s7, s87, s7
	s_lshl_b32 s4, s9, 11
	s_lshl_b64 s[4:5], s[4:5], 3
	ds_read_b32 v8, v2
	s_add_u32 s4, s6, s4
	ds_read2st64_b32 v[0:1], v7 offset0:4 offset1:13
	v_and_b32_e32 v3, 15, v96
	s_movk_i32 s6, 0x1ff0
	v_and_or_b32 v4, v101, s6, v3
	v_and_or_b32 v5, v107, s6, v3
	;; [unrolled: 1-line block ×3, first 2 shown]
	v_mad_u32_u24 v4, v4, 36, v98
	v_mad_u32_u24 v3, v3, 36, v98
	v_lshl_add_u32 v4, v4, 2, 0
	v_mad_u32_u24 v5, v5, 36, v98
	v_lshl_add_u32 v2, v3, 2, 0
	v_lshl_add_u32 v5, v5, 2, 0
	ds_read_b32 v9, v4
	ds_read_b32 v10, v5
	;; [unrolled: 1-line block ×3, first 2 shown]
	s_waitcnt lgkmcnt(4)
	v_cvt_f32_f16_e32 v2, v8
	v_cvt_f32_f16_sdwa v3, v8 dst_sel:DWORD dst_unused:UNUSED_PAD src0_sel:WORD_1
	s_waitcnt lgkmcnt(3)
	v_cvt_f32_f16_e32 v4, v0
	v_cvt_f32_f16_sdwa v5, v0 dst_sel:DWORD dst_unused:UNUSED_PAD src0_sel:WORD_1
	v_lshlrev_b32_e32 v6, 3, v98
	s_addc_u32 s5, s7, s5
	v_lshl_or_b32 v8, v96, 8, v6
	v_pk_add_f32 v[2:3], v[2:3], 0 op_sel_hi:[1,0]
	global_store_dwordx2 v8, v[2:3], s[4:5]
	v_lshl_or_b32 v0, v99, 8, v6
	v_pk_add_f32 v[2:3], v[4:5], 0 op_sel_hi:[1,0]
	global_store_dwordx2 v0, v[2:3], s[4:5]
	s_waitcnt lgkmcnt(2)
	v_cvt_f32_f16_e32 v2, v9
	v_cvt_f32_f16_sdwa v3, v9 dst_sel:DWORD dst_unused:UNUSED_PAD src0_sel:WORD_1
	v_lshl_or_b32 v4, v101, 8, v6
	v_cvt_f32_f16_e32 v0, v1
	v_cvt_f32_f16_sdwa v1, v1 dst_sel:DWORD dst_unused:UNUSED_PAD src0_sel:WORD_1
	v_pk_add_f32 v[2:3], v[2:3], 0 op_sel_hi:[1,0]
	global_store_dwordx2 v4, v[2:3], s[4:5]
	ds_read2st64_b32 v[2:3], v7 offset0:22 offset1:31
	v_lshl_or_b32 v4, v106, 8, v6
	v_pk_add_f32 v[0:1], v[0:1], 0 op_sel_hi:[1,0]
	global_store_dwordx2 v4, v[0:1], s[4:5]
	s_waitcnt lgkmcnt(2)
	v_cvt_f32_f16_e32 v0, v10
	v_cvt_f32_f16_sdwa v1, v10 dst_sel:DWORD dst_unused:UNUSED_PAD src0_sel:WORD_1
	s_waitcnt lgkmcnt(0)
	v_cvt_f32_f16_e32 v4, v2
	v_cvt_f32_f16_sdwa v5, v2 dst_sel:DWORD dst_unused:UNUSED_PAD src0_sel:WORD_1
	v_lshl_or_b32 v7, v107, 8, v6
	v_pk_add_f32 v[0:1], v[0:1], 0 op_sel_hi:[1,0]
	global_store_dwordx2 v7, v[0:1], s[4:5]
	v_lshl_or_b32 v2, v108, 8, v6
	v_pk_add_f32 v[0:1], v[4:5], 0 op_sel_hi:[1,0]
	global_store_dwordx2 v2, v[0:1], s[4:5]
	v_cvt_f32_f16_e32 v0, v11
	v_cvt_f32_f16_sdwa v1, v11 dst_sel:DWORD dst_unused:UNUSED_PAD src0_sel:WORD_1
	v_cvt_f32_f16_e32 v2, v3
	v_cvt_f32_f16_sdwa v3, v3 dst_sel:DWORD dst_unused:UNUSED_PAD src0_sel:WORD_1
	v_lshl_or_b32 v4, v109, 8, v6
	v_pk_add_f32 v[0:1], v[0:1], 0 op_sel_hi:[1,0]
	global_store_dwordx2 v4, v[0:1], s[4:5]
	v_lshl_or_b32 v4, v110, 8, v6
	v_pk_add_f32 v[0:1], v[2:3], 0 op_sel_hi:[1,0]
	global_store_dwordx2 v4, v[0:1], s[4:5]
	s_endpgm
.LBB0_368:
                                        ; implicit-def: $vgpr14_vgpr15_vgpr16_vgpr17
                                        ; implicit-def: $vgpr10_vgpr11_vgpr12_vgpr13
                                        ; implicit-def: $vgpr6_vgpr7_vgpr8_vgpr9
                                        ; implicit-def: $vgpr0_vgpr1_vgpr2_vgpr3
                                        ; implicit-def: $vgpr39
                                        ; implicit-def: $vgpr47
                                        ; implicit-def: $vgpr41
                                        ; implicit-def: $vgpr48
                                        ; implicit-def: $vgpr45
                                        ; implicit-def: $vgpr46
	v_add_u32_e32 v36, 0x1200, v38
	s_branch .LBB0_362
	.section	.rodata,"a",@progbits
	.p2align	6, 0x0
	.amdhsa_kernel _ZL18flash_attn_ext_f16ILi64ELi64ELi64ELi1ELb0ELb0EEvPKcS1_S1_S1_S1_PKiPfP15HIP_vector_typeIfLj2EEffffjfiS5_IjLj3EEiiiiiiiiiiiliiliiiiil
		.amdhsa_group_segment_fixed_size 0
		.amdhsa_private_segment_fixed_size 352
		.amdhsa_kernarg_size 464
		.amdhsa_user_sgpr_count 8
		.amdhsa_user_sgpr_private_segment_buffer 1
		.amdhsa_user_sgpr_dispatch_ptr 0
		.amdhsa_user_sgpr_queue_ptr 0
		.amdhsa_user_sgpr_kernarg_segment_ptr 1
		.amdhsa_user_sgpr_dispatch_id 0
		.amdhsa_user_sgpr_flat_scratch_init 1
		.amdhsa_user_sgpr_kernarg_preload_length 0
		.amdhsa_user_sgpr_kernarg_preload_offset 0
		.amdhsa_user_sgpr_private_segment_size 0
		.amdhsa_uses_dynamic_stack 0
		.amdhsa_system_sgpr_private_segment_wavefront_offset 1
		.amdhsa_system_sgpr_workgroup_id_x 1
		.amdhsa_system_sgpr_workgroup_id_y 0
		.amdhsa_system_sgpr_workgroup_id_z 0
		.amdhsa_system_sgpr_workgroup_info 0
		.amdhsa_system_vgpr_workitem_id 1
		.amdhsa_next_free_vgpr 128
		.amdhsa_next_free_sgpr 100
		.amdhsa_accum_offset 128
		.amdhsa_reserve_vcc 1
		.amdhsa_reserve_flat_scratch 1
		.amdhsa_float_round_mode_32 0
		.amdhsa_float_round_mode_16_64 0
		.amdhsa_float_denorm_mode_32 3
		.amdhsa_float_denorm_mode_16_64 3
		.amdhsa_dx10_clamp 1
		.amdhsa_ieee_mode 1
		.amdhsa_fp16_overflow 0
		.amdhsa_tg_split 0
		.amdhsa_exception_fp_ieee_invalid_op 0
		.amdhsa_exception_fp_denorm_src 0
		.amdhsa_exception_fp_ieee_div_zero 0
		.amdhsa_exception_fp_ieee_overflow 0
		.amdhsa_exception_fp_ieee_underflow 0
		.amdhsa_exception_fp_ieee_inexact 0
		.amdhsa_exception_int_div_zero 0
	.end_amdhsa_kernel
	.section	.text._ZL18flash_attn_ext_f16ILi64ELi64ELi64ELi1ELb0ELb0EEvPKcS1_S1_S1_S1_PKiPfP15HIP_vector_typeIfLj2EEffffjfiS5_IjLj3EEiiiiiiiiiiiliiliiiiil,"axG",@progbits,_ZL18flash_attn_ext_f16ILi64ELi64ELi64ELi1ELb0ELb0EEvPKcS1_S1_S1_S1_PKiPfP15HIP_vector_typeIfLj2EEffffjfiS5_IjLj3EEiiiiiiiiiiiliiliiiiil,comdat
.Lfunc_end0:
	.size	_ZL18flash_attn_ext_f16ILi64ELi64ELi64ELi1ELb0ELb0EEvPKcS1_S1_S1_S1_PKiPfP15HIP_vector_typeIfLj2EEffffjfiS5_IjLj3EEiiiiiiiiiiiliiliiiiil, .Lfunc_end0-_ZL18flash_attn_ext_f16ILi64ELi64ELi64ELi1ELb0ELb0EEvPKcS1_S1_S1_S1_PKiPfP15HIP_vector_typeIfLj2EEffffjfiS5_IjLj3EEiiiiiiiiiiiliiliiiiil
                                        ; -- End function
	.section	.AMDGPU.csdata,"",@progbits
; Kernel info:
; codeLenInByte = 65076
; NumSgprs: 106
; NumVgprs: 128
; NumAgprs: 0
; TotalNumVgprs: 128
; ScratchSize: 352
; MemoryBound: 0
; FloatMode: 240
; IeeeMode: 1
; LDSByteSize: 0 bytes/workgroup (compile time only)
; SGPRBlocks: 13
; VGPRBlocks: 15
; NumSGPRsForWavesPerEU: 106
; NumVGPRsForWavesPerEU: 128
; AccumOffset: 128
; Occupancy: 4
; WaveLimiterHint : 0
; COMPUTE_PGM_RSRC2:SCRATCH_EN: 1
; COMPUTE_PGM_RSRC2:USER_SGPR: 8
; COMPUTE_PGM_RSRC2:TRAP_HANDLER: 0
; COMPUTE_PGM_RSRC2:TGID_X_EN: 1
; COMPUTE_PGM_RSRC2:TGID_Y_EN: 0
; COMPUTE_PGM_RSRC2:TGID_Z_EN: 0
; COMPUTE_PGM_RSRC2:TIDIG_COMP_CNT: 1
; COMPUTE_PGM_RSRC3_GFX90A:ACCUM_OFFSET: 31
; COMPUTE_PGM_RSRC3_GFX90A:TG_SPLIT: 0
	.text
	.p2align	2                               ; -- Begin function __ockl_printf_append_string_n
	.type	__ockl_printf_append_string_n,@function
__ockl_printf_append_string_n:          ; @__ockl_printf_append_string_n
; %bb.0:
	s_waitcnt vmcnt(0) expcnt(0) lgkmcnt(0)
	v_mov_b32_e32 v7, v3
	v_mov_b32_e32 v6, v2
	;; [unrolled: 1-line block ×3, first 2 shown]
	s_mov_b64 s[6:7], 0
	v_cmp_ne_u64_e32 vcc, 0, v[6:7]
	v_mbcnt_lo_u32_b32 v2, -1, 0
	s_and_saveexec_b64 s[4:5], vcc
	s_xor_b64 s[10:11], exec, s[4:5]
	s_cbranch_execz .LBB1_86
; %bb.1:
	s_load_dwordx2 s[12:13], s[8:9], 0x50
	v_and_b32_e32 v28, 2, v3
	s_mov_b32 s22, 0
	v_mov_b32_e32 v31, 0
	v_and_b32_e32 v0, -3, v3
	v_mbcnt_hi_u32_b32 v32, -1, v2
	s_movk_i32 s23, 0xff1f
	v_mov_b32_e32 v10, 2
	v_mov_b32_e32 v11, 1
	s_branch .LBB1_3
.LBB1_2:                                ;   in Loop: Header=BB1_3 Depth=1
	s_or_b64 exec, exec, s[16:17]
	v_sub_co_u32_e32 v4, vcc, v4, v34
	v_subb_co_u32_e32 v5, vcc, v5, v35, vcc
	v_cmp_eq_u64_e32 vcc, 0, v[4:5]
	s_or_b64 s[6:7], vcc, s[6:7]
	v_add_co_u32_e32 v6, vcc, v6, v34
	v_addc_co_u32_e32 v7, vcc, v7, v35, vcc
	s_andn2_b64 exec, exec, s[6:7]
	s_cbranch_execz .LBB1_85
.LBB1_3:                                ; =>This Loop Header: Depth=1
                                        ;     Child Loop BB1_6 Depth 2
                                        ;     Child Loop BB1_14 Depth 2
	;; [unrolled: 1-line block ×11, first 2 shown]
	v_cmp_gt_u64_e32 vcc, 56, v[4:5]
	v_cndmask_b32_e32 v35, 0, v5, vcc
	v_cndmask_b32_e32 v34, 56, v4, vcc
	v_cmp_gt_u64_e32 vcc, 8, v[4:5]
                                        ; implicit-def: $vgpr2_vgpr3
                                        ; implicit-def: $sgpr14
	s_and_saveexec_b64 s[4:5], vcc
	s_xor_b64 s[4:5], exec, s[4:5]
	s_cbranch_execz .LBB1_9
; %bb.4:                                ;   in Loop: Header=BB1_3 Depth=1
	s_mov_b64 s[16:17], 0
	v_cmp_ne_u64_e32 vcc, 0, v[4:5]
	s_waitcnt vmcnt(0)
	v_pk_mov_b32 v[2:3], 0, 0
	s_and_saveexec_b64 s[14:15], vcc
	s_cbranch_execz .LBB1_8
; %bb.5:                                ;   in Loop: Header=BB1_3 Depth=1
	v_lshlrev_b64 v[8:9], 3, v[34:35]
	v_pk_mov_b32 v[2:3], 0, 0
	v_pk_mov_b32 v[12:13], v[6:7], v[6:7] op_sel:[0,1]
	s_mov_b64 s[18:19], 0
.LBB1_6:                                ;   Parent Loop BB1_3 Depth=1
                                        ; =>  This Inner Loop Header: Depth=2
	flat_load_ubyte v9, v[12:13]
	v_mov_b32_e32 v15, s22
	v_add_co_u32_e32 v12, vcc, 1, v12
	v_addc_co_u32_e32 v13, vcc, 0, v13, vcc
	s_waitcnt vmcnt(0) lgkmcnt(0)
	v_and_b32_e32 v14, 0xffff, v9
	v_lshlrev_b64 v[14:15], s18, v[14:15]
	s_add_u32 s18, s18, 8
	s_addc_u32 s19, s19, 0
	v_cmp_eq_u32_e32 vcc, s18, v8
	v_or_b32_e32 v3, v15, v3
	s_or_b64 s[16:17], vcc, s[16:17]
	v_or_b32_e32 v2, v14, v2
	s_andn2_b64 exec, exec, s[16:17]
	s_cbranch_execnz .LBB1_6
; %bb.7:                                ;   in Loop: Header=BB1_3 Depth=1
	s_or_b64 exec, exec, s[16:17]
.LBB1_8:                                ;   in Loop: Header=BB1_3 Depth=1
	s_or_b64 exec, exec, s[14:15]
	s_mov_b32 s14, 0
.LBB1_9:                                ;   in Loop: Header=BB1_3 Depth=1
	s_or_saveexec_b64 s[4:5], s[4:5]
	v_mov_b32_e32 v14, s14
	v_pk_mov_b32 v[8:9], v[6:7], v[6:7] op_sel:[0,1]
	s_xor_b64 exec, exec, s[4:5]
	s_cbranch_execz .LBB1_11
; %bb.10:                               ;   in Loop: Header=BB1_3 Depth=1
	s_waitcnt vmcnt(0)
	flat_load_dwordx2 v[2:3], v[6:7]
	v_add_u32_e32 v14, -8, v34
	s_waitcnt vmcnt(0) lgkmcnt(0)
	v_and_b32_e32 v8, 0xff, v3
	v_and_b32_e32 v9, 0xff00, v3
	;; [unrolled: 1-line block ×4, first 2 shown]
	v_or_b32_e32 v8, v8, v9
	v_or3_b32 v3, v8, v12, v3
	v_add_co_u32_e32 v8, vcc, 8, v6
	v_or3_b32 v2, v2, 0, 0
	v_addc_co_u32_e32 v9, vcc, 0, v7, vcc
.LBB1_11:                               ;   in Loop: Header=BB1_3 Depth=1
	s_or_b64 exec, exec, s[4:5]
	v_cmp_gt_u32_e32 vcc, 8, v14
                                        ; implicit-def: $vgpr12_vgpr13
                                        ; implicit-def: $sgpr14
	s_and_saveexec_b64 s[4:5], vcc
	s_xor_b64 s[4:5], exec, s[4:5]
	s_cbranch_execz .LBB1_17
; %bb.12:                               ;   in Loop: Header=BB1_3 Depth=1
	v_cmp_ne_u32_e32 vcc, 0, v14
	v_pk_mov_b32 v[12:13], 0, 0
	s_and_saveexec_b64 s[14:15], vcc
	s_cbranch_execz .LBB1_16
; %bb.13:                               ;   in Loop: Header=BB1_3 Depth=1
	s_mov_b64 s[16:17], 0
	v_pk_mov_b32 v[12:13], 0, 0
	s_mov_b64 s[18:19], 0
	s_mov_b64 s[20:21], 0
.LBB1_14:                               ;   Parent Loop BB1_3 Depth=1
                                        ; =>  This Inner Loop Header: Depth=2
	v_mov_b32_e32 v15, s21
	v_add_co_u32_e32 v16, vcc, s20, v8
	v_addc_co_u32_e32 v17, vcc, v9, v15, vcc
	flat_load_ubyte v15, v[16:17]
	s_add_u32 s20, s20, 1
	v_mov_b32_e32 v17, s22
	s_addc_u32 s21, s21, 0
	v_cmp_eq_u32_e32 vcc, s20, v14
	s_waitcnt vmcnt(0) lgkmcnt(0)
	v_and_b32_e32 v16, 0xffff, v15
	v_lshlrev_b64 v[16:17], s18, v[16:17]
	s_add_u32 s18, s18, 8
	s_addc_u32 s19, s19, 0
	v_or_b32_e32 v13, v17, v13
	s_or_b64 s[16:17], vcc, s[16:17]
	v_or_b32_e32 v12, v16, v12
	s_andn2_b64 exec, exec, s[16:17]
	s_cbranch_execnz .LBB1_14
; %bb.15:                               ;   in Loop: Header=BB1_3 Depth=1
	s_or_b64 exec, exec, s[16:17]
.LBB1_16:                               ;   in Loop: Header=BB1_3 Depth=1
	s_or_b64 exec, exec, s[14:15]
	s_mov_b32 s14, 0
                                        ; implicit-def: $vgpr14
.LBB1_17:                               ;   in Loop: Header=BB1_3 Depth=1
	s_or_saveexec_b64 s[4:5], s[4:5]
	v_mov_b32_e32 v16, s14
	s_xor_b64 exec, exec, s[4:5]
	s_cbranch_execz .LBB1_19
; %bb.18:                               ;   in Loop: Header=BB1_3 Depth=1
	flat_load_dwordx2 v[12:13], v[8:9]
	v_add_u32_e32 v16, -8, v14
	v_add_co_u32_e32 v8, vcc, 8, v8
	v_addc_co_u32_e32 v9, vcc, 0, v9, vcc
	s_waitcnt vmcnt(0) lgkmcnt(0)
	v_and_b32_e32 v14, 0xff, v13
	v_and_b32_e32 v15, 0xff00, v13
	;; [unrolled: 1-line block ×4, first 2 shown]
	v_or_b32_e32 v14, v14, v15
	v_or3_b32 v12, v12, 0, 0
	v_or3_b32 v13, v14, v17, v13
.LBB1_19:                               ;   in Loop: Header=BB1_3 Depth=1
	s_or_b64 exec, exec, s[4:5]
	v_cmp_gt_u32_e32 vcc, 8, v16
                                        ; implicit-def: $sgpr14
	s_and_saveexec_b64 s[4:5], vcc
	s_xor_b64 s[4:5], exec, s[4:5]
	s_cbranch_execz .LBB1_25
; %bb.20:                               ;   in Loop: Header=BB1_3 Depth=1
	v_cmp_ne_u32_e32 vcc, 0, v16
	v_pk_mov_b32 v[14:15], 0, 0
	s_and_saveexec_b64 s[14:15], vcc
	s_cbranch_execz .LBB1_24
; %bb.21:                               ;   in Loop: Header=BB1_3 Depth=1
	s_mov_b64 s[16:17], 0
	v_pk_mov_b32 v[14:15], 0, 0
	s_mov_b64 s[18:19], 0
	s_mov_b64 s[20:21], 0
.LBB1_22:                               ;   Parent Loop BB1_3 Depth=1
                                        ; =>  This Inner Loop Header: Depth=2
	v_mov_b32_e32 v17, s21
	v_add_co_u32_e32 v18, vcc, s20, v8
	v_addc_co_u32_e32 v19, vcc, v9, v17, vcc
	flat_load_ubyte v17, v[18:19]
	s_add_u32 s20, s20, 1
	v_mov_b32_e32 v19, s22
	s_addc_u32 s21, s21, 0
	v_cmp_eq_u32_e32 vcc, s20, v16
	s_waitcnt vmcnt(0) lgkmcnt(0)
	v_and_b32_e32 v18, 0xffff, v17
	v_lshlrev_b64 v[18:19], s18, v[18:19]
	s_add_u32 s18, s18, 8
	s_addc_u32 s19, s19, 0
	v_or_b32_e32 v15, v19, v15
	s_or_b64 s[16:17], vcc, s[16:17]
	v_or_b32_e32 v14, v18, v14
	s_andn2_b64 exec, exec, s[16:17]
	s_cbranch_execnz .LBB1_22
; %bb.23:                               ;   in Loop: Header=BB1_3 Depth=1
	s_or_b64 exec, exec, s[16:17]
.LBB1_24:                               ;   in Loop: Header=BB1_3 Depth=1
	s_or_b64 exec, exec, s[14:15]
	s_mov_b32 s14, 0
                                        ; implicit-def: $vgpr16
.LBB1_25:                               ;   in Loop: Header=BB1_3 Depth=1
	s_or_saveexec_b64 s[4:5], s[4:5]
	v_mov_b32_e32 v18, s14
	s_xor_b64 exec, exec, s[4:5]
	s_cbranch_execz .LBB1_27
; %bb.26:                               ;   in Loop: Header=BB1_3 Depth=1
	flat_load_dwordx2 v[14:15], v[8:9]
	v_add_u32_e32 v18, -8, v16
	v_add_co_u32_e32 v8, vcc, 8, v8
	v_addc_co_u32_e32 v9, vcc, 0, v9, vcc
	s_waitcnt vmcnt(0) lgkmcnt(0)
	v_and_b32_e32 v16, 0xff, v15
	v_and_b32_e32 v17, 0xff00, v15
	v_and_b32_e32 v19, 0xff0000, v15
	v_and_b32_e32 v15, 0xff000000, v15
	v_or_b32_e32 v16, v16, v17
	v_or3_b32 v14, v14, 0, 0
	v_or3_b32 v15, v16, v19, v15
.LBB1_27:                               ;   in Loop: Header=BB1_3 Depth=1
	s_or_b64 exec, exec, s[4:5]
	v_cmp_gt_u32_e32 vcc, 8, v18
                                        ; implicit-def: $vgpr16_vgpr17
                                        ; implicit-def: $sgpr14
	s_and_saveexec_b64 s[4:5], vcc
	s_xor_b64 s[4:5], exec, s[4:5]
	s_cbranch_execz .LBB1_33
; %bb.28:                               ;   in Loop: Header=BB1_3 Depth=1
	v_cmp_ne_u32_e32 vcc, 0, v18
	v_pk_mov_b32 v[16:17], 0, 0
	s_and_saveexec_b64 s[14:15], vcc
	s_cbranch_execz .LBB1_32
; %bb.29:                               ;   in Loop: Header=BB1_3 Depth=1
	s_mov_b64 s[16:17], 0
	v_pk_mov_b32 v[16:17], 0, 0
	s_mov_b64 s[18:19], 0
	s_mov_b64 s[20:21], 0
.LBB1_30:                               ;   Parent Loop BB1_3 Depth=1
                                        ; =>  This Inner Loop Header: Depth=2
	v_mov_b32_e32 v19, s21
	v_add_co_u32_e32 v20, vcc, s20, v8
	v_addc_co_u32_e32 v21, vcc, v9, v19, vcc
	flat_load_ubyte v19, v[20:21]
	s_add_u32 s20, s20, 1
	v_mov_b32_e32 v21, s22
	s_addc_u32 s21, s21, 0
	v_cmp_eq_u32_e32 vcc, s20, v18
	s_waitcnt vmcnt(0) lgkmcnt(0)
	v_and_b32_e32 v20, 0xffff, v19
	v_lshlrev_b64 v[20:21], s18, v[20:21]
	s_add_u32 s18, s18, 8
	s_addc_u32 s19, s19, 0
	v_or_b32_e32 v17, v21, v17
	s_or_b64 s[16:17], vcc, s[16:17]
	v_or_b32_e32 v16, v20, v16
	s_andn2_b64 exec, exec, s[16:17]
	s_cbranch_execnz .LBB1_30
; %bb.31:                               ;   in Loop: Header=BB1_3 Depth=1
	s_or_b64 exec, exec, s[16:17]
.LBB1_32:                               ;   in Loop: Header=BB1_3 Depth=1
	s_or_b64 exec, exec, s[14:15]
	s_mov_b32 s14, 0
                                        ; implicit-def: $vgpr18
.LBB1_33:                               ;   in Loop: Header=BB1_3 Depth=1
	s_or_saveexec_b64 s[4:5], s[4:5]
	v_mov_b32_e32 v20, s14
	s_xor_b64 exec, exec, s[4:5]
	s_cbranch_execz .LBB1_35
; %bb.34:                               ;   in Loop: Header=BB1_3 Depth=1
	flat_load_dwordx2 v[16:17], v[8:9]
	v_add_u32_e32 v20, -8, v18
	v_add_co_u32_e32 v8, vcc, 8, v8
	v_addc_co_u32_e32 v9, vcc, 0, v9, vcc
	s_waitcnt vmcnt(0) lgkmcnt(0)
	v_and_b32_e32 v18, 0xff, v17
	v_and_b32_e32 v19, 0xff00, v17
	;; [unrolled: 1-line block ×4, first 2 shown]
	v_or_b32_e32 v18, v18, v19
	v_or3_b32 v16, v16, 0, 0
	v_or3_b32 v17, v18, v21, v17
.LBB1_35:                               ;   in Loop: Header=BB1_3 Depth=1
	s_or_b64 exec, exec, s[4:5]
	v_cmp_gt_u32_e32 vcc, 8, v20
                                        ; implicit-def: $sgpr14
	s_and_saveexec_b64 s[4:5], vcc
	s_xor_b64 s[4:5], exec, s[4:5]
	s_cbranch_execz .LBB1_41
; %bb.36:                               ;   in Loop: Header=BB1_3 Depth=1
	v_cmp_ne_u32_e32 vcc, 0, v20
	v_pk_mov_b32 v[18:19], 0, 0
	s_and_saveexec_b64 s[14:15], vcc
	s_cbranch_execz .LBB1_40
; %bb.37:                               ;   in Loop: Header=BB1_3 Depth=1
	s_mov_b64 s[16:17], 0
	v_pk_mov_b32 v[18:19], 0, 0
	s_mov_b64 s[18:19], 0
	s_mov_b64 s[20:21], 0
.LBB1_38:                               ;   Parent Loop BB1_3 Depth=1
                                        ; =>  This Inner Loop Header: Depth=2
	v_mov_b32_e32 v21, s21
	v_add_co_u32_e32 v22, vcc, s20, v8
	v_addc_co_u32_e32 v23, vcc, v9, v21, vcc
	flat_load_ubyte v21, v[22:23]
	s_add_u32 s20, s20, 1
	v_mov_b32_e32 v23, s22
	s_addc_u32 s21, s21, 0
	v_cmp_eq_u32_e32 vcc, s20, v20
	s_waitcnt vmcnt(0) lgkmcnt(0)
	v_and_b32_e32 v22, 0xffff, v21
	v_lshlrev_b64 v[22:23], s18, v[22:23]
	s_add_u32 s18, s18, 8
	s_addc_u32 s19, s19, 0
	v_or_b32_e32 v19, v23, v19
	s_or_b64 s[16:17], vcc, s[16:17]
	v_or_b32_e32 v18, v22, v18
	s_andn2_b64 exec, exec, s[16:17]
	s_cbranch_execnz .LBB1_38
; %bb.39:                               ;   in Loop: Header=BB1_3 Depth=1
	s_or_b64 exec, exec, s[16:17]
.LBB1_40:                               ;   in Loop: Header=BB1_3 Depth=1
	s_or_b64 exec, exec, s[14:15]
	s_mov_b32 s14, 0
                                        ; implicit-def: $vgpr20
.LBB1_41:                               ;   in Loop: Header=BB1_3 Depth=1
	s_or_saveexec_b64 s[4:5], s[4:5]
	v_mov_b32_e32 v22, s14
	s_xor_b64 exec, exec, s[4:5]
	s_cbranch_execz .LBB1_43
; %bb.42:                               ;   in Loop: Header=BB1_3 Depth=1
	flat_load_dwordx2 v[18:19], v[8:9]
	v_add_u32_e32 v22, -8, v20
	v_add_co_u32_e32 v8, vcc, 8, v8
	v_addc_co_u32_e32 v9, vcc, 0, v9, vcc
	s_waitcnt vmcnt(0) lgkmcnt(0)
	v_and_b32_e32 v20, 0xff, v19
	v_and_b32_e32 v21, 0xff00, v19
	;; [unrolled: 1-line block ×4, first 2 shown]
	v_or_b32_e32 v20, v20, v21
	v_or3_b32 v18, v18, 0, 0
	v_or3_b32 v19, v20, v23, v19
.LBB1_43:                               ;   in Loop: Header=BB1_3 Depth=1
	s_or_b64 exec, exec, s[4:5]
	v_cmp_gt_u32_e32 vcc, 8, v22
                                        ; implicit-def: $vgpr20_vgpr21
                                        ; implicit-def: $sgpr14
	s_and_saveexec_b64 s[4:5], vcc
	s_xor_b64 s[4:5], exec, s[4:5]
	s_cbranch_execz .LBB1_49
; %bb.44:                               ;   in Loop: Header=BB1_3 Depth=1
	v_cmp_ne_u32_e32 vcc, 0, v22
	v_pk_mov_b32 v[20:21], 0, 0
	s_and_saveexec_b64 s[14:15], vcc
	s_cbranch_execz .LBB1_48
; %bb.45:                               ;   in Loop: Header=BB1_3 Depth=1
	s_mov_b64 s[16:17], 0
	v_pk_mov_b32 v[20:21], 0, 0
	s_mov_b64 s[18:19], 0
	s_mov_b64 s[20:21], 0
.LBB1_46:                               ;   Parent Loop BB1_3 Depth=1
                                        ; =>  This Inner Loop Header: Depth=2
	v_mov_b32_e32 v23, s21
	v_add_co_u32_e32 v24, vcc, s20, v8
	v_addc_co_u32_e32 v25, vcc, v9, v23, vcc
	flat_load_ubyte v23, v[24:25]
	s_add_u32 s20, s20, 1
	v_mov_b32_e32 v25, s22
	s_addc_u32 s21, s21, 0
	v_cmp_eq_u32_e32 vcc, s20, v22
	s_waitcnt vmcnt(0) lgkmcnt(0)
	v_and_b32_e32 v24, 0xffff, v23
	v_lshlrev_b64 v[24:25], s18, v[24:25]
	s_add_u32 s18, s18, 8
	s_addc_u32 s19, s19, 0
	v_or_b32_e32 v21, v25, v21
	s_or_b64 s[16:17], vcc, s[16:17]
	v_or_b32_e32 v20, v24, v20
	s_andn2_b64 exec, exec, s[16:17]
	s_cbranch_execnz .LBB1_46
; %bb.47:                               ;   in Loop: Header=BB1_3 Depth=1
	s_or_b64 exec, exec, s[16:17]
.LBB1_48:                               ;   in Loop: Header=BB1_3 Depth=1
	s_or_b64 exec, exec, s[14:15]
	s_mov_b32 s14, 0
                                        ; implicit-def: $vgpr22
.LBB1_49:                               ;   in Loop: Header=BB1_3 Depth=1
	s_or_saveexec_b64 s[4:5], s[4:5]
	v_mov_b32_e32 v24, s14
	s_xor_b64 exec, exec, s[4:5]
	s_cbranch_execz .LBB1_51
; %bb.50:                               ;   in Loop: Header=BB1_3 Depth=1
	flat_load_dwordx2 v[20:21], v[8:9]
	v_add_u32_e32 v24, -8, v22
	v_add_co_u32_e32 v8, vcc, 8, v8
	v_addc_co_u32_e32 v9, vcc, 0, v9, vcc
	s_waitcnt vmcnt(0) lgkmcnt(0)
	v_and_b32_e32 v22, 0xff, v21
	v_and_b32_e32 v23, 0xff00, v21
	;; [unrolled: 1-line block ×4, first 2 shown]
	v_or_b32_e32 v22, v22, v23
	v_or3_b32 v20, v20, 0, 0
	v_or3_b32 v21, v22, v25, v21
.LBB1_51:                               ;   in Loop: Header=BB1_3 Depth=1
	s_or_b64 exec, exec, s[4:5]
	v_cmp_gt_u32_e32 vcc, 8, v24
	s_and_saveexec_b64 s[4:5], vcc
	s_xor_b64 s[4:5], exec, s[4:5]
	s_cbranch_execz .LBB1_57
; %bb.52:                               ;   in Loop: Header=BB1_3 Depth=1
	v_cmp_ne_u32_e32 vcc, 0, v24
	v_pk_mov_b32 v[22:23], 0, 0
	s_and_saveexec_b64 s[14:15], vcc
	s_cbranch_execz .LBB1_56
; %bb.53:                               ;   in Loop: Header=BB1_3 Depth=1
	s_mov_b64 s[16:17], 0
	v_pk_mov_b32 v[22:23], 0, 0
	s_mov_b64 s[18:19], 0
.LBB1_54:                               ;   Parent Loop BB1_3 Depth=1
                                        ; =>  This Inner Loop Header: Depth=2
	flat_load_ubyte v25, v[8:9]
	v_mov_b32_e32 v27, s22
	v_add_co_u32_e32 v8, vcc, 1, v8
	v_add_u32_e32 v24, -1, v24
	v_addc_co_u32_e32 v9, vcc, 0, v9, vcc
	v_cmp_eq_u32_e32 vcc, 0, v24
	s_waitcnt vmcnt(0) lgkmcnt(0)
	v_and_b32_e32 v26, 0xffff, v25
	v_lshlrev_b64 v[26:27], s18, v[26:27]
	s_add_u32 s18, s18, 8
	s_addc_u32 s19, s19, 0
	v_or_b32_e32 v23, v27, v23
	s_or_b64 s[16:17], vcc, s[16:17]
	v_or_b32_e32 v22, v26, v22
	s_andn2_b64 exec, exec, s[16:17]
	s_cbranch_execnz .LBB1_54
; %bb.55:                               ;   in Loop: Header=BB1_3 Depth=1
	s_or_b64 exec, exec, s[16:17]
.LBB1_56:                               ;   in Loop: Header=BB1_3 Depth=1
	s_or_b64 exec, exec, s[14:15]
                                        ; implicit-def: $vgpr8_vgpr9
.LBB1_57:                               ;   in Loop: Header=BB1_3 Depth=1
	s_andn2_saveexec_b64 s[4:5], s[4:5]
	s_cbranch_execz .LBB1_59
; %bb.58:                               ;   in Loop: Header=BB1_3 Depth=1
	flat_load_dwordx2 v[8:9], v[8:9]
	s_waitcnt vmcnt(0) lgkmcnt(0)
	v_and_b32_e32 v22, 0xff, v9
	v_and_b32_e32 v23, 0xff00, v9
	v_and_b32_e32 v24, 0xff0000, v9
	v_and_b32_e32 v9, 0xff000000, v9
	v_or_b32_e32 v22, v22, v23
	v_or3_b32 v23, v22, v24, v9
	v_or3_b32 v22, v8, 0, 0
.LBB1_59:                               ;   in Loop: Header=BB1_3 Depth=1
	s_or_b64 exec, exec, s[4:5]
	v_readfirstlane_b32 s4, v32
	v_cmp_eq_u32_e64 s[4:5], s4, v32
	v_pk_mov_b32 v[8:9], 0, 0
	s_and_saveexec_b64 s[14:15], s[4:5]
	s_cbranch_execz .LBB1_65
; %bb.60:                               ;   in Loop: Header=BB1_3 Depth=1
	s_waitcnt lgkmcnt(0)
	global_load_dwordx2 v[26:27], v31, s[12:13] offset:24 glc
	s_waitcnt vmcnt(0)
	buffer_invl2
	buffer_wbinvl1_vol
	global_load_dwordx2 v[8:9], v31, s[12:13] offset:40
	global_load_dwordx2 v[24:25], v31, s[12:13]
	s_waitcnt vmcnt(1)
	v_and_b32_e32 v8, v8, v26
	v_and_b32_e32 v9, v9, v27
	v_mul_lo_u32 v9, v9, 24
	v_mul_hi_u32 v29, v8, 24
	v_mul_lo_u32 v8, v8, 24
	v_add_u32_e32 v9, v29, v9
	s_waitcnt vmcnt(0)
	v_add_co_u32_e32 v8, vcc, v24, v8
	v_addc_co_u32_e32 v9, vcc, v25, v9, vcc
	global_load_dwordx2 v[24:25], v[8:9], off glc
	s_waitcnt vmcnt(0)
	global_atomic_cmpswap_x2 v[8:9], v31, v[24:27], s[12:13] offset:24 glc
	s_waitcnt vmcnt(0)
	buffer_invl2
	buffer_wbinvl1_vol
	v_cmp_ne_u64_e32 vcc, v[8:9], v[26:27]
	s_and_saveexec_b64 s[16:17], vcc
	s_cbranch_execz .LBB1_64
; %bb.61:                               ;   in Loop: Header=BB1_3 Depth=1
	s_mov_b64 s[18:19], 0
.LBB1_62:                               ;   Parent Loop BB1_3 Depth=1
                                        ; =>  This Inner Loop Header: Depth=2
	s_sleep 1
	global_load_dwordx2 v[24:25], v31, s[12:13] offset:40
	global_load_dwordx2 v[36:37], v31, s[12:13]
	v_pk_mov_b32 v[26:27], v[8:9], v[8:9] op_sel:[0,1]
	s_waitcnt vmcnt(1)
	v_and_b32_e32 v8, v24, v26
	s_waitcnt vmcnt(0)
	v_mad_u64_u32 v[8:9], s[20:21], v8, 24, v[36:37]
	v_and_b32_e32 v25, v25, v27
	v_mov_b32_e32 v24, v9
	v_mad_u64_u32 v[24:25], s[20:21], v25, 24, v[24:25]
	v_mov_b32_e32 v9, v24
	global_load_dwordx2 v[24:25], v[8:9], off glc
	s_waitcnt vmcnt(0)
	global_atomic_cmpswap_x2 v[8:9], v31, v[24:27], s[12:13] offset:24 glc
	s_waitcnt vmcnt(0)
	buffer_invl2
	buffer_wbinvl1_vol
	v_cmp_eq_u64_e32 vcc, v[8:9], v[26:27]
	s_or_b64 s[18:19], vcc, s[18:19]
	s_andn2_b64 exec, exec, s[18:19]
	s_cbranch_execnz .LBB1_62
; %bb.63:                               ;   in Loop: Header=BB1_3 Depth=1
	s_or_b64 exec, exec, s[18:19]
.LBB1_64:                               ;   in Loop: Header=BB1_3 Depth=1
	s_or_b64 exec, exec, s[16:17]
.LBB1_65:                               ;   in Loop: Header=BB1_3 Depth=1
	s_or_b64 exec, exec, s[14:15]
	s_waitcnt lgkmcnt(0)
	global_load_dwordx2 v[36:37], v31, s[12:13] offset:40
	global_load_dwordx4 v[24:27], v31, s[12:13]
	v_readfirstlane_b32 s14, v8
	v_readfirstlane_b32 s15, v9
	s_mov_b64 s[16:17], exec
	s_waitcnt vmcnt(1)
	v_readfirstlane_b32 s18, v36
	v_readfirstlane_b32 s19, v37
	s_and_b64 s[18:19], s[14:15], s[18:19]
	s_mul_i32 s20, s19, 24
	s_mul_hi_u32 s21, s18, 24
	s_mul_i32 s24, s18, 24
	s_add_i32 s20, s21, s20
	v_mov_b32_e32 v8, s20
	s_waitcnt vmcnt(0)
	v_add_co_u32_e32 v36, vcc, s24, v24
	v_addc_co_u32_e32 v37, vcc, v25, v8, vcc
	s_and_saveexec_b64 s[20:21], s[4:5]
	s_cbranch_execz .LBB1_67
; %bb.66:                               ;   in Loop: Header=BB1_3 Depth=1
	v_pk_mov_b32 v[8:9], s[16:17], s[16:17] op_sel:[0,1]
	global_store_dwordx4 v[36:37], v[8:11], off offset:8
.LBB1_67:                               ;   in Loop: Header=BB1_3 Depth=1
	s_or_b64 exec, exec, s[20:21]
	s_lshl_b64 s[16:17], s[18:19], 12
	v_mov_b32_e32 v9, s17
	v_add_co_u32_e32 v8, vcc, s16, v26
	v_addc_co_u32_e32 v9, vcc, v27, v9, vcc
	v_or_b32_e32 v26, 0, v1
	v_cmp_lt_u64_e32 vcc, 56, v[4:5]
	v_or_b32_e32 v27, v0, v28
	v_cndmask_b32_e32 v1, v26, v1, vcc
	v_lshl_add_u32 v26, v34, 2, 28
	v_cndmask_b32_e32 v0, v27, v0, vcc
	v_and_b32_e32 v26, 0x1e0, v26
	v_and_or_b32 v0, v0, s23, v26
	v_lshlrev_b32_e32 v26, 6, v32
	v_readfirstlane_b32 s16, v8
	v_readfirstlane_b32 s17, v9
	s_nop 4
	global_store_dwordx4 v26, v[0:3], s[16:17]
	global_store_dwordx4 v26, v[12:15], s[16:17] offset:16
	global_store_dwordx4 v26, v[16:19], s[16:17] offset:32
	;; [unrolled: 1-line block ×3, first 2 shown]
	s_and_saveexec_b64 s[16:17], s[4:5]
	s_cbranch_execz .LBB1_75
; %bb.68:                               ;   in Loop: Header=BB1_3 Depth=1
	global_load_dwordx2 v[16:17], v31, s[12:13] offset:32 glc
	global_load_dwordx2 v[0:1], v31, s[12:13] offset:40
	v_mov_b32_e32 v14, s14
	v_mov_b32_e32 v15, s15
	s_waitcnt vmcnt(0)
	v_readfirstlane_b32 s18, v0
	v_readfirstlane_b32 s19, v1
	s_and_b64 s[18:19], s[18:19], s[14:15]
	s_mul_i32 s19, s19, 24
	s_mul_hi_u32 s20, s18, 24
	s_mul_i32 s18, s18, 24
	s_add_i32 s19, s20, s19
	v_mov_b32_e32 v0, s19
	v_add_co_u32_e32 v12, vcc, s18, v24
	v_addc_co_u32_e32 v13, vcc, v25, v0, vcc
	global_store_dwordx2 v[12:13], v[16:17], off
	buffer_wbl2
	s_waitcnt vmcnt(0)
	global_atomic_cmpswap_x2 v[2:3], v31, v[14:17], s[12:13] offset:32 glc
	s_waitcnt vmcnt(0)
	v_cmp_ne_u64_e32 vcc, v[2:3], v[16:17]
	s_and_saveexec_b64 s[18:19], vcc
	s_cbranch_execz .LBB1_71
; %bb.69:                               ;   in Loop: Header=BB1_3 Depth=1
	s_mov_b64 s[20:21], 0
.LBB1_70:                               ;   Parent Loop BB1_3 Depth=1
                                        ; =>  This Inner Loop Header: Depth=2
	s_sleep 1
	global_store_dwordx2 v[12:13], v[2:3], off
	v_mov_b32_e32 v0, s14
	v_mov_b32_e32 v1, s15
	buffer_wbl2
	s_waitcnt vmcnt(0)
	global_atomic_cmpswap_x2 v[0:1], v31, v[0:3], s[12:13] offset:32 glc
	s_waitcnt vmcnt(0)
	v_cmp_eq_u64_e32 vcc, v[0:1], v[2:3]
	s_or_b64 s[20:21], vcc, s[20:21]
	v_pk_mov_b32 v[2:3], v[0:1], v[0:1] op_sel:[0,1]
	s_andn2_b64 exec, exec, s[20:21]
	s_cbranch_execnz .LBB1_70
.LBB1_71:                               ;   in Loop: Header=BB1_3 Depth=1
	s_or_b64 exec, exec, s[18:19]
	global_load_dwordx2 v[0:1], v31, s[12:13] offset:16
	s_mov_b64 s[20:21], exec
	v_mbcnt_lo_u32_b32 v2, s20, 0
	v_mbcnt_hi_u32_b32 v2, s21, v2
	v_cmp_eq_u32_e32 vcc, 0, v2
	s_and_saveexec_b64 s[18:19], vcc
	s_cbranch_execz .LBB1_73
; %bb.72:                               ;   in Loop: Header=BB1_3 Depth=1
	s_bcnt1_i32_b64 s20, s[20:21]
	v_mov_b32_e32 v30, s20
	buffer_wbl2
	s_waitcnt vmcnt(0)
	global_atomic_add_x2 v[0:1], v[30:31], off offset:8
.LBB1_73:                               ;   in Loop: Header=BB1_3 Depth=1
	s_or_b64 exec, exec, s[18:19]
	s_waitcnt vmcnt(0)
	global_load_dwordx2 v[2:3], v[0:1], off offset:16
	s_waitcnt vmcnt(0)
	v_cmp_eq_u64_e32 vcc, 0, v[2:3]
	s_cbranch_vccnz .LBB1_75
; %bb.74:                               ;   in Loop: Header=BB1_3 Depth=1
	global_load_dword v30, v[0:1], off offset:24
	s_waitcnt vmcnt(0)
	v_and_b32_e32 v0, 0xffffff, v30
	v_readfirstlane_b32 m0, v0
	buffer_wbl2
	global_store_dwordx2 v[2:3], v[30:31], off
	s_sendmsg sendmsg(MSG_INTERRUPT)
.LBB1_75:                               ;   in Loop: Header=BB1_3 Depth=1
	s_or_b64 exec, exec, s[16:17]
	v_add_co_u32_e32 v0, vcc, v8, v26
	v_addc_co_u32_e32 v1, vcc, 0, v9, vcc
	s_branch .LBB1_79
.LBB1_76:                               ;   in Loop: Header=BB1_79 Depth=2
	s_or_b64 exec, exec, s[16:17]
	v_readfirstlane_b32 s16, v2
	s_cmp_eq_u32 s16, 0
	s_cbranch_scc1 .LBB1_78
; %bb.77:                               ;   in Loop: Header=BB1_79 Depth=2
	s_sleep 1
	s_cbranch_execnz .LBB1_79
	s_branch .LBB1_81
.LBB1_78:                               ;   in Loop: Header=BB1_3 Depth=1
	s_branch .LBB1_81
.LBB1_79:                               ;   Parent Loop BB1_3 Depth=1
                                        ; =>  This Inner Loop Header: Depth=2
	v_mov_b32_e32 v2, 1
	s_and_saveexec_b64 s[16:17], s[4:5]
	s_cbranch_execz .LBB1_76
; %bb.80:                               ;   in Loop: Header=BB1_79 Depth=2
	global_load_dword v2, v[36:37], off offset:20 glc
	s_waitcnt vmcnt(0)
	buffer_invl2
	buffer_wbinvl1_vol
	v_and_b32_e32 v2, 1, v2
	s_branch .LBB1_76
.LBB1_81:                               ;   in Loop: Header=BB1_3 Depth=1
	global_load_dwordx4 v[0:3], v[0:1], off
	s_and_saveexec_b64 s[16:17], s[4:5]
	s_cbranch_execz .LBB1_2
; %bb.82:                               ;   in Loop: Header=BB1_3 Depth=1
	global_load_dwordx2 v[2:3], v31, s[12:13] offset:40
	global_load_dwordx2 v[8:9], v31, s[12:13] offset:24 glc
	global_load_dwordx2 v[16:17], v31, s[12:13]
	v_mov_b32_e32 v13, s15
	s_waitcnt vmcnt(2)
	v_add_co_u32_e32 v15, vcc, 1, v2
	v_addc_co_u32_e32 v18, vcc, 0, v3, vcc
	v_add_co_u32_e32 v12, vcc, s14, v15
	v_addc_co_u32_e32 v13, vcc, v18, v13, vcc
	v_cmp_eq_u64_e32 vcc, 0, v[12:13]
	v_cndmask_b32_e32 v13, v13, v18, vcc
	v_cndmask_b32_e32 v12, v12, v15, vcc
	v_and_b32_e32 v3, v13, v3
	v_and_b32_e32 v2, v12, v2
	v_mul_lo_u32 v3, v3, 24
	v_mul_hi_u32 v15, v2, 24
	v_mul_lo_u32 v2, v2, 24
	v_add_u32_e32 v3, v15, v3
	s_waitcnt vmcnt(0)
	v_add_co_u32_e32 v2, vcc, v16, v2
	v_addc_co_u32_e32 v3, vcc, v17, v3, vcc
	v_mov_b32_e32 v14, v8
	global_store_dwordx2 v[2:3], v[8:9], off
	v_mov_b32_e32 v15, v9
	buffer_wbl2
	s_waitcnt vmcnt(0)
	global_atomic_cmpswap_x2 v[14:15], v31, v[12:15], s[12:13] offset:24 glc
	s_waitcnt vmcnt(0)
	v_cmp_ne_u64_e32 vcc, v[14:15], v[8:9]
	s_and_b64 exec, exec, vcc
	s_cbranch_execz .LBB1_2
; %bb.83:                               ;   in Loop: Header=BB1_3 Depth=1
	s_mov_b64 s[4:5], 0
.LBB1_84:                               ;   Parent Loop BB1_3 Depth=1
                                        ; =>  This Inner Loop Header: Depth=2
	s_sleep 1
	global_store_dwordx2 v[2:3], v[14:15], off
	buffer_wbl2
	s_waitcnt vmcnt(0)
	global_atomic_cmpswap_x2 v[8:9], v31, v[12:15], s[12:13] offset:24 glc
	s_waitcnt vmcnt(0)
	v_cmp_eq_u64_e32 vcc, v[8:9], v[14:15]
	s_or_b64 s[4:5], vcc, s[4:5]
	v_pk_mov_b32 v[14:15], v[8:9], v[8:9] op_sel:[0,1]
	s_andn2_b64 exec, exec, s[4:5]
	s_cbranch_execnz .LBB1_84
	s_branch .LBB1_2
.LBB1_85:
	s_or_b64 exec, exec, s[6:7]
                                        ; implicit-def: $vgpr3
                                        ; implicit-def: $vgpr2
.LBB1_86:
	s_andn2_saveexec_b64 s[6:7], s[10:11]
	s_cbranch_execz .LBB1_109
; %bb.87:
	s_load_dwordx2 s[8:9], s[8:9], 0x50
	s_waitcnt vmcnt(0)
	v_mbcnt_hi_u32_b32 v10, -1, v2
	v_readfirstlane_b32 s4, v10
	v_cmp_eq_u32_e64 s[4:5], s4, v10
	v_pk_mov_b32 v[8:9], 0, 0
	s_and_saveexec_b64 s[10:11], s[4:5]
	s_cbranch_execz .LBB1_93
; %bb.88:
	v_mov_b32_e32 v0, 0
	s_waitcnt lgkmcnt(0)
	global_load_dwordx2 v[6:7], v0, s[8:9] offset:24 glc
	s_waitcnt vmcnt(0)
	buffer_invl2
	buffer_wbinvl1_vol
	global_load_dwordx2 v[4:5], v0, s[8:9] offset:40
	global_load_dwordx2 v[8:9], v0, s[8:9]
	s_waitcnt vmcnt(1)
	v_and_b32_e32 v2, v4, v6
	v_and_b32_e32 v4, v5, v7
	v_mul_lo_u32 v4, v4, 24
	v_mul_hi_u32 v5, v2, 24
	v_mul_lo_u32 v2, v2, 24
	v_add_u32_e32 v5, v5, v4
	s_waitcnt vmcnt(0)
	v_add_co_u32_e32 v4, vcc, v8, v2
	v_addc_co_u32_e32 v5, vcc, v9, v5, vcc
	global_load_dwordx2 v[4:5], v[4:5], off glc
	s_waitcnt vmcnt(0)
	global_atomic_cmpswap_x2 v[8:9], v0, v[4:7], s[8:9] offset:24 glc
	s_waitcnt vmcnt(0)
	buffer_invl2
	buffer_wbinvl1_vol
	v_cmp_ne_u64_e32 vcc, v[8:9], v[6:7]
	s_and_saveexec_b64 s[12:13], vcc
	s_cbranch_execz .LBB1_92
; %bb.89:
	s_mov_b64 s[14:15], 0
.LBB1_90:                               ; =>This Inner Loop Header: Depth=1
	s_sleep 1
	global_load_dwordx2 v[4:5], v0, s[8:9] offset:40
	global_load_dwordx2 v[12:13], v0, s[8:9]
	v_pk_mov_b32 v[6:7], v[8:9], v[8:9] op_sel:[0,1]
	s_waitcnt vmcnt(1)
	v_and_b32_e32 v2, v4, v6
	v_and_b32_e32 v8, v5, v7
	s_waitcnt vmcnt(0)
	v_mad_u64_u32 v[4:5], s[16:17], v2, 24, v[12:13]
	v_mov_b32_e32 v2, v5
	v_mad_u64_u32 v[8:9], s[16:17], v8, 24, v[2:3]
	v_mov_b32_e32 v5, v8
	global_load_dwordx2 v[4:5], v[4:5], off glc
	s_waitcnt vmcnt(0)
	global_atomic_cmpswap_x2 v[8:9], v0, v[4:7], s[8:9] offset:24 glc
	s_waitcnt vmcnt(0)
	buffer_invl2
	buffer_wbinvl1_vol
	v_cmp_eq_u64_e32 vcc, v[8:9], v[6:7]
	s_or_b64 s[14:15], vcc, s[14:15]
	s_andn2_b64 exec, exec, s[14:15]
	s_cbranch_execnz .LBB1_90
; %bb.91:
	s_or_b64 exec, exec, s[14:15]
.LBB1_92:
	s_or_b64 exec, exec, s[12:13]
.LBB1_93:
	s_or_b64 exec, exec, s[10:11]
	v_mov_b32_e32 v2, 0
	s_waitcnt lgkmcnt(0)
	global_load_dwordx2 v[12:13], v2, s[8:9] offset:40
	global_load_dwordx4 v[4:7], v2, s[8:9]
	v_readfirstlane_b32 s10, v8
	v_readfirstlane_b32 s11, v9
	s_mov_b64 s[12:13], exec
	s_waitcnt vmcnt(1)
	v_readfirstlane_b32 s14, v12
	v_readfirstlane_b32 s15, v13
	s_and_b64 s[14:15], s[10:11], s[14:15]
	s_mul_i32 s16, s15, 24
	s_mul_hi_u32 s17, s14, 24
	s_mul_i32 s18, s14, 24
	s_add_i32 s16, s17, s16
	v_mov_b32_e32 v0, s16
	s_waitcnt vmcnt(0)
	v_add_co_u32_e32 v8, vcc, s18, v4
	v_addc_co_u32_e32 v9, vcc, v5, v0, vcc
	s_and_saveexec_b64 s[16:17], s[4:5]
	s_cbranch_execz .LBB1_95
; %bb.94:
	v_pk_mov_b32 v[12:13], s[12:13], s[12:13] op_sel:[0,1]
	v_mov_b32_e32 v14, 2
	v_mov_b32_e32 v15, 1
	global_store_dwordx4 v[8:9], v[12:15], off offset:8
.LBB1_95:
	s_or_b64 exec, exec, s[16:17]
	s_lshl_b64 s[12:13], s[14:15], 12
	v_mov_b32_e32 v0, s13
	v_add_co_u32_e32 v12, vcc, s12, v6
	s_movk_i32 s12, 0xff1f
	v_addc_co_u32_e32 v11, vcc, v7, v0, vcc
	v_and_or_b32 v0, v3, s12, 32
	s_mov_b32 s12, 0
	v_lshlrev_b32_e32 v10, 6, v10
	v_mov_b32_e32 v3, v2
	v_readfirstlane_b32 s16, v12
	v_readfirstlane_b32 s17, v11
	s_mov_b32 s13, s12
	v_add_co_u32_e32 v6, vcc, v12, v10
	s_mov_b32 s14, s12
	s_mov_b32 s15, s12
	s_nop 0
	global_store_dwordx4 v10, v[0:3], s[16:17]
	v_addc_co_u32_e32 v7, vcc, 0, v11, vcc
	v_pk_mov_b32 v[0:1], s[12:13], s[12:13] op_sel:[0,1]
	v_pk_mov_b32 v[2:3], s[14:15], s[14:15] op_sel:[0,1]
	global_store_dwordx4 v10, v[0:3], s[16:17] offset:16
	global_store_dwordx4 v10, v[0:3], s[16:17] offset:32
	;; [unrolled: 1-line block ×3, first 2 shown]
	s_and_saveexec_b64 s[12:13], s[4:5]
	s_cbranch_execz .LBB1_103
; %bb.96:
	v_mov_b32_e32 v10, 0
	global_load_dwordx2 v[14:15], v10, s[8:9] offset:32 glc
	global_load_dwordx2 v[0:1], v10, s[8:9] offset:40
	v_mov_b32_e32 v12, s10
	v_mov_b32_e32 v13, s11
	s_waitcnt vmcnt(0)
	v_and_b32_e32 v0, s10, v0
	v_and_b32_e32 v1, s11, v1
	v_mul_lo_u32 v1, v1, 24
	v_mul_hi_u32 v2, v0, 24
	v_mul_lo_u32 v0, v0, 24
	v_add_u32_e32 v1, v2, v1
	v_add_co_u32_e32 v4, vcc, v4, v0
	v_addc_co_u32_e32 v5, vcc, v5, v1, vcc
	global_store_dwordx2 v[4:5], v[14:15], off
	buffer_wbl2
	s_waitcnt vmcnt(0)
	global_atomic_cmpswap_x2 v[2:3], v10, v[12:15], s[8:9] offset:32 glc
	s_waitcnt vmcnt(0)
	v_cmp_ne_u64_e32 vcc, v[2:3], v[14:15]
	s_and_saveexec_b64 s[14:15], vcc
	s_cbranch_execz .LBB1_99
; %bb.97:
	s_mov_b64 s[16:17], 0
.LBB1_98:                               ; =>This Inner Loop Header: Depth=1
	s_sleep 1
	global_store_dwordx2 v[4:5], v[2:3], off
	v_mov_b32_e32 v0, s10
	v_mov_b32_e32 v1, s11
	buffer_wbl2
	s_waitcnt vmcnt(0)
	global_atomic_cmpswap_x2 v[0:1], v10, v[0:3], s[8:9] offset:32 glc
	s_waitcnt vmcnt(0)
	v_cmp_eq_u64_e32 vcc, v[0:1], v[2:3]
	s_or_b64 s[16:17], vcc, s[16:17]
	v_pk_mov_b32 v[2:3], v[0:1], v[0:1] op_sel:[0,1]
	s_andn2_b64 exec, exec, s[16:17]
	s_cbranch_execnz .LBB1_98
.LBB1_99:
	s_or_b64 exec, exec, s[14:15]
	v_mov_b32_e32 v3, 0
	global_load_dwordx2 v[0:1], v3, s[8:9] offset:16
	s_mov_b64 s[14:15], exec
	v_mbcnt_lo_u32_b32 v2, s14, 0
	v_mbcnt_hi_u32_b32 v2, s15, v2
	v_cmp_eq_u32_e32 vcc, 0, v2
	s_and_saveexec_b64 s[16:17], vcc
	s_cbranch_execz .LBB1_101
; %bb.100:
	s_bcnt1_i32_b64 s14, s[14:15]
	v_mov_b32_e32 v2, s14
	buffer_wbl2
	s_waitcnt vmcnt(0)
	global_atomic_add_x2 v[0:1], v[2:3], off offset:8
.LBB1_101:
	s_or_b64 exec, exec, s[16:17]
	s_waitcnt vmcnt(0)
	global_load_dwordx2 v[2:3], v[0:1], off offset:16
	s_waitcnt vmcnt(0)
	v_cmp_eq_u64_e32 vcc, 0, v[2:3]
	s_cbranch_vccnz .LBB1_103
; %bb.102:
	global_load_dword v0, v[0:1], off offset:24
	v_mov_b32_e32 v1, 0
	buffer_wbl2
	s_waitcnt vmcnt(0)
	global_store_dwordx2 v[2:3], v[0:1], off
	v_and_b32_e32 v0, 0xffffff, v0
	v_readfirstlane_b32 m0, v0
	s_sendmsg sendmsg(MSG_INTERRUPT)
.LBB1_103:
	s_or_b64 exec, exec, s[12:13]
	s_branch .LBB1_107
.LBB1_104:                              ;   in Loop: Header=BB1_107 Depth=1
	s_or_b64 exec, exec, s[12:13]
	v_readfirstlane_b32 s12, v0
	s_cmp_eq_u32 s12, 0
	s_cbranch_scc1 .LBB1_106
; %bb.105:                              ;   in Loop: Header=BB1_107 Depth=1
	s_sleep 1
	s_cbranch_execnz .LBB1_107
	s_branch .LBB1_110
.LBB1_106:
	s_branch .LBB1_110
.LBB1_107:                              ; =>This Inner Loop Header: Depth=1
	v_mov_b32_e32 v0, 1
	s_and_saveexec_b64 s[12:13], s[4:5]
	s_cbranch_execz .LBB1_104
; %bb.108:                              ;   in Loop: Header=BB1_107 Depth=1
	global_load_dword v0, v[8:9], off offset:20 glc
	s_waitcnt vmcnt(0)
	buffer_invl2
	buffer_wbinvl1_vol
	v_and_b32_e32 v0, 1, v0
	s_branch .LBB1_104
.LBB1_109:
	s_or_b64 exec, exec, s[6:7]
	s_waitcnt vmcnt(0) lgkmcnt(0)
	s_setpc_b64 s[30:31]
.LBB1_110:
	global_load_dwordx2 v[0:1], v[6:7], off
	s_and_saveexec_b64 s[12:13], s[4:5]
	s_cbranch_execz .LBB1_113
; %bb.111:
	v_mov_b32_e32 v8, 0
	global_load_dwordx2 v[6:7], v8, s[8:9] offset:40
	global_load_dwordx2 v[10:11], v8, s[8:9] offset:24 glc
	global_load_dwordx2 v[12:13], v8, s[8:9]
	v_mov_b32_e32 v3, s11
	s_mov_b64 s[4:5], 0
	s_waitcnt vmcnt(2)
	v_add_co_u32_e32 v5, vcc, 1, v6
	v_addc_co_u32_e32 v9, vcc, 0, v7, vcc
	v_add_co_u32_e32 v2, vcc, s10, v5
	v_addc_co_u32_e32 v3, vcc, v9, v3, vcc
	v_cmp_eq_u64_e32 vcc, 0, v[2:3]
	v_cndmask_b32_e32 v3, v3, v9, vcc
	v_cndmask_b32_e32 v2, v2, v5, vcc
	v_and_b32_e32 v5, v3, v7
	v_and_b32_e32 v6, v2, v6
	v_mul_lo_u32 v5, v5, 24
	v_mul_hi_u32 v7, v6, 24
	v_mul_lo_u32 v6, v6, 24
	v_add_u32_e32 v5, v7, v5
	s_waitcnt vmcnt(0)
	v_add_co_u32_e32 v6, vcc, v12, v6
	v_addc_co_u32_e32 v7, vcc, v13, v5, vcc
	v_mov_b32_e32 v4, v10
	global_store_dwordx2 v[6:7], v[10:11], off
	v_mov_b32_e32 v5, v11
	buffer_wbl2
	s_waitcnt vmcnt(0)
	global_atomic_cmpswap_x2 v[4:5], v8, v[2:5], s[8:9] offset:24 glc
	s_waitcnt vmcnt(0)
	v_cmp_ne_u64_e32 vcc, v[4:5], v[10:11]
	s_and_b64 exec, exec, vcc
	s_cbranch_execz .LBB1_113
.LBB1_112:                              ; =>This Inner Loop Header: Depth=1
	s_sleep 1
	global_store_dwordx2 v[6:7], v[4:5], off
	buffer_wbl2
	s_waitcnt vmcnt(0)
	global_atomic_cmpswap_x2 v[10:11], v8, v[2:5], s[8:9] offset:24 glc
	s_waitcnt vmcnt(0)
	v_cmp_eq_u64_e32 vcc, v[10:11], v[4:5]
	s_or_b64 s[4:5], vcc, s[4:5]
	v_pk_mov_b32 v[4:5], v[10:11], v[10:11] op_sel:[0,1]
	s_andn2_b64 exec, exec, s[4:5]
	s_cbranch_execnz .LBB1_112
.LBB1_113:
	s_or_b64 exec, exec, s[12:13]
	s_or_b64 exec, exec, s[6:7]
	s_waitcnt vmcnt(0) lgkmcnt(0)
	s_setpc_b64 s[30:31]
.Lfunc_end1:
	.size	__ockl_printf_append_string_n, .Lfunc_end1-__ockl_printf_append_string_n
                                        ; -- End function
	.section	.AMDGPU.csdata,"",@progbits
; Function info:
; codeLenInByte = 4376
; NumSgprs: 36
; NumVgprs: 38
; NumAgprs: 0
; TotalNumVgprs: 38
; ScratchSize: 0
; MemoryBound: 0
	.text
	.p2align	2                               ; -- Begin function __ockl_printf_append_args
	.type	__ockl_printf_append_args,@function
__ockl_printf_append_args:              ; @__ockl_printf_append_args
; %bb.0:
	s_waitcnt vmcnt(0) expcnt(0) lgkmcnt(0)
	s_load_dwordx2 s[6:7], s[8:9], 0x50
	v_mbcnt_lo_u32_b32 v5, -1, 0
	v_mbcnt_hi_u32_b32 v5, -1, v5
	v_readfirstlane_b32 s4, v5
	v_cmp_eq_u32_e64 s[4:5], s4, v5
	v_pk_mov_b32 v[10:11], 0, 0
	s_and_saveexec_b64 s[8:9], s[4:5]
	s_cbranch_execz .LBB2_6
; %bb.1:
	v_mov_b32_e32 v6, 0
	s_waitcnt lgkmcnt(0)
	global_load_dwordx2 v[12:13], v6, s[6:7] offset:24 glc
	s_waitcnt vmcnt(0)
	buffer_invl2
	buffer_wbinvl1_vol
	global_load_dwordx2 v[8:9], v6, s[6:7] offset:40
	global_load_dwordx2 v[10:11], v6, s[6:7]
	s_waitcnt vmcnt(1)
	v_and_b32_e32 v7, v8, v12
	v_and_b32_e32 v8, v9, v13
	v_mul_lo_u32 v8, v8, 24
	v_mul_hi_u32 v9, v7, 24
	v_mul_lo_u32 v7, v7, 24
	v_add_u32_e32 v9, v9, v8
	s_waitcnt vmcnt(0)
	v_add_co_u32_e32 v8, vcc, v10, v7
	v_addc_co_u32_e32 v9, vcc, v11, v9, vcc
	global_load_dwordx2 v[10:11], v[8:9], off glc
	s_waitcnt vmcnt(0)
	global_atomic_cmpswap_x2 v[10:11], v6, v[10:13], s[6:7] offset:24 glc
	s_waitcnt vmcnt(0)
	buffer_invl2
	buffer_wbinvl1_vol
	v_cmp_ne_u64_e32 vcc, v[10:11], v[12:13]
	s_and_saveexec_b64 s[10:11], vcc
	s_cbranch_execz .LBB2_5
; %bb.2:
	s_mov_b64 s[12:13], 0
.LBB2_3:                                ; =>This Inner Loop Header: Depth=1
	s_sleep 1
	global_load_dwordx2 v[8:9], v6, s[6:7] offset:40
	global_load_dwordx2 v[14:15], v6, s[6:7]
	v_pk_mov_b32 v[12:13], v[10:11], v[10:11] op_sel:[0,1]
	s_waitcnt vmcnt(1)
	v_and_b32_e32 v8, v8, v12
	v_and_b32_e32 v7, v9, v13
	s_waitcnt vmcnt(0)
	v_mad_u64_u32 v[8:9], s[14:15], v8, 24, v[14:15]
	v_mov_b32_e32 v10, v9
	v_mad_u64_u32 v[10:11], s[14:15], v7, 24, v[10:11]
	v_mov_b32_e32 v9, v10
	global_load_dwordx2 v[10:11], v[8:9], off glc
	s_waitcnt vmcnt(0)
	global_atomic_cmpswap_x2 v[10:11], v6, v[10:13], s[6:7] offset:24 glc
	s_waitcnt vmcnt(0)
	buffer_invl2
	buffer_wbinvl1_vol
	v_cmp_eq_u64_e32 vcc, v[10:11], v[12:13]
	s_or_b64 s[12:13], vcc, s[12:13]
	s_andn2_b64 exec, exec, s[12:13]
	s_cbranch_execnz .LBB2_3
; %bb.4:
	s_or_b64 exec, exec, s[12:13]
.LBB2_5:
	s_or_b64 exec, exec, s[10:11]
.LBB2_6:
	s_or_b64 exec, exec, s[8:9]
	v_mov_b32_e32 v14, 0
	s_waitcnt lgkmcnt(0)
	global_load_dwordx2 v[12:13], v14, s[6:7] offset:40
	global_load_dwordx4 v[6:9], v14, s[6:7]
	v_readfirstlane_b32 s8, v10
	v_readfirstlane_b32 s9, v11
	s_mov_b64 s[10:11], exec
	s_waitcnt vmcnt(1)
	v_readfirstlane_b32 s12, v12
	v_readfirstlane_b32 s13, v13
	s_and_b64 s[12:13], s[8:9], s[12:13]
	s_mul_i32 s14, s13, 24
	s_mul_hi_u32 s15, s12, 24
	s_mul_i32 s16, s12, 24
	s_add_i32 s14, s15, s14
	v_mov_b32_e32 v11, s14
	s_waitcnt vmcnt(0)
	v_add_co_u32_e32 v10, vcc, s16, v6
	v_addc_co_u32_e32 v11, vcc, v7, v11, vcc
	s_and_saveexec_b64 s[14:15], s[4:5]
	s_cbranch_execz .LBB2_8
; %bb.7:
	v_pk_mov_b32 v[12:13], s[10:11], s[10:11] op_sel:[0,1]
	v_mov_b32_e32 v14, 2
	v_mov_b32_e32 v15, 1
	global_store_dwordx4 v[10:11], v[12:15], off offset:8
.LBB2_8:
	s_or_b64 exec, exec, s[14:15]
	s_lshl_b64 s[10:11], s[12:13], 12
	v_mov_b32_e32 v12, s11
	v_add_co_u32_e32 v8, vcc, s10, v8
	v_addc_co_u32_e32 v9, vcc, v9, v12, vcc
	v_or_b32_e32 v12, 2, v0
	v_cmp_eq_u32_e32 vcc, 0, v4
	s_mov_b32 s12, 0
	v_cndmask_b32_e32 v0, v12, v0, vcc
	s_movk_i32 s10, 0xff1f
	v_and_or_b32 v0, v0, s10, 32
	v_lshlrev_b32_e32 v4, 6, v5
	v_readfirstlane_b32 s10, v8
	v_readfirstlane_b32 s11, v9
	s_mov_b32 s13, s12
	s_mov_b32 s14, s12
	;; [unrolled: 1-line block ×3, first 2 shown]
	s_nop 1
	global_store_dwordx4 v4, v[0:3], s[10:11]
	s_nop 0
	v_pk_mov_b32 v[0:1], s[12:13], s[12:13] op_sel:[0,1]
	v_pk_mov_b32 v[2:3], s[14:15], s[14:15] op_sel:[0,1]
	global_store_dwordx4 v4, v[0:3], s[10:11] offset:16
	global_store_dwordx4 v4, v[0:3], s[10:11] offset:32
	;; [unrolled: 1-line block ×3, first 2 shown]
	s_and_saveexec_b64 s[10:11], s[4:5]
	s_cbranch_execz .LBB2_16
; %bb.9:
	v_mov_b32_e32 v8, 0
	global_load_dwordx2 v[14:15], v8, s[6:7] offset:32 glc
	global_load_dwordx2 v[0:1], v8, s[6:7] offset:40
	v_mov_b32_e32 v12, s8
	v_mov_b32_e32 v13, s9
	s_waitcnt vmcnt(0)
	v_and_b32_e32 v0, s8, v0
	v_and_b32_e32 v1, s9, v1
	v_mul_lo_u32 v1, v1, 24
	v_mul_hi_u32 v2, v0, 24
	v_mul_lo_u32 v0, v0, 24
	v_add_u32_e32 v1, v2, v1
	v_add_co_u32_e32 v4, vcc, v6, v0
	v_addc_co_u32_e32 v5, vcc, v7, v1, vcc
	global_store_dwordx2 v[4:5], v[14:15], off
	buffer_wbl2
	s_waitcnt vmcnt(0)
	global_atomic_cmpswap_x2 v[2:3], v8, v[12:15], s[6:7] offset:32 glc
	s_waitcnt vmcnt(0)
	v_cmp_ne_u64_e32 vcc, v[2:3], v[14:15]
	s_and_saveexec_b64 s[12:13], vcc
	s_cbranch_execz .LBB2_12
; %bb.10:
	s_mov_b64 s[14:15], 0
.LBB2_11:                               ; =>This Inner Loop Header: Depth=1
	s_sleep 1
	global_store_dwordx2 v[4:5], v[2:3], off
	v_mov_b32_e32 v0, s8
	v_mov_b32_e32 v1, s9
	buffer_wbl2
	s_waitcnt vmcnt(0)
	global_atomic_cmpswap_x2 v[0:1], v8, v[0:3], s[6:7] offset:32 glc
	s_waitcnt vmcnt(0)
	v_cmp_eq_u64_e32 vcc, v[0:1], v[2:3]
	s_or_b64 s[14:15], vcc, s[14:15]
	v_pk_mov_b32 v[2:3], v[0:1], v[0:1] op_sel:[0,1]
	s_andn2_b64 exec, exec, s[14:15]
	s_cbranch_execnz .LBB2_11
.LBB2_12:
	s_or_b64 exec, exec, s[12:13]
	v_mov_b32_e32 v3, 0
	global_load_dwordx2 v[0:1], v3, s[6:7] offset:16
	s_mov_b64 s[12:13], exec
	v_mbcnt_lo_u32_b32 v2, s12, 0
	v_mbcnt_hi_u32_b32 v2, s13, v2
	v_cmp_eq_u32_e32 vcc, 0, v2
	s_and_saveexec_b64 s[14:15], vcc
	s_cbranch_execz .LBB2_14
; %bb.13:
	s_bcnt1_i32_b64 s12, s[12:13]
	v_mov_b32_e32 v2, s12
	buffer_wbl2
	s_waitcnt vmcnt(0)
	global_atomic_add_x2 v[0:1], v[2:3], off offset:8
.LBB2_14:
	s_or_b64 exec, exec, s[14:15]
	s_waitcnt vmcnt(0)
	global_load_dwordx2 v[2:3], v[0:1], off offset:16
	s_waitcnt vmcnt(0)
	v_cmp_eq_u64_e32 vcc, 0, v[2:3]
	s_cbranch_vccnz .LBB2_16
; %bb.15:
	global_load_dword v0, v[0:1], off offset:24
	v_mov_b32_e32 v1, 0
	buffer_wbl2
	s_waitcnt vmcnt(0)
	global_store_dwordx2 v[2:3], v[0:1], off
	v_and_b32_e32 v0, 0xffffff, v0
	v_readfirstlane_b32 m0, v0
	s_sendmsg sendmsg(MSG_INTERRUPT)
.LBB2_16:
	s_or_b64 exec, exec, s[10:11]
	s_branch .LBB2_20
.LBB2_17:                               ;   in Loop: Header=BB2_20 Depth=1
	s_or_b64 exec, exec, s[10:11]
	v_readfirstlane_b32 s10, v0
	s_cmp_eq_u32 s10, 0
	s_cbranch_scc1 .LBB2_19
; %bb.18:                               ;   in Loop: Header=BB2_20 Depth=1
	s_sleep 1
	s_cbranch_execnz .LBB2_20
	s_branch .LBB2_22
.LBB2_19:
	s_branch .LBB2_22
.LBB2_20:                               ; =>This Inner Loop Header: Depth=1
	v_mov_b32_e32 v0, 1
	s_and_saveexec_b64 s[10:11], s[4:5]
	s_cbranch_execz .LBB2_17
; %bb.21:                               ;   in Loop: Header=BB2_20 Depth=1
	global_load_dword v0, v[10:11], off offset:20 glc
	s_waitcnt vmcnt(0)
	buffer_invl2
	buffer_wbinvl1_vol
	v_and_b32_e32 v0, 1, v0
	s_branch .LBB2_17
.LBB2_22:
	s_and_saveexec_b64 s[10:11], s[4:5]
	s_cbranch_execz .LBB2_25
; %bb.23:
	v_mov_b32_e32 v6, 0
	global_load_dwordx2 v[4:5], v6, s[6:7] offset:40
	global_load_dwordx2 v[8:9], v6, s[6:7] offset:24 glc
	global_load_dwordx2 v[10:11], v6, s[6:7]
	v_mov_b32_e32 v1, s9
	s_mov_b64 s[4:5], 0
	s_waitcnt vmcnt(2)
	v_add_co_u32_e32 v3, vcc, 1, v4
	v_addc_co_u32_e32 v7, vcc, 0, v5, vcc
	v_add_co_u32_e32 v0, vcc, s8, v3
	v_addc_co_u32_e32 v1, vcc, v7, v1, vcc
	v_cmp_eq_u64_e32 vcc, 0, v[0:1]
	v_cndmask_b32_e32 v1, v1, v7, vcc
	v_cndmask_b32_e32 v0, v0, v3, vcc
	v_and_b32_e32 v3, v1, v5
	v_and_b32_e32 v4, v0, v4
	v_mul_lo_u32 v3, v3, 24
	v_mul_hi_u32 v5, v4, 24
	v_mul_lo_u32 v4, v4, 24
	v_add_u32_e32 v3, v5, v3
	s_waitcnt vmcnt(0)
	v_add_co_u32_e32 v4, vcc, v10, v4
	v_addc_co_u32_e32 v5, vcc, v11, v3, vcc
	v_mov_b32_e32 v2, v8
	global_store_dwordx2 v[4:5], v[8:9], off
	v_mov_b32_e32 v3, v9
	buffer_wbl2
	s_waitcnt vmcnt(0)
	global_atomic_cmpswap_x2 v[2:3], v6, v[0:3], s[6:7] offset:24 glc
	s_waitcnt vmcnt(0)
	v_cmp_ne_u64_e32 vcc, v[2:3], v[8:9]
	s_and_b64 exec, exec, vcc
	s_cbranch_execz .LBB2_25
.LBB2_24:                               ; =>This Inner Loop Header: Depth=1
	s_sleep 1
	global_store_dwordx2 v[4:5], v[2:3], off
	buffer_wbl2
	s_waitcnt vmcnt(0)
	global_atomic_cmpswap_x2 v[8:9], v6, v[0:3], s[6:7] offset:24 glc
	s_waitcnt vmcnt(0)
	v_cmp_eq_u64_e32 vcc, v[8:9], v[2:3]
	s_or_b64 s[4:5], vcc, s[4:5]
	v_pk_mov_b32 v[2:3], v[8:9], v[8:9] op_sel:[0,1]
	s_andn2_b64 exec, exec, s[4:5]
	s_cbranch_execnz .LBB2_24
.LBB2_25:
	s_or_b64 exec, exec, s[10:11]
	s_waitcnt vmcnt(0) lgkmcnt(0)
	s_setpc_b64 s[30:31]
.Lfunc_end2:
	.size	__ockl_printf_append_args, .Lfunc_end2-__ockl_printf_append_args
                                        ; -- End function
	.section	.AMDGPU.csdata,"",@progbits
; Function info:
; codeLenInByte = 1284
; NumSgprs: 36
; NumVgprs: 16
; NumAgprs: 0
; TotalNumVgprs: 16
; ScratchSize: 0
; MemoryBound: 0
	.text
	.p2align	2                               ; -- Begin function _ZL14no_device_codePKciS0_iS0_
	.type	_ZL14no_device_codePKciS0_iS0_,@function
_ZL14no_device_codePKciS0_iS0_:         ; @_ZL14no_device_codePKciS0_iS0_
; %bb.0:
	s_waitcnt vmcnt(0) expcnt(0) lgkmcnt(0)
	s_mov_b32 s25, s33
	s_mov_b32 s33, s32
	s_xor_saveexec_b64 s[4:5], -1
	buffer_store_dword v38, off, s[0:3], s33 ; 4-byte Folded Spill
	s_mov_b64 exec, s[4:5]
	v_writelane_b32 v38, s30, 0
	s_addk_i32 s32, 0x400
	v_writelane_b32 v38, s31, 1
	s_load_dwordx2 s[6:7], s[8:9], 0x50
	v_mbcnt_lo_u32_b32 v0, -1, 0
	v_mbcnt_hi_u32_b32 v35, -1, v0
	v_readfirstlane_b32 s4, v35
	s_mov_b64 s[26:27], s[8:9]
	v_cmp_eq_u32_e64 s[4:5], s4, v35
	v_pk_mov_b32 v[6:7], 0, 0
	s_and_saveexec_b64 s[10:11], s[4:5]
	s_cbranch_execz .LBB3_6
; %bb.1:
	v_mov_b32_e32 v0, 0
	s_waitcnt lgkmcnt(0)
	global_load_dwordx2 v[4:5], v0, s[6:7] offset:24 glc
	s_waitcnt vmcnt(0)
	buffer_invl2
	buffer_wbinvl1_vol
	global_load_dwordx2 v[2:3], v0, s[6:7] offset:40
	global_load_dwordx2 v[6:7], v0, s[6:7]
	s_waitcnt vmcnt(1)
	v_and_b32_e32 v1, v2, v4
	v_and_b32_e32 v2, v3, v5
	v_mul_lo_u32 v2, v2, 24
	v_mul_hi_u32 v3, v1, 24
	v_mul_lo_u32 v1, v1, 24
	v_add_u32_e32 v3, v3, v2
	s_waitcnt vmcnt(0)
	v_add_co_u32_e32 v2, vcc, v6, v1
	v_addc_co_u32_e32 v3, vcc, v7, v3, vcc
	global_load_dwordx2 v[2:3], v[2:3], off glc
	s_waitcnt vmcnt(0)
	global_atomic_cmpswap_x2 v[6:7], v0, v[2:5], s[6:7] offset:24 glc
	s_waitcnt vmcnt(0)
	buffer_invl2
	buffer_wbinvl1_vol
	v_cmp_ne_u64_e32 vcc, v[6:7], v[4:5]
	s_and_saveexec_b64 s[12:13], vcc
	s_cbranch_execz .LBB3_5
; %bb.2:
	s_mov_b64 s[14:15], 0
.LBB3_3:                                ; =>This Inner Loop Header: Depth=1
	s_sleep 1
	global_load_dwordx2 v[2:3], v0, s[6:7] offset:40
	global_load_dwordx2 v[8:9], v0, s[6:7]
	v_pk_mov_b32 v[4:5], v[6:7], v[6:7] op_sel:[0,1]
	s_waitcnt vmcnt(1)
	v_and_b32_e32 v2, v2, v4
	v_and_b32_e32 v1, v3, v5
	s_waitcnt vmcnt(0)
	v_mad_u64_u32 v[2:3], s[16:17], v2, 24, v[8:9]
	v_mov_b32_e32 v6, v3
	v_mad_u64_u32 v[6:7], s[16:17], v1, 24, v[6:7]
	v_mov_b32_e32 v3, v6
	global_load_dwordx2 v[2:3], v[2:3], off glc
	s_waitcnt vmcnt(0)
	global_atomic_cmpswap_x2 v[6:7], v0, v[2:5], s[6:7] offset:24 glc
	s_waitcnt vmcnt(0)
	buffer_invl2
	buffer_wbinvl1_vol
	v_cmp_eq_u64_e32 vcc, v[6:7], v[4:5]
	s_or_b64 s[14:15], vcc, s[14:15]
	s_andn2_b64 exec, exec, s[14:15]
	s_cbranch_execnz .LBB3_3
; %bb.4:
	s_or_b64 exec, exec, s[14:15]
.LBB3_5:
	s_or_b64 exec, exec, s[12:13]
.LBB3_6:
	s_or_b64 exec, exec, s[10:11]
	v_mov_b32_e32 v5, 0
	s_waitcnt lgkmcnt(0)
	global_load_dwordx2 v[8:9], v5, s[6:7] offset:40
	global_load_dwordx4 v[0:3], v5, s[6:7]
	v_readfirstlane_b32 s10, v6
	v_readfirstlane_b32 s11, v7
	s_mov_b64 s[12:13], exec
	s_waitcnt vmcnt(1)
	v_readfirstlane_b32 s14, v8
	v_readfirstlane_b32 s15, v9
	s_and_b64 s[14:15], s[10:11], s[14:15]
	s_mul_i32 s16, s15, 24
	s_mul_hi_u32 s17, s14, 24
	s_mul_i32 s18, s14, 24
	s_add_i32 s16, s17, s16
	v_mov_b32_e32 v4, s16
	s_waitcnt vmcnt(0)
	v_add_co_u32_e32 v8, vcc, s18, v0
	v_addc_co_u32_e32 v9, vcc, v1, v4, vcc
	s_and_saveexec_b64 s[16:17], s[4:5]
	s_cbranch_execz .LBB3_8
; %bb.7:
	v_pk_mov_b32 v[10:11], s[12:13], s[12:13] op_sel:[0,1]
	v_mov_b32_e32 v12, 2
	v_mov_b32_e32 v13, 1
	global_store_dwordx4 v[8:9], v[10:13], off offset:8
.LBB3_8:
	s_or_b64 exec, exec, s[16:17]
	s_lshl_b64 s[12:13], s[14:15], 12
	v_mov_b32_e32 v4, s13
	v_add_co_u32_e32 v2, vcc, s12, v2
	v_addc_co_u32_e32 v3, vcc, v3, v4, vcc
	s_mov_b32 s12, 0
	v_lshlrev_b32_e32 v34, 6, v35
	v_add_co_u32_e32 v10, vcc, v2, v34
	v_mov_b32_e32 v4, 33
	v_mov_b32_e32 v6, v5
	;; [unrolled: 1-line block ×3, first 2 shown]
	v_readfirstlane_b32 s16, v2
	v_readfirstlane_b32 s17, v3
	s_mov_b32 s13, s12
	v_addc_co_u32_e32 v11, vcc, 0, v3, vcc
	s_mov_b32 s14, s12
	s_mov_b32 s15, s12
	s_nop 0
	global_store_dwordx4 v34, v[4:7], s[16:17]
	v_pk_mov_b32 v[2:3], s[12:13], s[12:13] op_sel:[0,1]
	v_pk_mov_b32 v[4:5], s[14:15], s[14:15] op_sel:[0,1]
	global_store_dwordx4 v34, v[2:5], s[16:17] offset:16
	global_store_dwordx4 v34, v[2:5], s[16:17] offset:32
	;; [unrolled: 1-line block ×3, first 2 shown]
	s_and_saveexec_b64 s[12:13], s[4:5]
	s_cbranch_execz .LBB3_16
; %bb.9:
	v_mov_b32_e32 v6, 0
	global_load_dwordx2 v[14:15], v6, s[6:7] offset:32 glc
	global_load_dwordx2 v[2:3], v6, s[6:7] offset:40
	v_mov_b32_e32 v12, s10
	v_mov_b32_e32 v13, s11
	s_waitcnt vmcnt(0)
	v_and_b32_e32 v2, s10, v2
	v_and_b32_e32 v3, s11, v3
	v_mul_lo_u32 v3, v3, 24
	v_mul_hi_u32 v4, v2, 24
	v_mul_lo_u32 v2, v2, 24
	v_add_u32_e32 v3, v4, v3
	v_add_co_u32_e32 v4, vcc, v0, v2
	v_addc_co_u32_e32 v5, vcc, v1, v3, vcc
	global_store_dwordx2 v[4:5], v[14:15], off
	buffer_wbl2
	s_waitcnt vmcnt(0)
	global_atomic_cmpswap_x2 v[2:3], v6, v[12:15], s[6:7] offset:32 glc
	s_waitcnt vmcnt(0)
	v_cmp_ne_u64_e32 vcc, v[2:3], v[14:15]
	s_and_saveexec_b64 s[14:15], vcc
	s_cbranch_execz .LBB3_12
; %bb.10:
	s_mov_b64 s[16:17], 0
.LBB3_11:                               ; =>This Inner Loop Header: Depth=1
	s_sleep 1
	global_store_dwordx2 v[4:5], v[2:3], off
	v_mov_b32_e32 v0, s10
	v_mov_b32_e32 v1, s11
	buffer_wbl2
	s_waitcnt vmcnt(0)
	global_atomic_cmpswap_x2 v[0:1], v6, v[0:3], s[6:7] offset:32 glc
	s_waitcnt vmcnt(0)
	v_cmp_eq_u64_e32 vcc, v[0:1], v[2:3]
	s_or_b64 s[16:17], vcc, s[16:17]
	v_pk_mov_b32 v[2:3], v[0:1], v[0:1] op_sel:[0,1]
	s_andn2_b64 exec, exec, s[16:17]
	s_cbranch_execnz .LBB3_11
.LBB3_12:
	s_or_b64 exec, exec, s[14:15]
	v_mov_b32_e32 v3, 0
	global_load_dwordx2 v[0:1], v3, s[6:7] offset:16
	s_mov_b64 s[14:15], exec
	v_mbcnt_lo_u32_b32 v2, s14, 0
	v_mbcnt_hi_u32_b32 v2, s15, v2
	v_cmp_eq_u32_e32 vcc, 0, v2
	s_and_saveexec_b64 s[16:17], vcc
	s_cbranch_execz .LBB3_14
; %bb.13:
	s_bcnt1_i32_b64 s14, s[14:15]
	v_mov_b32_e32 v2, s14
	buffer_wbl2
	s_waitcnt vmcnt(0)
	global_atomic_add_x2 v[0:1], v[2:3], off offset:8
.LBB3_14:
	s_or_b64 exec, exec, s[16:17]
	s_waitcnt vmcnt(0)
	global_load_dwordx2 v[2:3], v[0:1], off offset:16
	s_waitcnt vmcnt(0)
	v_cmp_eq_u64_e32 vcc, 0, v[2:3]
	s_cbranch_vccnz .LBB3_16
; %bb.15:
	global_load_dword v0, v[0:1], off offset:24
	v_mov_b32_e32 v1, 0
	buffer_wbl2
	s_waitcnt vmcnt(0)
	global_store_dwordx2 v[2:3], v[0:1], off
	v_and_b32_e32 v0, 0xffffff, v0
	v_readfirstlane_b32 m0, v0
	s_sendmsg sendmsg(MSG_INTERRUPT)
.LBB3_16:
	s_or_b64 exec, exec, s[12:13]
	s_branch .LBB3_20
.LBB3_17:                               ;   in Loop: Header=BB3_20 Depth=1
	s_or_b64 exec, exec, s[12:13]
	v_readfirstlane_b32 s12, v0
	s_cmp_eq_u32 s12, 0
	s_cbranch_scc1 .LBB3_19
; %bb.18:                               ;   in Loop: Header=BB3_20 Depth=1
	s_sleep 1
	s_cbranch_execnz .LBB3_20
	s_branch .LBB3_22
.LBB3_19:
	s_branch .LBB3_22
.LBB3_20:                               ; =>This Inner Loop Header: Depth=1
	v_mov_b32_e32 v0, 1
	s_and_saveexec_b64 s[12:13], s[4:5]
	s_cbranch_execz .LBB3_17
; %bb.21:                               ;   in Loop: Header=BB3_20 Depth=1
	global_load_dword v0, v[8:9], off offset:20 glc
	s_waitcnt vmcnt(0)
	buffer_invl2
	buffer_wbinvl1_vol
	v_and_b32_e32 v0, 1, v0
	s_branch .LBB3_17
.LBB3_22:
	global_load_dwordx2 v[4:5], v[10:11], off
	s_and_saveexec_b64 s[12:13], s[4:5]
	s_cbranch_execz .LBB3_25
; %bb.23:
	v_mov_b32_e32 v8, 0
	global_load_dwordx2 v[6:7], v8, s[6:7] offset:40
	global_load_dwordx2 v[10:11], v8, s[6:7] offset:24 glc
	global_load_dwordx2 v[12:13], v8, s[6:7]
	v_mov_b32_e32 v1, s11
	s_mov_b64 s[4:5], 0
	s_waitcnt vmcnt(2)
	v_add_co_u32_e32 v3, vcc, 1, v6
	v_addc_co_u32_e32 v9, vcc, 0, v7, vcc
	v_add_co_u32_e32 v0, vcc, s10, v3
	v_addc_co_u32_e32 v1, vcc, v9, v1, vcc
	v_cmp_eq_u64_e32 vcc, 0, v[0:1]
	v_cndmask_b32_e32 v1, v1, v9, vcc
	v_cndmask_b32_e32 v0, v0, v3, vcc
	v_and_b32_e32 v3, v1, v7
	v_and_b32_e32 v6, v0, v6
	v_mul_lo_u32 v3, v3, 24
	v_mul_hi_u32 v7, v6, 24
	v_mul_lo_u32 v6, v6, 24
	v_add_u32_e32 v3, v7, v3
	s_waitcnt vmcnt(0)
	v_add_co_u32_e32 v6, vcc, v12, v6
	v_addc_co_u32_e32 v7, vcc, v13, v3, vcc
	v_mov_b32_e32 v2, v10
	global_store_dwordx2 v[6:7], v[10:11], off
	v_mov_b32_e32 v3, v11
	buffer_wbl2
	s_waitcnt vmcnt(0)
	global_atomic_cmpswap_x2 v[2:3], v8, v[0:3], s[6:7] offset:24 glc
	s_waitcnt vmcnt(0)
	v_cmp_ne_u64_e32 vcc, v[2:3], v[10:11]
	s_and_b64 exec, exec, vcc
	s_cbranch_execz .LBB3_25
.LBB3_24:                               ; =>This Inner Loop Header: Depth=1
	s_sleep 1
	global_store_dwordx2 v[6:7], v[2:3], off
	buffer_wbl2
	s_waitcnt vmcnt(0)
	global_atomic_cmpswap_x2 v[10:11], v8, v[0:3], s[6:7] offset:24 glc
	s_waitcnt vmcnt(0)
	v_cmp_eq_u64_e32 vcc, v[10:11], v[2:3]
	s_or_b64 s[4:5], vcc, s[4:5]
	v_pk_mov_b32 v[2:3], v[10:11], v[10:11] op_sel:[0,1]
	s_andn2_b64 exec, exec, s[4:5]
	s_cbranch_execnz .LBB3_24
.LBB3_25:
	s_or_b64 exec, exec, s[12:13]
	s_getpc_b64 s[10:11]
	s_add_u32 s10, s10, .str.3@rel32@lo+4
	s_addc_u32 s11, s11, .str.3@rel32@hi+12
	s_cmp_lg_u64 s[10:11], 0
	s_cbranch_scc0 .LBB3_109
; %bb.26:
	s_waitcnt vmcnt(0)
	v_and_b32_e32 v26, 2, v4
	v_mov_b32_e32 v29, 0
	v_and_b32_e32 v0, -3, v4
	v_mov_b32_e32 v1, v5
	s_mov_b64 s[12:13], 0x4d
	v_mov_b32_e32 v8, 2
	v_mov_b32_e32 v9, 1
	s_branch .LBB3_28
.LBB3_27:                               ;   in Loop: Header=BB3_28 Depth=1
	s_or_b64 exec, exec, s[18:19]
	s_sub_u32 s12, s12, s14
	s_subb_u32 s13, s13, s15
	s_add_u32 s10, s10, s14
	s_addc_u32 s11, s11, s15
	s_cmp_lg_u64 s[12:13], 0
	s_cbranch_scc0 .LBB3_110
.LBB3_28:                               ; =>This Loop Header: Depth=1
                                        ;     Child Loop BB3_31 Depth 2
                                        ;     Child Loop BB3_38 Depth 2
	;; [unrolled: 1-line block ×11, first 2 shown]
	v_cmp_lt_u64_e64 s[4:5], s[12:13], 56
	s_and_b64 s[4:5], s[4:5], exec
	v_cmp_gt_u64_e64 s[4:5], s[12:13], 7
	s_cselect_b32 s15, s13, 0
	s_cselect_b32 s14, s12, 56
	s_and_b64 vcc, exec, s[4:5]
	s_cbranch_vccnz .LBB3_33
; %bb.29:                               ;   in Loop: Header=BB3_28 Depth=1
	s_mov_b64 s[4:5], 0
	s_cmp_eq_u64 s[12:13], 0
	s_waitcnt vmcnt(0)
	v_pk_mov_b32 v[2:3], 0, 0
	s_cbranch_scc1 .LBB3_32
; %bb.30:                               ;   in Loop: Header=BB3_28 Depth=1
	s_lshl_b64 s[16:17], s[14:15], 3
	s_mov_b64 s[18:19], 0
	v_pk_mov_b32 v[2:3], 0, 0
	s_mov_b64 s[20:21], s[10:11]
.LBB3_31:                               ;   Parent Loop BB3_28 Depth=1
                                        ; =>  This Inner Loop Header: Depth=2
	global_load_ubyte v6, v29, s[20:21]
	s_waitcnt vmcnt(0)
	v_and_b32_e32 v28, 0xffff, v6
	v_lshlrev_b64 v[6:7], s18, v[28:29]
	s_add_u32 s18, s18, 8
	s_addc_u32 s19, s19, 0
	s_add_u32 s20, s20, 1
	s_addc_u32 s21, s21, 0
	v_or_b32_e32 v2, v6, v2
	s_cmp_lg_u32 s16, s18
	v_or_b32_e32 v3, v7, v3
	s_cbranch_scc1 .LBB3_31
.LBB3_32:                               ;   in Loop: Header=BB3_28 Depth=1
	s_mov_b32 s20, 0
	s_andn2_b64 vcc, exec, s[4:5]
	s_mov_b64 s[4:5], s[10:11]
	s_cbranch_vccz .LBB3_34
	s_branch .LBB3_35
.LBB3_33:                               ;   in Loop: Header=BB3_28 Depth=1
                                        ; implicit-def: $vgpr2_vgpr3
                                        ; implicit-def: $sgpr20
	s_mov_b64 s[4:5], s[10:11]
.LBB3_34:                               ;   in Loop: Header=BB3_28 Depth=1
	global_load_dwordx2 v[2:3], v29, s[10:11]
	s_add_i32 s20, s14, -8
	s_add_u32 s4, s10, 8
	s_addc_u32 s5, s11, 0
.LBB3_35:                               ;   in Loop: Header=BB3_28 Depth=1
	s_cmp_gt_u32 s20, 7
	s_cbranch_scc1 .LBB3_39
; %bb.36:                               ;   in Loop: Header=BB3_28 Depth=1
	s_cmp_eq_u32 s20, 0
	s_cbranch_scc1 .LBB3_40
; %bb.37:                               ;   in Loop: Header=BB3_28 Depth=1
	s_mov_b64 s[16:17], 0
	v_pk_mov_b32 v[10:11], 0, 0
	s_mov_b64 s[18:19], 0
.LBB3_38:                               ;   Parent Loop BB3_28 Depth=1
                                        ; =>  This Inner Loop Header: Depth=2
	s_add_u32 s22, s4, s18
	s_addc_u32 s23, s5, s19
	global_load_ubyte v6, v29, s[22:23]
	s_add_u32 s18, s18, 1
	s_addc_u32 s19, s19, 0
	s_waitcnt vmcnt(0)
	v_and_b32_e32 v28, 0xffff, v6
	v_lshlrev_b64 v[6:7], s16, v[28:29]
	s_add_u32 s16, s16, 8
	s_addc_u32 s17, s17, 0
	v_or_b32_e32 v10, v6, v10
	s_cmp_lg_u32 s20, s18
	v_or_b32_e32 v11, v7, v11
	s_cbranch_scc1 .LBB3_38
	s_branch .LBB3_41
.LBB3_39:                               ;   in Loop: Header=BB3_28 Depth=1
                                        ; implicit-def: $vgpr10_vgpr11
                                        ; implicit-def: $sgpr21
	s_branch .LBB3_42
.LBB3_40:                               ;   in Loop: Header=BB3_28 Depth=1
	v_pk_mov_b32 v[10:11], 0, 0
.LBB3_41:                               ;   in Loop: Header=BB3_28 Depth=1
	s_mov_b32 s21, 0
	s_cbranch_execnz .LBB3_43
.LBB3_42:                               ;   in Loop: Header=BB3_28 Depth=1
	global_load_dwordx2 v[10:11], v29, s[4:5]
	s_add_i32 s21, s20, -8
	s_add_u32 s4, s4, 8
	s_addc_u32 s5, s5, 0
.LBB3_43:                               ;   in Loop: Header=BB3_28 Depth=1
	s_cmp_gt_u32 s21, 7
	s_cbranch_scc1 .LBB3_47
; %bb.44:                               ;   in Loop: Header=BB3_28 Depth=1
	s_cmp_eq_u32 s21, 0
	s_cbranch_scc1 .LBB3_48
; %bb.45:                               ;   in Loop: Header=BB3_28 Depth=1
	s_mov_b64 s[16:17], 0
	v_pk_mov_b32 v[12:13], 0, 0
	s_mov_b64 s[18:19], 0
.LBB3_46:                               ;   Parent Loop BB3_28 Depth=1
                                        ; =>  This Inner Loop Header: Depth=2
	s_add_u32 s22, s4, s18
	s_addc_u32 s23, s5, s19
	global_load_ubyte v6, v29, s[22:23]
	s_add_u32 s18, s18, 1
	s_addc_u32 s19, s19, 0
	s_waitcnt vmcnt(0)
	v_and_b32_e32 v28, 0xffff, v6
	v_lshlrev_b64 v[6:7], s16, v[28:29]
	s_add_u32 s16, s16, 8
	s_addc_u32 s17, s17, 0
	v_or_b32_e32 v12, v6, v12
	s_cmp_lg_u32 s21, s18
	v_or_b32_e32 v13, v7, v13
	s_cbranch_scc1 .LBB3_46
	s_branch .LBB3_49
.LBB3_47:                               ;   in Loop: Header=BB3_28 Depth=1
                                        ; implicit-def: $sgpr20
	s_branch .LBB3_50
.LBB3_48:                               ;   in Loop: Header=BB3_28 Depth=1
	v_pk_mov_b32 v[12:13], 0, 0
.LBB3_49:                               ;   in Loop: Header=BB3_28 Depth=1
	s_mov_b32 s20, 0
	s_cbranch_execnz .LBB3_51
.LBB3_50:                               ;   in Loop: Header=BB3_28 Depth=1
	global_load_dwordx2 v[12:13], v29, s[4:5]
	s_add_i32 s20, s21, -8
	s_add_u32 s4, s4, 8
	s_addc_u32 s5, s5, 0
.LBB3_51:                               ;   in Loop: Header=BB3_28 Depth=1
	s_cmp_gt_u32 s20, 7
	s_cbranch_scc1 .LBB3_55
; %bb.52:                               ;   in Loop: Header=BB3_28 Depth=1
	s_cmp_eq_u32 s20, 0
	s_cbranch_scc1 .LBB3_56
; %bb.53:                               ;   in Loop: Header=BB3_28 Depth=1
	s_mov_b64 s[16:17], 0
	v_pk_mov_b32 v[14:15], 0, 0
	s_mov_b64 s[18:19], 0
.LBB3_54:                               ;   Parent Loop BB3_28 Depth=1
                                        ; =>  This Inner Loop Header: Depth=2
	s_add_u32 s22, s4, s18
	s_addc_u32 s23, s5, s19
	global_load_ubyte v6, v29, s[22:23]
	s_add_u32 s18, s18, 1
	s_addc_u32 s19, s19, 0
	s_waitcnt vmcnt(0)
	v_and_b32_e32 v28, 0xffff, v6
	v_lshlrev_b64 v[6:7], s16, v[28:29]
	s_add_u32 s16, s16, 8
	s_addc_u32 s17, s17, 0
	v_or_b32_e32 v14, v6, v14
	s_cmp_lg_u32 s20, s18
	v_or_b32_e32 v15, v7, v15
	s_cbranch_scc1 .LBB3_54
	s_branch .LBB3_57
.LBB3_55:                               ;   in Loop: Header=BB3_28 Depth=1
                                        ; implicit-def: $vgpr14_vgpr15
                                        ; implicit-def: $sgpr21
	s_branch .LBB3_58
.LBB3_56:                               ;   in Loop: Header=BB3_28 Depth=1
	v_pk_mov_b32 v[14:15], 0, 0
.LBB3_57:                               ;   in Loop: Header=BB3_28 Depth=1
	s_mov_b32 s21, 0
	s_cbranch_execnz .LBB3_59
.LBB3_58:                               ;   in Loop: Header=BB3_28 Depth=1
	global_load_dwordx2 v[14:15], v29, s[4:5]
	s_add_i32 s21, s20, -8
	s_add_u32 s4, s4, 8
	s_addc_u32 s5, s5, 0
.LBB3_59:                               ;   in Loop: Header=BB3_28 Depth=1
	s_cmp_gt_u32 s21, 7
	s_cbranch_scc1 .LBB3_63
; %bb.60:                               ;   in Loop: Header=BB3_28 Depth=1
	s_cmp_eq_u32 s21, 0
	s_cbranch_scc1 .LBB3_64
; %bb.61:                               ;   in Loop: Header=BB3_28 Depth=1
	s_mov_b64 s[16:17], 0
	v_pk_mov_b32 v[16:17], 0, 0
	s_mov_b64 s[18:19], 0
.LBB3_62:                               ;   Parent Loop BB3_28 Depth=1
                                        ; =>  This Inner Loop Header: Depth=2
	s_add_u32 s22, s4, s18
	s_addc_u32 s23, s5, s19
	global_load_ubyte v6, v29, s[22:23]
	s_add_u32 s18, s18, 1
	s_addc_u32 s19, s19, 0
	s_waitcnt vmcnt(0)
	v_and_b32_e32 v28, 0xffff, v6
	v_lshlrev_b64 v[6:7], s16, v[28:29]
	s_add_u32 s16, s16, 8
	s_addc_u32 s17, s17, 0
	v_or_b32_e32 v16, v6, v16
	s_cmp_lg_u32 s21, s18
	v_or_b32_e32 v17, v7, v17
	s_cbranch_scc1 .LBB3_62
	s_branch .LBB3_65
.LBB3_63:                               ;   in Loop: Header=BB3_28 Depth=1
                                        ; implicit-def: $sgpr20
	s_branch .LBB3_66
.LBB3_64:                               ;   in Loop: Header=BB3_28 Depth=1
	v_pk_mov_b32 v[16:17], 0, 0
.LBB3_65:                               ;   in Loop: Header=BB3_28 Depth=1
	s_mov_b32 s20, 0
	s_cbranch_execnz .LBB3_67
.LBB3_66:                               ;   in Loop: Header=BB3_28 Depth=1
	global_load_dwordx2 v[16:17], v29, s[4:5]
	s_add_i32 s20, s21, -8
	s_add_u32 s4, s4, 8
	s_addc_u32 s5, s5, 0
.LBB3_67:                               ;   in Loop: Header=BB3_28 Depth=1
	s_cmp_gt_u32 s20, 7
	s_cbranch_scc1 .LBB3_71
; %bb.68:                               ;   in Loop: Header=BB3_28 Depth=1
	s_cmp_eq_u32 s20, 0
	s_cbranch_scc1 .LBB3_72
; %bb.69:                               ;   in Loop: Header=BB3_28 Depth=1
	s_mov_b64 s[16:17], 0
	v_pk_mov_b32 v[18:19], 0, 0
	s_mov_b64 s[18:19], 0
.LBB3_70:                               ;   Parent Loop BB3_28 Depth=1
                                        ; =>  This Inner Loop Header: Depth=2
	s_add_u32 s22, s4, s18
	s_addc_u32 s23, s5, s19
	global_load_ubyte v6, v29, s[22:23]
	s_add_u32 s18, s18, 1
	s_addc_u32 s19, s19, 0
	s_waitcnt vmcnt(0)
	v_and_b32_e32 v28, 0xffff, v6
	v_lshlrev_b64 v[6:7], s16, v[28:29]
	s_add_u32 s16, s16, 8
	s_addc_u32 s17, s17, 0
	v_or_b32_e32 v18, v6, v18
	s_cmp_lg_u32 s20, s18
	v_or_b32_e32 v19, v7, v19
	s_cbranch_scc1 .LBB3_70
	s_branch .LBB3_73
.LBB3_71:                               ;   in Loop: Header=BB3_28 Depth=1
                                        ; implicit-def: $vgpr18_vgpr19
                                        ; implicit-def: $sgpr21
	s_branch .LBB3_74
.LBB3_72:                               ;   in Loop: Header=BB3_28 Depth=1
	v_pk_mov_b32 v[18:19], 0, 0
.LBB3_73:                               ;   in Loop: Header=BB3_28 Depth=1
	s_mov_b32 s21, 0
	s_cbranch_execnz .LBB3_75
.LBB3_74:                               ;   in Loop: Header=BB3_28 Depth=1
	global_load_dwordx2 v[18:19], v29, s[4:5]
	s_add_i32 s21, s20, -8
	s_add_u32 s4, s4, 8
	s_addc_u32 s5, s5, 0
.LBB3_75:                               ;   in Loop: Header=BB3_28 Depth=1
	s_cmp_gt_u32 s21, 7
	s_cbranch_scc1 .LBB3_79
; %bb.76:                               ;   in Loop: Header=BB3_28 Depth=1
	s_cmp_eq_u32 s21, 0
	s_cbranch_scc1 .LBB3_80
; %bb.77:                               ;   in Loop: Header=BB3_28 Depth=1
	s_mov_b64 s[16:17], 0
	v_pk_mov_b32 v[20:21], 0, 0
	s_mov_b64 s[18:19], s[4:5]
.LBB3_78:                               ;   Parent Loop BB3_28 Depth=1
                                        ; =>  This Inner Loop Header: Depth=2
	global_load_ubyte v6, v29, s[18:19]
	s_add_i32 s21, s21, -1
	s_waitcnt vmcnt(0)
	v_and_b32_e32 v28, 0xffff, v6
	v_lshlrev_b64 v[6:7], s16, v[28:29]
	s_add_u32 s16, s16, 8
	s_addc_u32 s17, s17, 0
	s_add_u32 s18, s18, 1
	s_addc_u32 s19, s19, 0
	v_or_b32_e32 v20, v6, v20
	s_cmp_lg_u32 s21, 0
	v_or_b32_e32 v21, v7, v21
	s_cbranch_scc1 .LBB3_78
	s_branch .LBB3_81
.LBB3_79:                               ;   in Loop: Header=BB3_28 Depth=1
	s_branch .LBB3_82
.LBB3_80:                               ;   in Loop: Header=BB3_28 Depth=1
	v_pk_mov_b32 v[20:21], 0, 0
.LBB3_81:                               ;   in Loop: Header=BB3_28 Depth=1
	s_cbranch_execnz .LBB3_83
.LBB3_82:                               ;   in Loop: Header=BB3_28 Depth=1
	global_load_dwordx2 v[20:21], v29, s[4:5]
.LBB3_83:                               ;   in Loop: Header=BB3_28 Depth=1
	v_readfirstlane_b32 s4, v35
	v_cmp_eq_u32_e64 s[4:5], s4, v35
	v_pk_mov_b32 v[6:7], 0, 0
	s_and_saveexec_b64 s[16:17], s[4:5]
	s_cbranch_execz .LBB3_89
; %bb.84:                               ;   in Loop: Header=BB3_28 Depth=1
	global_load_dwordx2 v[24:25], v29, s[6:7] offset:24 glc
	s_waitcnt vmcnt(0)
	buffer_invl2
	buffer_wbinvl1_vol
	global_load_dwordx2 v[6:7], v29, s[6:7] offset:40
	global_load_dwordx2 v[22:23], v29, s[6:7]
	s_waitcnt vmcnt(1)
	v_and_b32_e32 v6, v6, v24
	v_and_b32_e32 v7, v7, v25
	v_mul_lo_u32 v7, v7, 24
	v_mul_hi_u32 v27, v6, 24
	v_mul_lo_u32 v6, v6, 24
	v_add_u32_e32 v7, v27, v7
	s_waitcnt vmcnt(0)
	v_add_co_u32_e32 v6, vcc, v22, v6
	v_addc_co_u32_e32 v7, vcc, v23, v7, vcc
	global_load_dwordx2 v[22:23], v[6:7], off glc
	s_waitcnt vmcnt(0)
	global_atomic_cmpswap_x2 v[6:7], v29, v[22:25], s[6:7] offset:24 glc
	s_waitcnt vmcnt(0)
	buffer_invl2
	buffer_wbinvl1_vol
	v_cmp_ne_u64_e32 vcc, v[6:7], v[24:25]
	s_and_saveexec_b64 s[18:19], vcc
	s_cbranch_execz .LBB3_88
; %bb.85:                               ;   in Loop: Header=BB3_28 Depth=1
	s_mov_b64 s[20:21], 0
.LBB3_86:                               ;   Parent Loop BB3_28 Depth=1
                                        ; =>  This Inner Loop Header: Depth=2
	s_sleep 1
	global_load_dwordx2 v[22:23], v29, s[6:7] offset:40
	global_load_dwordx2 v[30:31], v29, s[6:7]
	v_pk_mov_b32 v[24:25], v[6:7], v[6:7] op_sel:[0,1]
	s_waitcnt vmcnt(1)
	v_and_b32_e32 v6, v22, v24
	s_waitcnt vmcnt(0)
	v_mad_u64_u32 v[6:7], s[22:23], v6, 24, v[30:31]
	v_and_b32_e32 v23, v23, v25
	v_mov_b32_e32 v22, v7
	v_mad_u64_u32 v[22:23], s[22:23], v23, 24, v[22:23]
	v_mov_b32_e32 v7, v22
	global_load_dwordx2 v[22:23], v[6:7], off glc
	s_waitcnt vmcnt(0)
	global_atomic_cmpswap_x2 v[6:7], v29, v[22:25], s[6:7] offset:24 glc
	s_waitcnt vmcnt(0)
	buffer_invl2
	buffer_wbinvl1_vol
	v_cmp_eq_u64_e32 vcc, v[6:7], v[24:25]
	s_or_b64 s[20:21], vcc, s[20:21]
	s_andn2_b64 exec, exec, s[20:21]
	s_cbranch_execnz .LBB3_86
; %bb.87:                               ;   in Loop: Header=BB3_28 Depth=1
	s_or_b64 exec, exec, s[20:21]
.LBB3_88:                               ;   in Loop: Header=BB3_28 Depth=1
	s_or_b64 exec, exec, s[18:19]
.LBB3_89:                               ;   in Loop: Header=BB3_28 Depth=1
	s_or_b64 exec, exec, s[16:17]
	global_load_dwordx2 v[30:31], v29, s[6:7] offset:40
	global_load_dwordx4 v[22:25], v29, s[6:7]
	v_readfirstlane_b32 s16, v6
	v_readfirstlane_b32 s17, v7
	s_mov_b64 s[18:19], exec
	s_waitcnt vmcnt(1)
	v_readfirstlane_b32 s20, v30
	v_readfirstlane_b32 s21, v31
	s_and_b64 s[20:21], s[16:17], s[20:21]
	s_mul_i32 s22, s21, 24
	s_mul_hi_u32 s23, s20, 24
	s_mul_i32 s24, s20, 24
	s_add_i32 s22, s23, s22
	v_mov_b32_e32 v6, s22
	s_waitcnt vmcnt(0)
	v_add_co_u32_e32 v30, vcc, s24, v22
	v_addc_co_u32_e32 v31, vcc, v23, v6, vcc
	s_and_saveexec_b64 s[22:23], s[4:5]
	s_cbranch_execz .LBB3_91
; %bb.90:                               ;   in Loop: Header=BB3_28 Depth=1
	v_pk_mov_b32 v[6:7], s[18:19], s[18:19] op_sel:[0,1]
	global_store_dwordx4 v[30:31], v[6:9], off offset:8
.LBB3_91:                               ;   in Loop: Header=BB3_28 Depth=1
	s_or_b64 exec, exec, s[22:23]
	s_lshl_b64 s[18:19], s[20:21], 12
	v_mov_b32_e32 v7, s19
	v_add_co_u32_e32 v6, vcc, s18, v24
	v_addc_co_u32_e32 v7, vcc, v25, v7, vcc
	v_or_b32_e32 v25, v0, v26
	v_cmp_gt_u64_e64 vcc, s[12:13], 56
	s_lshl_b32 s18, s14, 2
	v_cndmask_b32_e32 v0, v25, v0, vcc
	s_add_i32 s18, s18, 28
	v_or_b32_e32 v24, 0, v1
	s_and_b32 s18, s18, 0x1e0
	v_and_b32_e32 v0, 0xffffff1f, v0
	v_cndmask_b32_e32 v1, v24, v1, vcc
	v_or_b32_e32 v0, s18, v0
	v_readfirstlane_b32 s18, v6
	v_readfirstlane_b32 s19, v7
	s_nop 4
	global_store_dwordx4 v34, v[0:3], s[18:19]
	global_store_dwordx4 v34, v[10:13], s[18:19] offset:16
	global_store_dwordx4 v34, v[14:17], s[18:19] offset:32
	;; [unrolled: 1-line block ×3, first 2 shown]
	s_and_saveexec_b64 s[18:19], s[4:5]
	s_cbranch_execz .LBB3_99
; %bb.92:                               ;   in Loop: Header=BB3_28 Depth=1
	global_load_dwordx2 v[14:15], v29, s[6:7] offset:32 glc
	global_load_dwordx2 v[0:1], v29, s[6:7] offset:40
	v_mov_b32_e32 v12, s16
	v_mov_b32_e32 v13, s17
	s_waitcnt vmcnt(0)
	v_readfirstlane_b32 s20, v0
	v_readfirstlane_b32 s21, v1
	s_and_b64 s[20:21], s[20:21], s[16:17]
	s_mul_i32 s21, s21, 24
	s_mul_hi_u32 s22, s20, 24
	s_mul_i32 s20, s20, 24
	s_add_i32 s21, s22, s21
	v_mov_b32_e32 v0, s21
	v_add_co_u32_e32 v10, vcc, s20, v22
	v_addc_co_u32_e32 v11, vcc, v23, v0, vcc
	global_store_dwordx2 v[10:11], v[14:15], off
	buffer_wbl2
	s_waitcnt vmcnt(0)
	global_atomic_cmpswap_x2 v[2:3], v29, v[12:15], s[6:7] offset:32 glc
	s_waitcnt vmcnt(0)
	v_cmp_ne_u64_e32 vcc, v[2:3], v[14:15]
	s_and_saveexec_b64 s[20:21], vcc
	s_cbranch_execz .LBB3_95
; %bb.93:                               ;   in Loop: Header=BB3_28 Depth=1
	s_mov_b64 s[22:23], 0
.LBB3_94:                               ;   Parent Loop BB3_28 Depth=1
                                        ; =>  This Inner Loop Header: Depth=2
	s_sleep 1
	global_store_dwordx2 v[10:11], v[2:3], off
	v_mov_b32_e32 v0, s16
	v_mov_b32_e32 v1, s17
	buffer_wbl2
	s_waitcnt vmcnt(0)
	global_atomic_cmpswap_x2 v[0:1], v29, v[0:3], s[6:7] offset:32 glc
	s_waitcnt vmcnt(0)
	v_cmp_eq_u64_e32 vcc, v[0:1], v[2:3]
	s_or_b64 s[22:23], vcc, s[22:23]
	v_pk_mov_b32 v[2:3], v[0:1], v[0:1] op_sel:[0,1]
	s_andn2_b64 exec, exec, s[22:23]
	s_cbranch_execnz .LBB3_94
.LBB3_95:                               ;   in Loop: Header=BB3_28 Depth=1
	s_or_b64 exec, exec, s[20:21]
	global_load_dwordx2 v[0:1], v29, s[6:7] offset:16
	s_mov_b64 s[22:23], exec
	v_mbcnt_lo_u32_b32 v2, s22, 0
	v_mbcnt_hi_u32_b32 v2, s23, v2
	v_cmp_eq_u32_e32 vcc, 0, v2
	s_and_saveexec_b64 s[20:21], vcc
	s_cbranch_execz .LBB3_97
; %bb.96:                               ;   in Loop: Header=BB3_28 Depth=1
	s_bcnt1_i32_b64 s22, s[22:23]
	v_mov_b32_e32 v28, s22
	buffer_wbl2
	s_waitcnt vmcnt(0)
	global_atomic_add_x2 v[0:1], v[28:29], off offset:8
.LBB3_97:                               ;   in Loop: Header=BB3_28 Depth=1
	s_or_b64 exec, exec, s[20:21]
	s_waitcnt vmcnt(0)
	global_load_dwordx2 v[2:3], v[0:1], off offset:16
	s_waitcnt vmcnt(0)
	v_cmp_eq_u64_e32 vcc, 0, v[2:3]
	s_cbranch_vccnz .LBB3_99
; %bb.98:                               ;   in Loop: Header=BB3_28 Depth=1
	global_load_dword v28, v[0:1], off offset:24
	s_waitcnt vmcnt(0)
	v_and_b32_e32 v0, 0xffffff, v28
	v_readfirstlane_b32 m0, v0
	buffer_wbl2
	global_store_dwordx2 v[2:3], v[28:29], off
	s_sendmsg sendmsg(MSG_INTERRUPT)
.LBB3_99:                               ;   in Loop: Header=BB3_28 Depth=1
	s_or_b64 exec, exec, s[18:19]
	v_add_co_u32_e32 v0, vcc, v6, v34
	v_addc_co_u32_e32 v1, vcc, 0, v7, vcc
	s_branch .LBB3_103
.LBB3_100:                              ;   in Loop: Header=BB3_103 Depth=2
	s_or_b64 exec, exec, s[18:19]
	v_readfirstlane_b32 s18, v2
	s_cmp_eq_u32 s18, 0
	s_cbranch_scc1 .LBB3_102
; %bb.101:                              ;   in Loop: Header=BB3_103 Depth=2
	s_sleep 1
	s_cbranch_execnz .LBB3_103
	s_branch .LBB3_105
.LBB3_102:                              ;   in Loop: Header=BB3_28 Depth=1
	s_branch .LBB3_105
.LBB3_103:                              ;   Parent Loop BB3_28 Depth=1
                                        ; =>  This Inner Loop Header: Depth=2
	v_mov_b32_e32 v2, 1
	s_and_saveexec_b64 s[18:19], s[4:5]
	s_cbranch_execz .LBB3_100
; %bb.104:                              ;   in Loop: Header=BB3_103 Depth=2
	global_load_dword v2, v[30:31], off offset:20 glc
	s_waitcnt vmcnt(0)
	buffer_invl2
	buffer_wbinvl1_vol
	v_and_b32_e32 v2, 1, v2
	s_branch .LBB3_100
.LBB3_105:                              ;   in Loop: Header=BB3_28 Depth=1
	global_load_dwordx4 v[0:3], v[0:1], off
	s_and_saveexec_b64 s[18:19], s[4:5]
	s_cbranch_execz .LBB3_27
; %bb.106:                              ;   in Loop: Header=BB3_28 Depth=1
	global_load_dwordx2 v[2:3], v29, s[6:7] offset:40
	global_load_dwordx2 v[6:7], v29, s[6:7] offset:24 glc
	global_load_dwordx2 v[14:15], v29, s[6:7]
	v_mov_b32_e32 v11, s17
	s_waitcnt vmcnt(2)
	v_add_co_u32_e32 v13, vcc, 1, v2
	v_addc_co_u32_e32 v16, vcc, 0, v3, vcc
	v_add_co_u32_e32 v10, vcc, s16, v13
	v_addc_co_u32_e32 v11, vcc, v16, v11, vcc
	v_cmp_eq_u64_e32 vcc, 0, v[10:11]
	v_cndmask_b32_e32 v11, v11, v16, vcc
	v_cndmask_b32_e32 v10, v10, v13, vcc
	v_and_b32_e32 v3, v11, v3
	v_and_b32_e32 v2, v10, v2
	v_mul_lo_u32 v3, v3, 24
	v_mul_hi_u32 v13, v2, 24
	v_mul_lo_u32 v2, v2, 24
	v_add_u32_e32 v3, v13, v3
	s_waitcnt vmcnt(0)
	v_add_co_u32_e32 v2, vcc, v14, v2
	v_addc_co_u32_e32 v3, vcc, v15, v3, vcc
	v_mov_b32_e32 v12, v6
	global_store_dwordx2 v[2:3], v[6:7], off
	v_mov_b32_e32 v13, v7
	buffer_wbl2
	s_waitcnt vmcnt(0)
	global_atomic_cmpswap_x2 v[12:13], v29, v[10:13], s[6:7] offset:24 glc
	s_waitcnt vmcnt(0)
	v_cmp_ne_u64_e32 vcc, v[12:13], v[6:7]
	s_and_b64 exec, exec, vcc
	s_cbranch_execz .LBB3_27
; %bb.107:                              ;   in Loop: Header=BB3_28 Depth=1
	s_mov_b64 s[4:5], 0
.LBB3_108:                              ;   Parent Loop BB3_28 Depth=1
                                        ; =>  This Inner Loop Header: Depth=2
	s_sleep 1
	global_store_dwordx2 v[2:3], v[12:13], off
	buffer_wbl2
	s_waitcnt vmcnt(0)
	global_atomic_cmpswap_x2 v[6:7], v29, v[10:13], s[6:7] offset:24 glc
	s_waitcnt vmcnt(0)
	v_cmp_eq_u64_e32 vcc, v[6:7], v[12:13]
	s_or_b64 s[4:5], vcc, s[4:5]
	v_pk_mov_b32 v[12:13], v[6:7], v[6:7] op_sel:[0,1]
	s_andn2_b64 exec, exec, s[4:5]
	s_cbranch_execnz .LBB3_108
	s_branch .LBB3_27
.LBB3_109:
                                        ; implicit-def: $vgpr0_vgpr1
	s_cbranch_execnz .LBB3_111
	s_branch .LBB3_137
.LBB3_110:
	s_branch .LBB3_137
.LBB3_111:
	v_readfirstlane_b32 s4, v35
	v_cmp_eq_u32_e64 s[4:5], s4, v35
	v_pk_mov_b32 v[8:9], 0, 0
	s_and_saveexec_b64 s[10:11], s[4:5]
	s_cbranch_execz .LBB3_117
; %bb.112:
	s_waitcnt vmcnt(0)
	v_mov_b32_e32 v0, 0
	global_load_dwordx2 v[10:11], v0, s[6:7] offset:24 glc
	s_waitcnt vmcnt(0)
	buffer_invl2
	buffer_wbinvl1_vol
	global_load_dwordx2 v[2:3], v0, s[6:7] offset:40
	global_load_dwordx2 v[6:7], v0, s[6:7]
	s_waitcnt vmcnt(1)
	v_and_b32_e32 v1, v2, v10
	v_and_b32_e32 v2, v3, v11
	v_mul_lo_u32 v2, v2, 24
	v_mul_hi_u32 v3, v1, 24
	v_mul_lo_u32 v1, v1, 24
	v_add_u32_e32 v3, v3, v2
	s_waitcnt vmcnt(0)
	v_add_co_u32_e32 v2, vcc, v6, v1
	v_addc_co_u32_e32 v3, vcc, v7, v3, vcc
	global_load_dwordx2 v[8:9], v[2:3], off glc
	s_waitcnt vmcnt(0)
	global_atomic_cmpswap_x2 v[8:9], v0, v[8:11], s[6:7] offset:24 glc
	s_waitcnt vmcnt(0)
	buffer_invl2
	buffer_wbinvl1_vol
	v_cmp_ne_u64_e32 vcc, v[8:9], v[10:11]
	s_and_saveexec_b64 s[12:13], vcc
	s_cbranch_execz .LBB3_116
; %bb.113:
	s_mov_b64 s[14:15], 0
.LBB3_114:                              ; =>This Inner Loop Header: Depth=1
	s_sleep 1
	global_load_dwordx2 v[2:3], v0, s[6:7] offset:40
	global_load_dwordx2 v[6:7], v0, s[6:7]
	v_pk_mov_b32 v[10:11], v[8:9], v[8:9] op_sel:[0,1]
	s_waitcnt vmcnt(1)
	v_and_b32_e32 v2, v2, v10
	v_and_b32_e32 v1, v3, v11
	s_waitcnt vmcnt(0)
	v_mad_u64_u32 v[2:3], s[16:17], v2, 24, v[6:7]
	v_mov_b32_e32 v6, v3
	v_mad_u64_u32 v[6:7], s[16:17], v1, 24, v[6:7]
	v_mov_b32_e32 v3, v6
	global_load_dwordx2 v[8:9], v[2:3], off glc
	s_waitcnt vmcnt(0)
	global_atomic_cmpswap_x2 v[8:9], v0, v[8:11], s[6:7] offset:24 glc
	s_waitcnt vmcnt(0)
	buffer_invl2
	buffer_wbinvl1_vol
	v_cmp_eq_u64_e32 vcc, v[8:9], v[10:11]
	s_or_b64 s[14:15], vcc, s[14:15]
	s_andn2_b64 exec, exec, s[14:15]
	s_cbranch_execnz .LBB3_114
; %bb.115:
	s_or_b64 exec, exec, s[14:15]
.LBB3_116:
	s_or_b64 exec, exec, s[12:13]
.LBB3_117:
	s_or_b64 exec, exec, s[10:11]
	v_mov_b32_e32 v6, 0
	global_load_dwordx2 v[10:11], v6, s[6:7] offset:40
	global_load_dwordx4 v[0:3], v6, s[6:7]
	v_readfirstlane_b32 s10, v8
	v_readfirstlane_b32 s11, v9
	s_mov_b64 s[12:13], exec
	s_waitcnt vmcnt(1)
	v_readfirstlane_b32 s14, v10
	v_readfirstlane_b32 s15, v11
	s_and_b64 s[14:15], s[10:11], s[14:15]
	s_mul_i32 s16, s15, 24
	s_mul_hi_u32 s17, s14, 24
	s_mul_i32 s18, s14, 24
	s_add_i32 s16, s17, s16
	v_mov_b32_e32 v7, s16
	s_waitcnt vmcnt(0)
	v_add_co_u32_e32 v8, vcc, s18, v0
	v_addc_co_u32_e32 v9, vcc, v1, v7, vcc
	s_and_saveexec_b64 s[16:17], s[4:5]
	s_cbranch_execz .LBB3_119
; %bb.118:
	v_pk_mov_b32 v[10:11], s[12:13], s[12:13] op_sel:[0,1]
	v_mov_b32_e32 v12, 2
	v_mov_b32_e32 v13, 1
	global_store_dwordx4 v[8:9], v[10:13], off offset:8
.LBB3_119:
	s_or_b64 exec, exec, s[16:17]
	s_lshl_b64 s[12:13], s[14:15], 12
	v_mov_b32_e32 v7, s13
	v_add_co_u32_e32 v2, vcc, s12, v2
	s_movk_i32 s12, 0xff1f
	v_addc_co_u32_e32 v3, vcc, v3, v7, vcc
	v_and_or_b32 v4, v4, s12, 32
	s_mov_b32 s12, 0
	v_add_co_u32_e32 v10, vcc, v2, v34
	v_mov_b32_e32 v7, v6
	v_readfirstlane_b32 s16, v2
	v_readfirstlane_b32 s17, v3
	s_mov_b32 s13, s12
	v_addc_co_u32_e32 v11, vcc, 0, v3, vcc
	s_mov_b32 s14, s12
	s_mov_b32 s15, s12
	s_nop 0
	global_store_dwordx4 v34, v[4:7], s[16:17]
	v_pk_mov_b32 v[2:3], s[12:13], s[12:13] op_sel:[0,1]
	v_pk_mov_b32 v[4:5], s[14:15], s[14:15] op_sel:[0,1]
	global_store_dwordx4 v34, v[2:5], s[16:17] offset:16
	global_store_dwordx4 v34, v[2:5], s[16:17] offset:32
	;; [unrolled: 1-line block ×3, first 2 shown]
	s_and_saveexec_b64 s[12:13], s[4:5]
	s_cbranch_execz .LBB3_127
; %bb.120:
	v_mov_b32_e32 v6, 0
	global_load_dwordx2 v[14:15], v6, s[6:7] offset:32 glc
	global_load_dwordx2 v[2:3], v6, s[6:7] offset:40
	v_mov_b32_e32 v12, s10
	v_mov_b32_e32 v13, s11
	s_waitcnt vmcnt(0)
	v_readfirstlane_b32 s14, v2
	v_readfirstlane_b32 s15, v3
	s_and_b64 s[14:15], s[14:15], s[10:11]
	s_mul_i32 s15, s15, 24
	s_mul_hi_u32 s16, s14, 24
	s_mul_i32 s14, s14, 24
	s_add_i32 s15, s16, s15
	v_mov_b32_e32 v2, s15
	v_add_co_u32_e32 v4, vcc, s14, v0
	v_addc_co_u32_e32 v5, vcc, v1, v2, vcc
	global_store_dwordx2 v[4:5], v[14:15], off
	buffer_wbl2
	s_waitcnt vmcnt(0)
	global_atomic_cmpswap_x2 v[2:3], v6, v[12:15], s[6:7] offset:32 glc
	s_waitcnt vmcnt(0)
	v_cmp_ne_u64_e32 vcc, v[2:3], v[14:15]
	s_and_saveexec_b64 s[14:15], vcc
	s_cbranch_execz .LBB3_123
; %bb.121:
	s_mov_b64 s[16:17], 0
.LBB3_122:                              ; =>This Inner Loop Header: Depth=1
	s_sleep 1
	global_store_dwordx2 v[4:5], v[2:3], off
	v_mov_b32_e32 v0, s10
	v_mov_b32_e32 v1, s11
	buffer_wbl2
	s_waitcnt vmcnt(0)
	global_atomic_cmpswap_x2 v[0:1], v6, v[0:3], s[6:7] offset:32 glc
	s_waitcnt vmcnt(0)
	v_cmp_eq_u64_e32 vcc, v[0:1], v[2:3]
	s_or_b64 s[16:17], vcc, s[16:17]
	v_pk_mov_b32 v[2:3], v[0:1], v[0:1] op_sel:[0,1]
	s_andn2_b64 exec, exec, s[16:17]
	s_cbranch_execnz .LBB3_122
.LBB3_123:
	s_or_b64 exec, exec, s[14:15]
	v_mov_b32_e32 v3, 0
	global_load_dwordx2 v[0:1], v3, s[6:7] offset:16
	s_mov_b64 s[14:15], exec
	v_mbcnt_lo_u32_b32 v2, s14, 0
	v_mbcnt_hi_u32_b32 v2, s15, v2
	v_cmp_eq_u32_e32 vcc, 0, v2
	s_and_saveexec_b64 s[16:17], vcc
	s_cbranch_execz .LBB3_125
; %bb.124:
	s_bcnt1_i32_b64 s14, s[14:15]
	v_mov_b32_e32 v2, s14
	buffer_wbl2
	s_waitcnt vmcnt(0)
	global_atomic_add_x2 v[0:1], v[2:3], off offset:8
.LBB3_125:
	s_or_b64 exec, exec, s[16:17]
	s_waitcnt vmcnt(0)
	global_load_dwordx2 v[2:3], v[0:1], off offset:16
	s_waitcnt vmcnt(0)
	v_cmp_eq_u64_e32 vcc, 0, v[2:3]
	s_cbranch_vccnz .LBB3_127
; %bb.126:
	global_load_dword v0, v[0:1], off offset:24
	v_mov_b32_e32 v1, 0
	buffer_wbl2
	s_waitcnt vmcnt(0)
	global_store_dwordx2 v[2:3], v[0:1], off
	v_and_b32_e32 v0, 0xffffff, v0
	v_readfirstlane_b32 m0, v0
	s_sendmsg sendmsg(MSG_INTERRUPT)
.LBB3_127:
	s_or_b64 exec, exec, s[12:13]
	s_branch .LBB3_131
.LBB3_128:                              ;   in Loop: Header=BB3_131 Depth=1
	s_or_b64 exec, exec, s[12:13]
	v_readfirstlane_b32 s12, v0
	s_cmp_eq_u32 s12, 0
	s_cbranch_scc1 .LBB3_130
; %bb.129:                              ;   in Loop: Header=BB3_131 Depth=1
	s_sleep 1
	s_cbranch_execnz .LBB3_131
	s_branch .LBB3_133
.LBB3_130:
	s_branch .LBB3_133
.LBB3_131:                              ; =>This Inner Loop Header: Depth=1
	v_mov_b32_e32 v0, 1
	s_and_saveexec_b64 s[12:13], s[4:5]
	s_cbranch_execz .LBB3_128
; %bb.132:                              ;   in Loop: Header=BB3_131 Depth=1
	global_load_dword v0, v[8:9], off offset:20 glc
	s_waitcnt vmcnt(0)
	buffer_invl2
	buffer_wbinvl1_vol
	v_and_b32_e32 v0, 1, v0
	s_branch .LBB3_128
.LBB3_133:
	global_load_dwordx2 v[0:1], v[10:11], off
	s_and_saveexec_b64 s[12:13], s[4:5]
	s_cbranch_execz .LBB3_136
; %bb.134:
	v_mov_b32_e32 v8, 0
	global_load_dwordx2 v[6:7], v8, s[6:7] offset:40
	global_load_dwordx2 v[10:11], v8, s[6:7] offset:24 glc
	global_load_dwordx2 v[12:13], v8, s[6:7]
	v_mov_b32_e32 v3, s11
	s_mov_b64 s[4:5], 0
	s_waitcnt vmcnt(2)
	v_add_co_u32_e32 v5, vcc, 1, v6
	v_addc_co_u32_e32 v9, vcc, 0, v7, vcc
	v_add_co_u32_e32 v2, vcc, s10, v5
	v_addc_co_u32_e32 v3, vcc, v9, v3, vcc
	v_cmp_eq_u64_e32 vcc, 0, v[2:3]
	v_cndmask_b32_e32 v3, v3, v9, vcc
	v_cndmask_b32_e32 v2, v2, v5, vcc
	v_and_b32_e32 v5, v3, v7
	v_and_b32_e32 v6, v2, v6
	v_mul_lo_u32 v5, v5, 24
	v_mul_hi_u32 v7, v6, 24
	v_mul_lo_u32 v6, v6, 24
	v_add_u32_e32 v5, v7, v5
	s_waitcnt vmcnt(0)
	v_add_co_u32_e32 v6, vcc, v12, v6
	v_addc_co_u32_e32 v7, vcc, v13, v5, vcc
	v_mov_b32_e32 v4, v10
	global_store_dwordx2 v[6:7], v[10:11], off
	v_mov_b32_e32 v5, v11
	buffer_wbl2
	s_waitcnt vmcnt(0)
	global_atomic_cmpswap_x2 v[4:5], v8, v[2:5], s[6:7] offset:24 glc
	s_waitcnt vmcnt(0)
	v_cmp_ne_u64_e32 vcc, v[4:5], v[10:11]
	s_and_b64 exec, exec, vcc
	s_cbranch_execz .LBB3_136
.LBB3_135:                              ; =>This Inner Loop Header: Depth=1
	s_sleep 1
	global_store_dwordx2 v[6:7], v[4:5], off
	buffer_wbl2
	s_waitcnt vmcnt(0)
	global_atomic_cmpswap_x2 v[10:11], v8, v[2:5], s[6:7] offset:24 glc
	s_waitcnt vmcnt(0)
	v_cmp_eq_u64_e32 vcc, v[10:11], v[4:5]
	s_or_b64 s[4:5], vcc, s[4:5]
	v_pk_mov_b32 v[4:5], v[10:11], v[10:11] op_sel:[0,1]
	s_andn2_b64 exec, exec, s[4:5]
	s_cbranch_execnz .LBB3_135
.LBB3_136:
	s_or_b64 exec, exec, s[12:13]
.LBB3_137:
	s_getpc_b64 s[10:11]
	s_add_u32 s10, s10, .str.1@rel32@lo+4
	s_addc_u32 s11, s11, .str.1@rel32@hi+12
	s_cmp_lg_u64 s[10:11], 0
	s_cselect_b64 s[4:5], -1, 0
	s_cmp_eq_u64 s[10:11], 0
	s_mov_b64 s[10:11], 0
	s_cbranch_scc1 .LBB3_141
; %bb.138:
	s_waitcnt vmcnt(0)
	v_mov_b32_e32 v2, 0
	s_getpc_b64 s[10:11]
	s_add_u32 s10, s10, .str.1@rel32@lo+3
	s_addc_u32 s11, s11, .str.1@rel32@hi+11
.LBB3_139:                              ; =>This Inner Loop Header: Depth=1
	global_load_ubyte v3, v2, s[10:11] offset:1
	s_add_u32 s12, s10, 1
	s_addc_u32 s13, s11, 0
	s_mov_b64 s[10:11], s[12:13]
	s_waitcnt vmcnt(0)
	v_cmp_ne_u16_e32 vcc, 0, v3
	s_cbranch_vccnz .LBB3_139
; %bb.140:
	s_getpc_b64 s[10:11]
	s_add_u32 s10, s10, .str.1@rel32@lo+4
	s_addc_u32 s11, s11, .str.1@rel32@hi+12
	s_sub_u32 s10, s12, s10
	s_subb_u32 s11, s13, s11
	s_add_u32 s10, s10, 1
	s_addc_u32 s11, s11, 0
.LBB3_141:
	s_and_b64 vcc, exec, s[4:5]
	s_cbranch_vccz .LBB3_225
; %bb.142:
	s_waitcnt vmcnt(0)
	v_and_b32_e32 v28, 2, v0
	v_mov_b32_e32 v31, 0
	v_and_b32_e32 v2, -3, v0
	v_mov_b32_e32 v3, v1
	v_mov_b32_e32 v6, 2
	;; [unrolled: 1-line block ×3, first 2 shown]
	s_getpc_b64 s[12:13]
	s_add_u32 s12, s12, .str.1@rel32@lo+4
	s_addc_u32 s13, s13, .str.1@rel32@hi+12
	s_branch .LBB3_144
.LBB3_143:                              ;   in Loop: Header=BB3_144 Depth=1
	s_or_b64 exec, exec, s[18:19]
	s_sub_u32 s10, s10, s14
	s_subb_u32 s11, s11, s15
	s_add_u32 s12, s12, s14
	s_addc_u32 s13, s13, s15
	s_cmp_lg_u64 s[10:11], 0
	s_cbranch_scc0 .LBB3_226
.LBB3_144:                              ; =>This Loop Header: Depth=1
                                        ;     Child Loop BB3_147 Depth 2
                                        ;     Child Loop BB3_154 Depth 2
	;; [unrolled: 1-line block ×11, first 2 shown]
	v_cmp_lt_u64_e64 s[4:5], s[10:11], 56
	s_and_b64 s[4:5], s[4:5], exec
	v_cmp_gt_u64_e64 s[4:5], s[10:11], 7
	s_cselect_b32 s15, s11, 0
	s_cselect_b32 s14, s10, 56
	s_and_b64 vcc, exec, s[4:5]
	s_cbranch_vccnz .LBB3_149
; %bb.145:                              ;   in Loop: Header=BB3_144 Depth=1
	s_mov_b64 s[4:5], 0
	s_cmp_eq_u64 s[10:11], 0
	v_pk_mov_b32 v[10:11], 0, 0
	s_cbranch_scc1 .LBB3_148
; %bb.146:                              ;   in Loop: Header=BB3_144 Depth=1
	s_lshl_b64 s[16:17], s[14:15], 3
	s_mov_b64 s[18:19], 0
	v_pk_mov_b32 v[10:11], 0, 0
	s_mov_b64 s[20:21], s[12:13]
.LBB3_147:                              ;   Parent Loop BB3_144 Depth=1
                                        ; =>  This Inner Loop Header: Depth=2
	global_load_ubyte v4, v31, s[20:21]
	s_waitcnt vmcnt(0)
	v_and_b32_e32 v30, 0xffff, v4
	v_lshlrev_b64 v[4:5], s18, v[30:31]
	s_add_u32 s18, s18, 8
	s_addc_u32 s19, s19, 0
	s_add_u32 s20, s20, 1
	s_addc_u32 s21, s21, 0
	v_or_b32_e32 v10, v4, v10
	s_cmp_lg_u32 s16, s18
	v_or_b32_e32 v11, v5, v11
	s_cbranch_scc1 .LBB3_147
.LBB3_148:                              ;   in Loop: Header=BB3_144 Depth=1
	s_mov_b32 s20, 0
	s_andn2_b64 vcc, exec, s[4:5]
	s_mov_b64 s[4:5], s[12:13]
	s_cbranch_vccz .LBB3_150
	s_branch .LBB3_151
.LBB3_149:                              ;   in Loop: Header=BB3_144 Depth=1
                                        ; implicit-def: $vgpr10_vgpr11
                                        ; implicit-def: $sgpr20
	s_mov_b64 s[4:5], s[12:13]
.LBB3_150:                              ;   in Loop: Header=BB3_144 Depth=1
	global_load_dwordx2 v[10:11], v31, s[12:13]
	s_add_i32 s20, s14, -8
	s_add_u32 s4, s12, 8
	s_addc_u32 s5, s13, 0
.LBB3_151:                              ;   in Loop: Header=BB3_144 Depth=1
	s_cmp_gt_u32 s20, 7
	s_cbranch_scc1 .LBB3_155
; %bb.152:                              ;   in Loop: Header=BB3_144 Depth=1
	s_cmp_eq_u32 s20, 0
	s_cbranch_scc1 .LBB3_156
; %bb.153:                              ;   in Loop: Header=BB3_144 Depth=1
	s_mov_b64 s[16:17], 0
	v_pk_mov_b32 v[12:13], 0, 0
	s_mov_b64 s[18:19], 0
.LBB3_154:                              ;   Parent Loop BB3_144 Depth=1
                                        ; =>  This Inner Loop Header: Depth=2
	s_add_u32 s22, s4, s18
	s_addc_u32 s23, s5, s19
	global_load_ubyte v4, v31, s[22:23]
	s_add_u32 s18, s18, 1
	s_addc_u32 s19, s19, 0
	s_waitcnt vmcnt(0)
	v_and_b32_e32 v30, 0xffff, v4
	v_lshlrev_b64 v[4:5], s16, v[30:31]
	s_add_u32 s16, s16, 8
	s_addc_u32 s17, s17, 0
	v_or_b32_e32 v12, v4, v12
	s_cmp_lg_u32 s20, s18
	v_or_b32_e32 v13, v5, v13
	s_cbranch_scc1 .LBB3_154
	s_branch .LBB3_157
.LBB3_155:                              ;   in Loop: Header=BB3_144 Depth=1
                                        ; implicit-def: $vgpr12_vgpr13
                                        ; implicit-def: $sgpr21
	s_branch .LBB3_158
.LBB3_156:                              ;   in Loop: Header=BB3_144 Depth=1
	v_pk_mov_b32 v[12:13], 0, 0
.LBB3_157:                              ;   in Loop: Header=BB3_144 Depth=1
	s_mov_b32 s21, 0
	s_cbranch_execnz .LBB3_159
.LBB3_158:                              ;   in Loop: Header=BB3_144 Depth=1
	global_load_dwordx2 v[12:13], v31, s[4:5]
	s_add_i32 s21, s20, -8
	s_add_u32 s4, s4, 8
	s_addc_u32 s5, s5, 0
.LBB3_159:                              ;   in Loop: Header=BB3_144 Depth=1
	s_cmp_gt_u32 s21, 7
	s_cbranch_scc1 .LBB3_163
; %bb.160:                              ;   in Loop: Header=BB3_144 Depth=1
	s_cmp_eq_u32 s21, 0
	s_cbranch_scc1 .LBB3_164
; %bb.161:                              ;   in Loop: Header=BB3_144 Depth=1
	s_mov_b64 s[16:17], 0
	v_pk_mov_b32 v[14:15], 0, 0
	s_mov_b64 s[18:19], 0
.LBB3_162:                              ;   Parent Loop BB3_144 Depth=1
                                        ; =>  This Inner Loop Header: Depth=2
	s_add_u32 s22, s4, s18
	s_addc_u32 s23, s5, s19
	global_load_ubyte v4, v31, s[22:23]
	s_add_u32 s18, s18, 1
	s_addc_u32 s19, s19, 0
	s_waitcnt vmcnt(0)
	v_and_b32_e32 v30, 0xffff, v4
	v_lshlrev_b64 v[4:5], s16, v[30:31]
	s_add_u32 s16, s16, 8
	s_addc_u32 s17, s17, 0
	v_or_b32_e32 v14, v4, v14
	s_cmp_lg_u32 s21, s18
	v_or_b32_e32 v15, v5, v15
	s_cbranch_scc1 .LBB3_162
	s_branch .LBB3_165
.LBB3_163:                              ;   in Loop: Header=BB3_144 Depth=1
                                        ; implicit-def: $sgpr20
	s_branch .LBB3_166
.LBB3_164:                              ;   in Loop: Header=BB3_144 Depth=1
	v_pk_mov_b32 v[14:15], 0, 0
.LBB3_165:                              ;   in Loop: Header=BB3_144 Depth=1
	s_mov_b32 s20, 0
	s_cbranch_execnz .LBB3_167
.LBB3_166:                              ;   in Loop: Header=BB3_144 Depth=1
	global_load_dwordx2 v[14:15], v31, s[4:5]
	s_add_i32 s20, s21, -8
	s_add_u32 s4, s4, 8
	s_addc_u32 s5, s5, 0
.LBB3_167:                              ;   in Loop: Header=BB3_144 Depth=1
	s_cmp_gt_u32 s20, 7
	s_cbranch_scc1 .LBB3_171
; %bb.168:                              ;   in Loop: Header=BB3_144 Depth=1
	s_cmp_eq_u32 s20, 0
	s_cbranch_scc1 .LBB3_172
; %bb.169:                              ;   in Loop: Header=BB3_144 Depth=1
	s_mov_b64 s[16:17], 0
	v_pk_mov_b32 v[16:17], 0, 0
	s_mov_b64 s[18:19], 0
.LBB3_170:                              ;   Parent Loop BB3_144 Depth=1
                                        ; =>  This Inner Loop Header: Depth=2
	s_add_u32 s22, s4, s18
	s_addc_u32 s23, s5, s19
	global_load_ubyte v4, v31, s[22:23]
	s_add_u32 s18, s18, 1
	s_addc_u32 s19, s19, 0
	s_waitcnt vmcnt(0)
	v_and_b32_e32 v30, 0xffff, v4
	v_lshlrev_b64 v[4:5], s16, v[30:31]
	s_add_u32 s16, s16, 8
	s_addc_u32 s17, s17, 0
	v_or_b32_e32 v16, v4, v16
	s_cmp_lg_u32 s20, s18
	v_or_b32_e32 v17, v5, v17
	s_cbranch_scc1 .LBB3_170
	s_branch .LBB3_173
.LBB3_171:                              ;   in Loop: Header=BB3_144 Depth=1
                                        ; implicit-def: $vgpr16_vgpr17
                                        ; implicit-def: $sgpr21
	s_branch .LBB3_174
.LBB3_172:                              ;   in Loop: Header=BB3_144 Depth=1
	v_pk_mov_b32 v[16:17], 0, 0
.LBB3_173:                              ;   in Loop: Header=BB3_144 Depth=1
	s_mov_b32 s21, 0
	s_cbranch_execnz .LBB3_175
.LBB3_174:                              ;   in Loop: Header=BB3_144 Depth=1
	global_load_dwordx2 v[16:17], v31, s[4:5]
	s_add_i32 s21, s20, -8
	s_add_u32 s4, s4, 8
	s_addc_u32 s5, s5, 0
.LBB3_175:                              ;   in Loop: Header=BB3_144 Depth=1
	s_cmp_gt_u32 s21, 7
	s_cbranch_scc1 .LBB3_179
; %bb.176:                              ;   in Loop: Header=BB3_144 Depth=1
	s_cmp_eq_u32 s21, 0
	s_cbranch_scc1 .LBB3_180
; %bb.177:                              ;   in Loop: Header=BB3_144 Depth=1
	s_mov_b64 s[16:17], 0
	v_pk_mov_b32 v[18:19], 0, 0
	s_mov_b64 s[18:19], 0
.LBB3_178:                              ;   Parent Loop BB3_144 Depth=1
                                        ; =>  This Inner Loop Header: Depth=2
	s_add_u32 s22, s4, s18
	s_addc_u32 s23, s5, s19
	global_load_ubyte v4, v31, s[22:23]
	s_add_u32 s18, s18, 1
	s_addc_u32 s19, s19, 0
	s_waitcnt vmcnt(0)
	v_and_b32_e32 v30, 0xffff, v4
	v_lshlrev_b64 v[4:5], s16, v[30:31]
	s_add_u32 s16, s16, 8
	s_addc_u32 s17, s17, 0
	v_or_b32_e32 v18, v4, v18
	s_cmp_lg_u32 s21, s18
	v_or_b32_e32 v19, v5, v19
	s_cbranch_scc1 .LBB3_178
	s_branch .LBB3_181
.LBB3_179:                              ;   in Loop: Header=BB3_144 Depth=1
                                        ; implicit-def: $sgpr20
	s_branch .LBB3_182
.LBB3_180:                              ;   in Loop: Header=BB3_144 Depth=1
	v_pk_mov_b32 v[18:19], 0, 0
.LBB3_181:                              ;   in Loop: Header=BB3_144 Depth=1
	s_mov_b32 s20, 0
	s_cbranch_execnz .LBB3_183
.LBB3_182:                              ;   in Loop: Header=BB3_144 Depth=1
	global_load_dwordx2 v[18:19], v31, s[4:5]
	s_add_i32 s20, s21, -8
	s_add_u32 s4, s4, 8
	s_addc_u32 s5, s5, 0
.LBB3_183:                              ;   in Loop: Header=BB3_144 Depth=1
	s_cmp_gt_u32 s20, 7
	s_cbranch_scc1 .LBB3_187
; %bb.184:                              ;   in Loop: Header=BB3_144 Depth=1
	s_cmp_eq_u32 s20, 0
	s_cbranch_scc1 .LBB3_188
; %bb.185:                              ;   in Loop: Header=BB3_144 Depth=1
	s_mov_b64 s[16:17], 0
	v_pk_mov_b32 v[20:21], 0, 0
	s_mov_b64 s[18:19], 0
.LBB3_186:                              ;   Parent Loop BB3_144 Depth=1
                                        ; =>  This Inner Loop Header: Depth=2
	s_add_u32 s22, s4, s18
	s_addc_u32 s23, s5, s19
	global_load_ubyte v4, v31, s[22:23]
	s_add_u32 s18, s18, 1
	s_addc_u32 s19, s19, 0
	s_waitcnt vmcnt(0)
	v_and_b32_e32 v30, 0xffff, v4
	v_lshlrev_b64 v[4:5], s16, v[30:31]
	s_add_u32 s16, s16, 8
	s_addc_u32 s17, s17, 0
	v_or_b32_e32 v20, v4, v20
	s_cmp_lg_u32 s20, s18
	v_or_b32_e32 v21, v5, v21
	s_cbranch_scc1 .LBB3_186
	s_branch .LBB3_189
.LBB3_187:                              ;   in Loop: Header=BB3_144 Depth=1
                                        ; implicit-def: $vgpr20_vgpr21
                                        ; implicit-def: $sgpr21
	s_branch .LBB3_190
.LBB3_188:                              ;   in Loop: Header=BB3_144 Depth=1
	v_pk_mov_b32 v[20:21], 0, 0
.LBB3_189:                              ;   in Loop: Header=BB3_144 Depth=1
	s_mov_b32 s21, 0
	s_cbranch_execnz .LBB3_191
.LBB3_190:                              ;   in Loop: Header=BB3_144 Depth=1
	global_load_dwordx2 v[20:21], v31, s[4:5]
	s_add_i32 s21, s20, -8
	s_add_u32 s4, s4, 8
	s_addc_u32 s5, s5, 0
.LBB3_191:                              ;   in Loop: Header=BB3_144 Depth=1
	s_cmp_gt_u32 s21, 7
	s_cbranch_scc1 .LBB3_195
; %bb.192:                              ;   in Loop: Header=BB3_144 Depth=1
	s_cmp_eq_u32 s21, 0
	s_cbranch_scc1 .LBB3_196
; %bb.193:                              ;   in Loop: Header=BB3_144 Depth=1
	s_mov_b64 s[16:17], 0
	v_pk_mov_b32 v[22:23], 0, 0
	s_mov_b64 s[18:19], s[4:5]
.LBB3_194:                              ;   Parent Loop BB3_144 Depth=1
                                        ; =>  This Inner Loop Header: Depth=2
	global_load_ubyte v4, v31, s[18:19]
	s_add_i32 s21, s21, -1
	s_waitcnt vmcnt(0)
	v_and_b32_e32 v30, 0xffff, v4
	v_lshlrev_b64 v[4:5], s16, v[30:31]
	s_add_u32 s16, s16, 8
	s_addc_u32 s17, s17, 0
	s_add_u32 s18, s18, 1
	s_addc_u32 s19, s19, 0
	v_or_b32_e32 v22, v4, v22
	s_cmp_lg_u32 s21, 0
	v_or_b32_e32 v23, v5, v23
	s_cbranch_scc1 .LBB3_194
	s_branch .LBB3_197
.LBB3_195:                              ;   in Loop: Header=BB3_144 Depth=1
	s_branch .LBB3_198
.LBB3_196:                              ;   in Loop: Header=BB3_144 Depth=1
	v_pk_mov_b32 v[22:23], 0, 0
.LBB3_197:                              ;   in Loop: Header=BB3_144 Depth=1
	s_cbranch_execnz .LBB3_199
.LBB3_198:                              ;   in Loop: Header=BB3_144 Depth=1
	global_load_dwordx2 v[22:23], v31, s[4:5]
.LBB3_199:                              ;   in Loop: Header=BB3_144 Depth=1
	v_readfirstlane_b32 s4, v35
	v_cmp_eq_u32_e64 s[4:5], s4, v35
	s_waitcnt vmcnt(0)
	v_pk_mov_b32 v[4:5], 0, 0
	s_and_saveexec_b64 s[16:17], s[4:5]
	s_cbranch_execz .LBB3_205
; %bb.200:                              ;   in Loop: Header=BB3_144 Depth=1
	global_load_dwordx2 v[26:27], v31, s[6:7] offset:24 glc
	s_waitcnt vmcnt(0)
	buffer_invl2
	buffer_wbinvl1_vol
	global_load_dwordx2 v[4:5], v31, s[6:7] offset:40
	global_load_dwordx2 v[8:9], v31, s[6:7]
	s_waitcnt vmcnt(1)
	v_and_b32_e32 v4, v4, v26
	v_and_b32_e32 v5, v5, v27
	v_mul_lo_u32 v5, v5, 24
	v_mul_hi_u32 v24, v4, 24
	v_mul_lo_u32 v4, v4, 24
	v_add_u32_e32 v5, v24, v5
	s_waitcnt vmcnt(0)
	v_add_co_u32_e32 v4, vcc, v8, v4
	v_addc_co_u32_e32 v5, vcc, v9, v5, vcc
	global_load_dwordx2 v[24:25], v[4:5], off glc
	s_waitcnt vmcnt(0)
	global_atomic_cmpswap_x2 v[4:5], v31, v[24:27], s[6:7] offset:24 glc
	s_waitcnt vmcnt(0)
	buffer_invl2
	buffer_wbinvl1_vol
	v_cmp_ne_u64_e32 vcc, v[4:5], v[26:27]
	s_and_saveexec_b64 s[18:19], vcc
	s_cbranch_execz .LBB3_204
; %bb.201:                              ;   in Loop: Header=BB3_144 Depth=1
	s_mov_b64 s[20:21], 0
.LBB3_202:                              ;   Parent Loop BB3_144 Depth=1
                                        ; =>  This Inner Loop Header: Depth=2
	s_sleep 1
	global_load_dwordx2 v[8:9], v31, s[6:7] offset:40
	global_load_dwordx2 v[24:25], v31, s[6:7]
	v_pk_mov_b32 v[26:27], v[4:5], v[4:5] op_sel:[0,1]
	s_waitcnt vmcnt(1)
	v_and_b32_e32 v4, v8, v26
	s_waitcnt vmcnt(0)
	v_mad_u64_u32 v[4:5], s[22:23], v4, 24, v[24:25]
	v_and_b32_e32 v9, v9, v27
	v_mov_b32_e32 v8, v5
	v_mad_u64_u32 v[8:9], s[22:23], v9, 24, v[8:9]
	v_mov_b32_e32 v5, v8
	global_load_dwordx2 v[24:25], v[4:5], off glc
	s_waitcnt vmcnt(0)
	global_atomic_cmpswap_x2 v[4:5], v31, v[24:27], s[6:7] offset:24 glc
	s_waitcnt vmcnt(0)
	buffer_invl2
	buffer_wbinvl1_vol
	v_cmp_eq_u64_e32 vcc, v[4:5], v[26:27]
	s_or_b64 s[20:21], vcc, s[20:21]
	s_andn2_b64 exec, exec, s[20:21]
	s_cbranch_execnz .LBB3_202
; %bb.203:                              ;   in Loop: Header=BB3_144 Depth=1
	s_or_b64 exec, exec, s[20:21]
.LBB3_204:                              ;   in Loop: Header=BB3_144 Depth=1
	s_or_b64 exec, exec, s[18:19]
.LBB3_205:                              ;   in Loop: Header=BB3_144 Depth=1
	s_or_b64 exec, exec, s[16:17]
	global_load_dwordx2 v[8:9], v31, s[6:7] offset:40
	global_load_dwordx4 v[24:27], v31, s[6:7]
	v_readfirstlane_b32 s16, v4
	v_readfirstlane_b32 s17, v5
	s_mov_b64 s[18:19], exec
	s_waitcnt vmcnt(1)
	v_readfirstlane_b32 s20, v8
	v_readfirstlane_b32 s21, v9
	s_and_b64 s[20:21], s[16:17], s[20:21]
	s_mul_i32 s22, s21, 24
	s_mul_hi_u32 s23, s20, 24
	s_mul_i32 s24, s20, 24
	s_add_i32 s22, s23, s22
	v_mov_b32_e32 v4, s22
	s_waitcnt vmcnt(0)
	v_add_co_u32_e32 v32, vcc, s24, v24
	v_addc_co_u32_e32 v33, vcc, v25, v4, vcc
	s_and_saveexec_b64 s[22:23], s[4:5]
	s_cbranch_execz .LBB3_207
; %bb.206:                              ;   in Loop: Header=BB3_144 Depth=1
	v_pk_mov_b32 v[4:5], s[18:19], s[18:19] op_sel:[0,1]
	global_store_dwordx4 v[32:33], v[4:7], off offset:8
.LBB3_207:                              ;   in Loop: Header=BB3_144 Depth=1
	s_or_b64 exec, exec, s[22:23]
	s_lshl_b64 s[18:19], s[20:21], 12
	v_mov_b32_e32 v4, s19
	v_add_co_u32_e32 v26, vcc, s18, v26
	v_addc_co_u32_e32 v27, vcc, v27, v4, vcc
	v_or_b32_e32 v5, v2, v28
	v_cmp_gt_u64_e64 vcc, s[10:11], 56
	s_lshl_b32 s18, s14, 2
	v_cndmask_b32_e32 v2, v5, v2, vcc
	s_add_i32 s18, s18, 28
	v_or_b32_e32 v4, 0, v3
	s_and_b32 s18, s18, 0x1e0
	v_and_b32_e32 v2, 0xffffff1f, v2
	v_cndmask_b32_e32 v9, v4, v3, vcc
	v_or_b32_e32 v8, s18, v2
	v_readfirstlane_b32 s18, v26
	v_readfirstlane_b32 s19, v27
	s_nop 4
	global_store_dwordx4 v34, v[8:11], s[18:19]
	global_store_dwordx4 v34, v[12:15], s[18:19] offset:16
	global_store_dwordx4 v34, v[16:19], s[18:19] offset:32
	;; [unrolled: 1-line block ×3, first 2 shown]
	s_and_saveexec_b64 s[18:19], s[4:5]
	s_cbranch_execz .LBB3_215
; %bb.208:                              ;   in Loop: Header=BB3_144 Depth=1
	global_load_dwordx2 v[12:13], v31, s[6:7] offset:32 glc
	global_load_dwordx2 v[2:3], v31, s[6:7] offset:40
	v_mov_b32_e32 v10, s16
	v_mov_b32_e32 v11, s17
	s_waitcnt vmcnt(0)
	v_readfirstlane_b32 s20, v2
	v_readfirstlane_b32 s21, v3
	s_and_b64 s[20:21], s[20:21], s[16:17]
	s_mul_i32 s21, s21, 24
	s_mul_hi_u32 s22, s20, 24
	s_mul_i32 s20, s20, 24
	s_add_i32 s21, s22, s21
	v_mov_b32_e32 v2, s21
	v_add_co_u32_e32 v8, vcc, s20, v24
	v_addc_co_u32_e32 v9, vcc, v25, v2, vcc
	global_store_dwordx2 v[8:9], v[12:13], off
	buffer_wbl2
	s_waitcnt vmcnt(0)
	global_atomic_cmpswap_x2 v[4:5], v31, v[10:13], s[6:7] offset:32 glc
	s_waitcnt vmcnt(0)
	v_cmp_ne_u64_e32 vcc, v[4:5], v[12:13]
	s_and_saveexec_b64 s[20:21], vcc
	s_cbranch_execz .LBB3_211
; %bb.209:                              ;   in Loop: Header=BB3_144 Depth=1
	s_mov_b64 s[22:23], 0
.LBB3_210:                              ;   Parent Loop BB3_144 Depth=1
                                        ; =>  This Inner Loop Header: Depth=2
	s_sleep 1
	global_store_dwordx2 v[8:9], v[4:5], off
	v_mov_b32_e32 v2, s16
	v_mov_b32_e32 v3, s17
	buffer_wbl2
	s_waitcnt vmcnt(0)
	global_atomic_cmpswap_x2 v[2:3], v31, v[2:5], s[6:7] offset:32 glc
	s_waitcnt vmcnt(0)
	v_cmp_eq_u64_e32 vcc, v[2:3], v[4:5]
	s_or_b64 s[22:23], vcc, s[22:23]
	v_pk_mov_b32 v[4:5], v[2:3], v[2:3] op_sel:[0,1]
	s_andn2_b64 exec, exec, s[22:23]
	s_cbranch_execnz .LBB3_210
.LBB3_211:                              ;   in Loop: Header=BB3_144 Depth=1
	s_or_b64 exec, exec, s[20:21]
	global_load_dwordx2 v[2:3], v31, s[6:7] offset:16
	s_mov_b64 s[22:23], exec
	v_mbcnt_lo_u32_b32 v4, s22, 0
	v_mbcnt_hi_u32_b32 v4, s23, v4
	v_cmp_eq_u32_e32 vcc, 0, v4
	s_and_saveexec_b64 s[20:21], vcc
	s_cbranch_execz .LBB3_213
; %bb.212:                              ;   in Loop: Header=BB3_144 Depth=1
	s_bcnt1_i32_b64 s22, s[22:23]
	v_mov_b32_e32 v30, s22
	buffer_wbl2
	s_waitcnt vmcnt(0)
	global_atomic_add_x2 v[2:3], v[30:31], off offset:8
.LBB3_213:                              ;   in Loop: Header=BB3_144 Depth=1
	s_or_b64 exec, exec, s[20:21]
	s_waitcnt vmcnt(0)
	global_load_dwordx2 v[4:5], v[2:3], off offset:16
	s_waitcnt vmcnt(0)
	v_cmp_eq_u64_e32 vcc, 0, v[4:5]
	s_cbranch_vccnz .LBB3_215
; %bb.214:                              ;   in Loop: Header=BB3_144 Depth=1
	global_load_dword v30, v[2:3], off offset:24
	s_waitcnt vmcnt(0)
	v_and_b32_e32 v2, 0xffffff, v30
	v_readfirstlane_b32 m0, v2
	buffer_wbl2
	global_store_dwordx2 v[4:5], v[30:31], off
	s_sendmsg sendmsg(MSG_INTERRUPT)
.LBB3_215:                              ;   in Loop: Header=BB3_144 Depth=1
	s_or_b64 exec, exec, s[18:19]
	v_add_co_u32_e32 v2, vcc, v26, v34
	v_addc_co_u32_e32 v3, vcc, 0, v27, vcc
	s_branch .LBB3_219
.LBB3_216:                              ;   in Loop: Header=BB3_219 Depth=2
	s_or_b64 exec, exec, s[18:19]
	v_readfirstlane_b32 s18, v4
	s_cmp_eq_u32 s18, 0
	s_cbranch_scc1 .LBB3_218
; %bb.217:                              ;   in Loop: Header=BB3_219 Depth=2
	s_sleep 1
	s_cbranch_execnz .LBB3_219
	s_branch .LBB3_221
.LBB3_218:                              ;   in Loop: Header=BB3_144 Depth=1
	s_branch .LBB3_221
.LBB3_219:                              ;   Parent Loop BB3_144 Depth=1
                                        ; =>  This Inner Loop Header: Depth=2
	v_mov_b32_e32 v4, 1
	s_and_saveexec_b64 s[18:19], s[4:5]
	s_cbranch_execz .LBB3_216
; %bb.220:                              ;   in Loop: Header=BB3_219 Depth=2
	global_load_dword v4, v[32:33], off offset:20 glc
	s_waitcnt vmcnt(0)
	buffer_invl2
	buffer_wbinvl1_vol
	v_and_b32_e32 v4, 1, v4
	s_branch .LBB3_216
.LBB3_221:                              ;   in Loop: Header=BB3_144 Depth=1
	global_load_dwordx4 v[2:5], v[2:3], off
	s_and_saveexec_b64 s[18:19], s[4:5]
	s_cbranch_execz .LBB3_143
; %bb.222:                              ;   in Loop: Header=BB3_144 Depth=1
	global_load_dwordx2 v[4:5], v31, s[6:7] offset:40
	global_load_dwordx2 v[12:13], v31, s[6:7] offset:24 glc
	global_load_dwordx2 v[14:15], v31, s[6:7]
	v_mov_b32_e32 v9, s17
	s_waitcnt vmcnt(2)
	v_add_co_u32_e32 v11, vcc, 1, v4
	v_addc_co_u32_e32 v16, vcc, 0, v5, vcc
	v_add_co_u32_e32 v8, vcc, s16, v11
	v_addc_co_u32_e32 v9, vcc, v16, v9, vcc
	v_cmp_eq_u64_e32 vcc, 0, v[8:9]
	v_cndmask_b32_e32 v9, v9, v16, vcc
	v_cndmask_b32_e32 v8, v8, v11, vcc
	v_and_b32_e32 v5, v9, v5
	v_and_b32_e32 v4, v8, v4
	v_mul_lo_u32 v5, v5, 24
	v_mul_hi_u32 v11, v4, 24
	v_mul_lo_u32 v4, v4, 24
	v_add_u32_e32 v5, v11, v5
	s_waitcnt vmcnt(0)
	v_add_co_u32_e32 v4, vcc, v14, v4
	v_addc_co_u32_e32 v5, vcc, v15, v5, vcc
	v_mov_b32_e32 v10, v12
	global_store_dwordx2 v[4:5], v[12:13], off
	v_mov_b32_e32 v11, v13
	buffer_wbl2
	s_waitcnt vmcnt(0)
	global_atomic_cmpswap_x2 v[10:11], v31, v[8:11], s[6:7] offset:24 glc
	s_waitcnt vmcnt(0)
	v_cmp_ne_u64_e32 vcc, v[10:11], v[12:13]
	s_and_b64 exec, exec, vcc
	s_cbranch_execz .LBB3_143
; %bb.223:                              ;   in Loop: Header=BB3_144 Depth=1
	s_mov_b64 s[4:5], 0
.LBB3_224:                              ;   Parent Loop BB3_144 Depth=1
                                        ; =>  This Inner Loop Header: Depth=2
	s_sleep 1
	global_store_dwordx2 v[4:5], v[10:11], off
	buffer_wbl2
	s_waitcnt vmcnt(0)
	global_atomic_cmpswap_x2 v[12:13], v31, v[8:11], s[6:7] offset:24 glc
	s_waitcnt vmcnt(0)
	v_cmp_eq_u64_e32 vcc, v[12:13], v[10:11]
	s_or_b64 s[4:5], vcc, s[4:5]
	v_pk_mov_b32 v[10:11], v[12:13], v[12:13] op_sel:[0,1]
	s_andn2_b64 exec, exec, s[4:5]
	s_cbranch_execnz .LBB3_224
	s_branch .LBB3_143
.LBB3_225:
                                        ; implicit-def: $vgpr2_vgpr3
	s_cbranch_execnz .LBB3_227
	s_branch .LBB3_253
.LBB3_226:
	s_branch .LBB3_253
.LBB3_227:
	v_readfirstlane_b32 s4, v35
	v_cmp_eq_u32_e64 s[4:5], s4, v35
	v_pk_mov_b32 v[8:9], 0, 0
	s_and_saveexec_b64 s[10:11], s[4:5]
	s_cbranch_execz .LBB3_233
; %bb.228:
	s_waitcnt vmcnt(0)
	v_mov_b32_e32 v2, 0
	global_load_dwordx2 v[6:7], v2, s[6:7] offset:24 glc
	s_waitcnt vmcnt(0)
	buffer_invl2
	buffer_wbinvl1_vol
	global_load_dwordx2 v[4:5], v2, s[6:7] offset:40
	global_load_dwordx2 v[8:9], v2, s[6:7]
	s_waitcnt vmcnt(1)
	v_and_b32_e32 v3, v4, v6
	v_and_b32_e32 v4, v5, v7
	v_mul_lo_u32 v4, v4, 24
	v_mul_hi_u32 v5, v3, 24
	v_mul_lo_u32 v3, v3, 24
	v_add_u32_e32 v5, v5, v4
	s_waitcnt vmcnt(0)
	v_add_co_u32_e32 v4, vcc, v8, v3
	v_addc_co_u32_e32 v5, vcc, v9, v5, vcc
	global_load_dwordx2 v[4:5], v[4:5], off glc
	s_waitcnt vmcnt(0)
	global_atomic_cmpswap_x2 v[8:9], v2, v[4:7], s[6:7] offset:24 glc
	s_waitcnt vmcnt(0)
	buffer_invl2
	buffer_wbinvl1_vol
	v_cmp_ne_u64_e32 vcc, v[8:9], v[6:7]
	s_and_saveexec_b64 s[12:13], vcc
	s_cbranch_execz .LBB3_232
; %bb.229:
	s_mov_b64 s[14:15], 0
.LBB3_230:                              ; =>This Inner Loop Header: Depth=1
	s_sleep 1
	global_load_dwordx2 v[4:5], v2, s[6:7] offset:40
	global_load_dwordx2 v[10:11], v2, s[6:7]
	v_pk_mov_b32 v[6:7], v[8:9], v[8:9] op_sel:[0,1]
	s_waitcnt vmcnt(1)
	v_and_b32_e32 v4, v4, v6
	v_and_b32_e32 v3, v5, v7
	s_waitcnt vmcnt(0)
	v_mad_u64_u32 v[4:5], s[16:17], v4, 24, v[10:11]
	v_mov_b32_e32 v8, v5
	v_mad_u64_u32 v[8:9], s[16:17], v3, 24, v[8:9]
	v_mov_b32_e32 v5, v8
	global_load_dwordx2 v[4:5], v[4:5], off glc
	s_waitcnt vmcnt(0)
	global_atomic_cmpswap_x2 v[8:9], v2, v[4:7], s[6:7] offset:24 glc
	s_waitcnt vmcnt(0)
	buffer_invl2
	buffer_wbinvl1_vol
	v_cmp_eq_u64_e32 vcc, v[8:9], v[6:7]
	s_or_b64 s[14:15], vcc, s[14:15]
	s_andn2_b64 exec, exec, s[14:15]
	s_cbranch_execnz .LBB3_230
; %bb.231:
	s_or_b64 exec, exec, s[14:15]
.LBB3_232:
	s_or_b64 exec, exec, s[12:13]
.LBB3_233:
	s_or_b64 exec, exec, s[10:11]
	s_waitcnt vmcnt(0)
	v_mov_b32_e32 v2, 0
	global_load_dwordx2 v[10:11], v2, s[6:7] offset:40
	global_load_dwordx4 v[4:7], v2, s[6:7]
	v_readfirstlane_b32 s10, v8
	v_readfirstlane_b32 s11, v9
	s_mov_b64 s[12:13], exec
	s_waitcnt vmcnt(1)
	v_readfirstlane_b32 s14, v10
	v_readfirstlane_b32 s15, v11
	s_and_b64 s[14:15], s[10:11], s[14:15]
	s_mul_i32 s16, s15, 24
	s_mul_hi_u32 s17, s14, 24
	s_mul_i32 s18, s14, 24
	s_add_i32 s16, s17, s16
	v_mov_b32_e32 v3, s16
	s_waitcnt vmcnt(0)
	v_add_co_u32_e32 v8, vcc, s18, v4
	v_addc_co_u32_e32 v9, vcc, v5, v3, vcc
	s_and_saveexec_b64 s[16:17], s[4:5]
	s_cbranch_execz .LBB3_235
; %bb.234:
	v_pk_mov_b32 v[10:11], s[12:13], s[12:13] op_sel:[0,1]
	v_mov_b32_e32 v12, 2
	v_mov_b32_e32 v13, 1
	global_store_dwordx4 v[8:9], v[10:13], off offset:8
.LBB3_235:
	s_or_b64 exec, exec, s[16:17]
	s_lshl_b64 s[12:13], s[14:15], 12
	v_mov_b32_e32 v3, s13
	v_add_co_u32_e32 v10, vcc, s12, v6
	s_movk_i32 s12, 0xff1f
	v_addc_co_u32_e32 v11, vcc, v7, v3, vcc
	v_and_or_b32 v0, v0, s12, 32
	s_mov_b32 s12, 0
	v_mov_b32_e32 v3, v2
	v_readfirstlane_b32 s16, v10
	v_readfirstlane_b32 s17, v11
	s_mov_b32 s13, s12
	v_add_co_u32_e32 v6, vcc, v10, v34
	s_mov_b32 s14, s12
	s_mov_b32 s15, s12
	s_nop 0
	global_store_dwordx4 v34, v[0:3], s[16:17]
	v_addc_co_u32_e32 v7, vcc, 0, v11, vcc
	v_pk_mov_b32 v[0:1], s[12:13], s[12:13] op_sel:[0,1]
	v_pk_mov_b32 v[2:3], s[14:15], s[14:15] op_sel:[0,1]
	global_store_dwordx4 v34, v[0:3], s[16:17] offset:16
	global_store_dwordx4 v34, v[0:3], s[16:17] offset:32
	;; [unrolled: 1-line block ×3, first 2 shown]
	s_and_saveexec_b64 s[12:13], s[4:5]
	s_cbranch_execz .LBB3_243
; %bb.236:
	v_mov_b32_e32 v10, 0
	global_load_dwordx2 v[14:15], v10, s[6:7] offset:32 glc
	global_load_dwordx2 v[0:1], v10, s[6:7] offset:40
	v_mov_b32_e32 v12, s10
	v_mov_b32_e32 v13, s11
	s_waitcnt vmcnt(0)
	v_readfirstlane_b32 s14, v0
	v_readfirstlane_b32 s15, v1
	s_and_b64 s[14:15], s[14:15], s[10:11]
	s_mul_i32 s15, s15, 24
	s_mul_hi_u32 s16, s14, 24
	s_mul_i32 s14, s14, 24
	s_add_i32 s15, s16, s15
	v_mov_b32_e32 v0, s15
	v_add_co_u32_e32 v4, vcc, s14, v4
	v_addc_co_u32_e32 v5, vcc, v5, v0, vcc
	global_store_dwordx2 v[4:5], v[14:15], off
	buffer_wbl2
	s_waitcnt vmcnt(0)
	global_atomic_cmpswap_x2 v[2:3], v10, v[12:15], s[6:7] offset:32 glc
	s_waitcnt vmcnt(0)
	v_cmp_ne_u64_e32 vcc, v[2:3], v[14:15]
	s_and_saveexec_b64 s[14:15], vcc
	s_cbranch_execz .LBB3_239
; %bb.237:
	s_mov_b64 s[16:17], 0
.LBB3_238:                              ; =>This Inner Loop Header: Depth=1
	s_sleep 1
	global_store_dwordx2 v[4:5], v[2:3], off
	v_mov_b32_e32 v0, s10
	v_mov_b32_e32 v1, s11
	buffer_wbl2
	s_waitcnt vmcnt(0)
	global_atomic_cmpswap_x2 v[0:1], v10, v[0:3], s[6:7] offset:32 glc
	s_waitcnt vmcnt(0)
	v_cmp_eq_u64_e32 vcc, v[0:1], v[2:3]
	s_or_b64 s[16:17], vcc, s[16:17]
	v_pk_mov_b32 v[2:3], v[0:1], v[0:1] op_sel:[0,1]
	s_andn2_b64 exec, exec, s[16:17]
	s_cbranch_execnz .LBB3_238
.LBB3_239:
	s_or_b64 exec, exec, s[14:15]
	v_mov_b32_e32 v3, 0
	global_load_dwordx2 v[0:1], v3, s[6:7] offset:16
	s_mov_b64 s[14:15], exec
	v_mbcnt_lo_u32_b32 v2, s14, 0
	v_mbcnt_hi_u32_b32 v2, s15, v2
	v_cmp_eq_u32_e32 vcc, 0, v2
	s_and_saveexec_b64 s[16:17], vcc
	s_cbranch_execz .LBB3_241
; %bb.240:
	s_bcnt1_i32_b64 s14, s[14:15]
	v_mov_b32_e32 v2, s14
	buffer_wbl2
	s_waitcnt vmcnt(0)
	global_atomic_add_x2 v[0:1], v[2:3], off offset:8
.LBB3_241:
	s_or_b64 exec, exec, s[16:17]
	s_waitcnt vmcnt(0)
	global_load_dwordx2 v[2:3], v[0:1], off offset:16
	s_waitcnt vmcnt(0)
	v_cmp_eq_u64_e32 vcc, 0, v[2:3]
	s_cbranch_vccnz .LBB3_243
; %bb.242:
	global_load_dword v0, v[0:1], off offset:24
	v_mov_b32_e32 v1, 0
	buffer_wbl2
	s_waitcnt vmcnt(0)
	global_store_dwordx2 v[2:3], v[0:1], off
	v_and_b32_e32 v0, 0xffffff, v0
	v_readfirstlane_b32 m0, v0
	s_sendmsg sendmsg(MSG_INTERRUPT)
.LBB3_243:
	s_or_b64 exec, exec, s[12:13]
	s_branch .LBB3_247
.LBB3_244:                              ;   in Loop: Header=BB3_247 Depth=1
	s_or_b64 exec, exec, s[12:13]
	v_readfirstlane_b32 s12, v0
	s_cmp_eq_u32 s12, 0
	s_cbranch_scc1 .LBB3_246
; %bb.245:                              ;   in Loop: Header=BB3_247 Depth=1
	s_sleep 1
	s_cbranch_execnz .LBB3_247
	s_branch .LBB3_249
.LBB3_246:
	s_branch .LBB3_249
.LBB3_247:                              ; =>This Inner Loop Header: Depth=1
	v_mov_b32_e32 v0, 1
	s_and_saveexec_b64 s[12:13], s[4:5]
	s_cbranch_execz .LBB3_244
; %bb.248:                              ;   in Loop: Header=BB3_247 Depth=1
	global_load_dword v0, v[8:9], off offset:20 glc
	s_waitcnt vmcnt(0)
	buffer_invl2
	buffer_wbinvl1_vol
	v_and_b32_e32 v0, 1, v0
	s_branch .LBB3_244
.LBB3_249:
	global_load_dwordx2 v[2:3], v[6:7], off
	s_and_saveexec_b64 s[12:13], s[4:5]
	s_cbranch_execz .LBB3_252
; %bb.250:
	v_mov_b32_e32 v8, 0
	global_load_dwordx2 v[0:1], v8, s[6:7] offset:40
	global_load_dwordx2 v[10:11], v8, s[6:7] offset:24 glc
	global_load_dwordx2 v[12:13], v8, s[6:7]
	v_mov_b32_e32 v5, s11
	s_mov_b64 s[4:5], 0
	s_waitcnt vmcnt(2)
	v_add_co_u32_e32 v7, vcc, 1, v0
	v_addc_co_u32_e32 v9, vcc, 0, v1, vcc
	v_add_co_u32_e32 v4, vcc, s10, v7
	v_addc_co_u32_e32 v5, vcc, v9, v5, vcc
	v_cmp_eq_u64_e32 vcc, 0, v[4:5]
	v_cndmask_b32_e32 v5, v5, v9, vcc
	v_cndmask_b32_e32 v4, v4, v7, vcc
	v_and_b32_e32 v1, v5, v1
	v_and_b32_e32 v0, v4, v0
	v_mul_lo_u32 v1, v1, 24
	v_mul_hi_u32 v7, v0, 24
	v_mul_lo_u32 v0, v0, 24
	v_add_u32_e32 v1, v7, v1
	s_waitcnt vmcnt(0)
	v_add_co_u32_e32 v0, vcc, v12, v0
	v_addc_co_u32_e32 v1, vcc, v13, v1, vcc
	v_mov_b32_e32 v6, v10
	global_store_dwordx2 v[0:1], v[10:11], off
	v_mov_b32_e32 v7, v11
	buffer_wbl2
	s_waitcnt vmcnt(0)
	global_atomic_cmpswap_x2 v[6:7], v8, v[4:7], s[6:7] offset:24 glc
	s_waitcnt vmcnt(0)
	v_cmp_ne_u64_e32 vcc, v[6:7], v[10:11]
	s_and_b64 exec, exec, vcc
	s_cbranch_execz .LBB3_252
.LBB3_251:                              ; =>This Inner Loop Header: Depth=1
	s_sleep 1
	global_store_dwordx2 v[0:1], v[6:7], off
	buffer_wbl2
	s_waitcnt vmcnt(0)
	global_atomic_cmpswap_x2 v[10:11], v8, v[4:7], s[6:7] offset:24 glc
	s_waitcnt vmcnt(0)
	v_cmp_eq_u64_e32 vcc, v[10:11], v[6:7]
	s_or_b64 s[4:5], vcc, s[4:5]
	v_pk_mov_b32 v[6:7], v[10:11], v[10:11] op_sel:[0,1]
	s_andn2_b64 exec, exec, s[4:5]
	s_cbranch_execnz .LBB3_251
.LBB3_252:
	s_or_b64 exec, exec, s[12:13]
.LBB3_253:
	v_readfirstlane_b32 s4, v35
	v_cmp_eq_u32_e64 s[4:5], s4, v35
	s_waitcnt vmcnt(0)
	v_pk_mov_b32 v[0:1], 0, 0
	s_and_saveexec_b64 s[10:11], s[4:5]
	s_cbranch_execz .LBB3_259
; %bb.254:
	v_mov_b32_e32 v4, 0
	global_load_dwordx2 v[8:9], v4, s[6:7] offset:24 glc
	s_waitcnt vmcnt(0)
	buffer_invl2
	buffer_wbinvl1_vol
	global_load_dwordx2 v[0:1], v4, s[6:7] offset:40
	global_load_dwordx2 v[6:7], v4, s[6:7]
	s_waitcnt vmcnt(1)
	v_and_b32_e32 v0, v0, v8
	v_and_b32_e32 v1, v1, v9
	v_mul_lo_u32 v1, v1, 24
	v_mul_hi_u32 v5, v0, 24
	v_mul_lo_u32 v0, v0, 24
	v_add_u32_e32 v1, v5, v1
	s_waitcnt vmcnt(0)
	v_add_co_u32_e32 v0, vcc, v6, v0
	v_addc_co_u32_e32 v1, vcc, v7, v1, vcc
	global_load_dwordx2 v[6:7], v[0:1], off glc
	s_waitcnt vmcnt(0)
	global_atomic_cmpswap_x2 v[0:1], v4, v[6:9], s[6:7] offset:24 glc
	s_waitcnt vmcnt(0)
	buffer_invl2
	buffer_wbinvl1_vol
	v_cmp_ne_u64_e32 vcc, v[0:1], v[8:9]
	s_and_saveexec_b64 s[12:13], vcc
	s_cbranch_execz .LBB3_258
; %bb.255:
	s_mov_b64 s[14:15], 0
.LBB3_256:                              ; =>This Inner Loop Header: Depth=1
	s_sleep 1
	global_load_dwordx2 v[6:7], v4, s[6:7] offset:40
	global_load_dwordx2 v[10:11], v4, s[6:7]
	v_pk_mov_b32 v[8:9], v[0:1], v[0:1] op_sel:[0,1]
	s_waitcnt vmcnt(1)
	v_and_b32_e32 v0, v6, v8
	s_waitcnt vmcnt(0)
	v_mad_u64_u32 v[0:1], s[16:17], v0, 24, v[10:11]
	v_and_b32_e32 v5, v7, v9
	v_mov_b32_e32 v6, v1
	v_mad_u64_u32 v[6:7], s[16:17], v5, 24, v[6:7]
	v_mov_b32_e32 v1, v6
	global_load_dwordx2 v[6:7], v[0:1], off glc
	s_waitcnt vmcnt(0)
	global_atomic_cmpswap_x2 v[0:1], v4, v[6:9], s[6:7] offset:24 glc
	s_waitcnt vmcnt(0)
	buffer_invl2
	buffer_wbinvl1_vol
	v_cmp_eq_u64_e32 vcc, v[0:1], v[8:9]
	s_or_b64 s[14:15], vcc, s[14:15]
	s_andn2_b64 exec, exec, s[14:15]
	s_cbranch_execnz .LBB3_256
; %bb.257:
	s_or_b64 exec, exec, s[14:15]
.LBB3_258:
	s_or_b64 exec, exec, s[12:13]
.LBB3_259:
	s_or_b64 exec, exec, s[10:11]
	v_mov_b32_e32 v5, 0
	global_load_dwordx2 v[10:11], v5, s[6:7] offset:40
	global_load_dwordx4 v[6:9], v5, s[6:7]
	v_readfirstlane_b32 s10, v0
	v_readfirstlane_b32 s11, v1
	s_mov_b64 s[12:13], exec
	s_waitcnt vmcnt(1)
	v_readfirstlane_b32 s14, v10
	v_readfirstlane_b32 s15, v11
	s_and_b64 s[14:15], s[10:11], s[14:15]
	s_mul_i32 s16, s15, 24
	s_mul_hi_u32 s17, s14, 24
	s_mul_i32 s18, s14, 24
	s_add_i32 s16, s17, s16
	v_mov_b32_e32 v0, s16
	s_waitcnt vmcnt(0)
	v_add_co_u32_e32 v10, vcc, s18, v6
	v_addc_co_u32_e32 v11, vcc, v7, v0, vcc
	s_and_saveexec_b64 s[16:17], s[4:5]
	s_cbranch_execz .LBB3_261
; %bb.260:
	v_pk_mov_b32 v[12:13], s[12:13], s[12:13] op_sel:[0,1]
	v_mov_b32_e32 v14, 2
	v_mov_b32_e32 v15, 1
	global_store_dwordx4 v[10:11], v[12:15], off offset:8
.LBB3_261:
	s_or_b64 exec, exec, s[16:17]
	s_lshl_b64 s[12:13], s[14:15], 12
	v_mov_b32_e32 v1, s13
	v_add_co_u32_e32 v0, vcc, s12, v8
	s_movk_i32 s12, 0xff1f
	v_addc_co_u32_e32 v1, vcc, v9, v1, vcc
	v_and_or_b32 v2, v2, s12, 32
	s_mov_b32 s12, 0
	v_add_co_u32_e32 v8, vcc, v0, v34
	v_mov_b32_e32 v4, 0x6cc
	v_readfirstlane_b32 s16, v0
	v_readfirstlane_b32 s17, v1
	s_mov_b32 s13, s12
	v_addc_co_u32_e32 v9, vcc, 0, v1, vcc
	s_mov_b32 s14, s12
	s_mov_b32 s15, s12
	s_nop 0
	global_store_dwordx4 v34, v[2:5], s[16:17]
	v_pk_mov_b32 v[0:1], s[12:13], s[12:13] op_sel:[0,1]
	v_pk_mov_b32 v[2:3], s[14:15], s[14:15] op_sel:[0,1]
	global_store_dwordx4 v34, v[0:3], s[16:17] offset:16
	global_store_dwordx4 v34, v[0:3], s[16:17] offset:32
	;; [unrolled: 1-line block ×3, first 2 shown]
	s_and_saveexec_b64 s[12:13], s[4:5]
	s_cbranch_execz .LBB3_269
; %bb.262:
	v_mov_b32_e32 v12, 0
	global_load_dwordx2 v[16:17], v12, s[6:7] offset:32 glc
	global_load_dwordx2 v[0:1], v12, s[6:7] offset:40
	v_mov_b32_e32 v14, s10
	v_mov_b32_e32 v15, s11
	s_waitcnt vmcnt(0)
	v_readfirstlane_b32 s14, v0
	v_readfirstlane_b32 s15, v1
	s_and_b64 s[14:15], s[14:15], s[10:11]
	s_mul_i32 s15, s15, 24
	s_mul_hi_u32 s16, s14, 24
	s_mul_i32 s14, s14, 24
	s_add_i32 s15, s16, s15
	v_mov_b32_e32 v0, s15
	v_add_co_u32_e32 v4, vcc, s14, v6
	v_addc_co_u32_e32 v5, vcc, v7, v0, vcc
	global_store_dwordx2 v[4:5], v[16:17], off
	buffer_wbl2
	s_waitcnt vmcnt(0)
	global_atomic_cmpswap_x2 v[2:3], v12, v[14:17], s[6:7] offset:32 glc
	s_waitcnt vmcnt(0)
	v_cmp_ne_u64_e32 vcc, v[2:3], v[16:17]
	s_and_saveexec_b64 s[14:15], vcc
	s_cbranch_execz .LBB3_265
; %bb.263:
	s_mov_b64 s[16:17], 0
.LBB3_264:                              ; =>This Inner Loop Header: Depth=1
	s_sleep 1
	global_store_dwordx2 v[4:5], v[2:3], off
	v_mov_b32_e32 v0, s10
	v_mov_b32_e32 v1, s11
	buffer_wbl2
	s_waitcnt vmcnt(0)
	global_atomic_cmpswap_x2 v[0:1], v12, v[0:3], s[6:7] offset:32 glc
	s_waitcnt vmcnt(0)
	v_cmp_eq_u64_e32 vcc, v[0:1], v[2:3]
	s_or_b64 s[16:17], vcc, s[16:17]
	v_pk_mov_b32 v[2:3], v[0:1], v[0:1] op_sel:[0,1]
	s_andn2_b64 exec, exec, s[16:17]
	s_cbranch_execnz .LBB3_264
.LBB3_265:
	s_or_b64 exec, exec, s[14:15]
	v_mov_b32_e32 v3, 0
	global_load_dwordx2 v[0:1], v3, s[6:7] offset:16
	s_mov_b64 s[14:15], exec
	v_mbcnt_lo_u32_b32 v2, s14, 0
	v_mbcnt_hi_u32_b32 v2, s15, v2
	v_cmp_eq_u32_e32 vcc, 0, v2
	s_and_saveexec_b64 s[16:17], vcc
	s_cbranch_execz .LBB3_267
; %bb.266:
	s_bcnt1_i32_b64 s14, s[14:15]
	v_mov_b32_e32 v2, s14
	buffer_wbl2
	s_waitcnt vmcnt(0)
	global_atomic_add_x2 v[0:1], v[2:3], off offset:8
.LBB3_267:
	s_or_b64 exec, exec, s[16:17]
	s_waitcnt vmcnt(0)
	global_load_dwordx2 v[2:3], v[0:1], off offset:16
	s_waitcnt vmcnt(0)
	v_cmp_eq_u64_e32 vcc, 0, v[2:3]
	s_cbranch_vccnz .LBB3_269
; %bb.268:
	global_load_dword v0, v[0:1], off offset:24
	v_mov_b32_e32 v1, 0
	buffer_wbl2
	s_waitcnt vmcnt(0)
	global_store_dwordx2 v[2:3], v[0:1], off
	v_and_b32_e32 v0, 0xffffff, v0
	v_readfirstlane_b32 m0, v0
	s_sendmsg sendmsg(MSG_INTERRUPT)
.LBB3_269:
	s_or_b64 exec, exec, s[12:13]
	s_branch .LBB3_273
.LBB3_270:                              ;   in Loop: Header=BB3_273 Depth=1
	s_or_b64 exec, exec, s[12:13]
	v_readfirstlane_b32 s12, v0
	s_cmp_eq_u32 s12, 0
	s_cbranch_scc1 .LBB3_272
; %bb.271:                              ;   in Loop: Header=BB3_273 Depth=1
	s_sleep 1
	s_cbranch_execnz .LBB3_273
	s_branch .LBB3_275
.LBB3_272:
	s_branch .LBB3_275
.LBB3_273:                              ; =>This Inner Loop Header: Depth=1
	v_mov_b32_e32 v0, 1
	s_and_saveexec_b64 s[12:13], s[4:5]
	s_cbranch_execz .LBB3_270
; %bb.274:                              ;   in Loop: Header=BB3_273 Depth=1
	global_load_dword v0, v[10:11], off offset:20 glc
	s_waitcnt vmcnt(0)
	buffer_invl2
	buffer_wbinvl1_vol
	v_and_b32_e32 v0, 1, v0
	s_branch .LBB3_270
.LBB3_275:
	global_load_dwordx2 v[0:1], v[8:9], off
	s_and_saveexec_b64 s[12:13], s[4:5]
	s_cbranch_execz .LBB3_278
; %bb.276:
	v_mov_b32_e32 v8, 0
	global_load_dwordx2 v[6:7], v8, s[6:7] offset:40
	global_load_dwordx2 v[10:11], v8, s[6:7] offset:24 glc
	global_load_dwordx2 v[12:13], v8, s[6:7]
	v_mov_b32_e32 v3, s11
	s_mov_b64 s[4:5], 0
	s_waitcnt vmcnt(2)
	v_add_co_u32_e32 v5, vcc, 1, v6
	v_addc_co_u32_e32 v9, vcc, 0, v7, vcc
	v_add_co_u32_e32 v2, vcc, s10, v5
	v_addc_co_u32_e32 v3, vcc, v9, v3, vcc
	v_cmp_eq_u64_e32 vcc, 0, v[2:3]
	v_cndmask_b32_e32 v3, v3, v9, vcc
	v_cndmask_b32_e32 v2, v2, v5, vcc
	v_and_b32_e32 v5, v3, v7
	v_and_b32_e32 v6, v2, v6
	v_mul_lo_u32 v5, v5, 24
	v_mul_hi_u32 v7, v6, 24
	v_mul_lo_u32 v6, v6, 24
	v_add_u32_e32 v5, v7, v5
	s_waitcnt vmcnt(0)
	v_add_co_u32_e32 v6, vcc, v12, v6
	v_addc_co_u32_e32 v7, vcc, v13, v5, vcc
	v_mov_b32_e32 v4, v10
	global_store_dwordx2 v[6:7], v[10:11], off
	v_mov_b32_e32 v5, v11
	buffer_wbl2
	s_waitcnt vmcnt(0)
	global_atomic_cmpswap_x2 v[4:5], v8, v[2:5], s[6:7] offset:24 glc
	s_waitcnt vmcnt(0)
	v_cmp_ne_u64_e32 vcc, v[4:5], v[10:11]
	s_and_b64 exec, exec, vcc
	s_cbranch_execz .LBB3_278
.LBB3_277:                              ; =>This Inner Loop Header: Depth=1
	s_sleep 1
	global_store_dwordx2 v[6:7], v[4:5], off
	buffer_wbl2
	s_waitcnt vmcnt(0)
	global_atomic_cmpswap_x2 v[10:11], v8, v[2:5], s[6:7] offset:24 glc
	s_waitcnt vmcnt(0)
	v_cmp_eq_u64_e32 vcc, v[10:11], v[4:5]
	s_or_b64 s[4:5], vcc, s[4:5]
	v_pk_mov_b32 v[4:5], v[10:11], v[10:11] op_sel:[0,1]
	s_andn2_b64 exec, exec, s[4:5]
	s_cbranch_execnz .LBB3_277
.LBB3_278:
	s_or_b64 exec, exec, s[12:13]
	s_getpc_b64 s[4:5]
	s_add_u32 s4, s4, __FUNCTION__._ZL18flash_attn_ext_f16ILi64ELi64ELi64ELi1ELb1ELb0EEvPKcS1_S1_S1_S1_PKiPfP15HIP_vector_typeIfLj2EEffffjfiS5_IjLj3EEiiiiiiiiiiiliiliiiiil@rel32@lo+4
	s_addc_u32 s5, s5, __FUNCTION__._ZL18flash_attn_ext_f16ILi64ELi64ELi64ELi1ELb1ELb0EEvPKcS1_S1_S1_S1_PKiPfP15HIP_vector_typeIfLj2EEffffjfiS5_IjLj3EEiiiiiiiiiiiliiliiiiil@rel32@hi+12
	s_cmp_lg_u64 s[4:5], 0
	s_cselect_b32 s10, 19, 0
	s_mov_b64 s[8:9], s[26:27]
	v_mov_b32_e32 v2, s4
	v_mov_b32_e32 v3, s5
	v_mov_b32_e32 v4, s10
	v_mov_b32_e32 v5, 0
	s_getpc_b64 s[6:7]
	s_add_u32 s6, s6, __ockl_printf_append_string_n@rel32@lo+4
	s_addc_u32 s7, s7, __ockl_printf_append_string_n@rel32@hi+12
	s_swappc_b64 s[30:31], s[6:7]
	s_mov_b64 s[8:9], s[26:27]
	v_mov_b32_e32 v2, 0x514
	v_mov_b32_e32 v3, 0
	;; [unrolled: 1-line block ×3, first 2 shown]
	s_getpc_b64 s[4:5]
	s_add_u32 s4, s4, __ockl_printf_append_args@rel32@lo+4
	s_addc_u32 s5, s5, __ockl_printf_append_args@rel32@hi+12
	s_swappc_b64 s[30:31], s[4:5]
	s_trap 2
.Lfunc_end3:
	.size	_ZL14no_device_codePKciS0_iS0_, .Lfunc_end3-_ZL14no_device_codePKciS0_iS0_
                                        ; -- End function
	.section	.AMDGPU.csdata,"",@progbits
; Function info:
; codeLenInByte = 9988
; NumSgprs: 38
; NumVgprs: 39
; NumAgprs: 0
; TotalNumVgprs: 39
; ScratchSize: 16
; MemoryBound: 0
	.section	.text._ZL18flash_attn_ext_f16ILi64ELi64ELi64ELi1ELb1ELb0EEvPKcS1_S1_S1_S1_PKiPfP15HIP_vector_typeIfLj2EEffffjfiS5_IjLj3EEiiiiiiiiiiiliiliiiiil,"axG",@progbits,_ZL18flash_attn_ext_f16ILi64ELi64ELi64ELi1ELb1ELb0EEvPKcS1_S1_S1_S1_PKiPfP15HIP_vector_typeIfLj2EEffffjfiS5_IjLj3EEiiiiiiiiiiiliiliiiiil,comdat
	.globl	_ZL18flash_attn_ext_f16ILi64ELi64ELi64ELi1ELb1ELb0EEvPKcS1_S1_S1_S1_PKiPfP15HIP_vector_typeIfLj2EEffffjfiS5_IjLj3EEiiiiiiiiiiiliiliiiiil ; -- Begin function _ZL18flash_attn_ext_f16ILi64ELi64ELi64ELi1ELb1ELb0EEvPKcS1_S1_S1_S1_PKiPfP15HIP_vector_typeIfLj2EEffffjfiS5_IjLj3EEiiiiiiiiiiiliiliiiiil
	.p2align	8
	.type	_ZL18flash_attn_ext_f16ILi64ELi64ELi64ELi1ELb1ELb0EEvPKcS1_S1_S1_S1_PKiPfP15HIP_vector_typeIfLj2EEffffjfiS5_IjLj3EEiiiiiiiiiiiliiliiiiil,@function
_ZL18flash_attn_ext_f16ILi64ELi64ELi64ELi1ELb1ELb0EEvPKcS1_S1_S1_S1_PKiPfP15HIP_vector_typeIfLj2EEffffjfiS5_IjLj3EEiiiiiiiiiiiliiliiiiil: ; @_ZL18flash_attn_ext_f16ILi64ELi64ELi64ELi1ELb1ELb0EEvPKcS1_S1_S1_S1_PKiPfP15HIP_vector_typeIfLj2EEffffjfiS5_IjLj3EEiiiiiiiiiiiliiliiiiil
; %bb.0:
	s_add_u32 flat_scratch_lo, s6, s9
	s_addc_u32 flat_scratch_hi, s7, 0
	s_add_u32 s0, s0, s9
	s_addc_u32 s1, s1, 0
	s_add_u32 s8, s4, 0xd0
	s_addc_u32 s9, s5, 0
	s_mov_b32 s32, 0
	s_getpc_b64 s[4:5]
	s_add_u32 s4, s4, _ZL14no_device_codePKciS0_iS0_@rel32@lo+4
	s_addc_u32 s5, s5, _ZL14no_device_codePKciS0_iS0_@rel32@hi+12
	s_swappc_b64 s[30:31], s[4:5]
	.section	.rodata,"a",@progbits
	.p2align	6, 0x0
	.amdhsa_kernel _ZL18flash_attn_ext_f16ILi64ELi64ELi64ELi1ELb1ELb0EEvPKcS1_S1_S1_S1_PKiPfP15HIP_vector_typeIfLj2EEffffjfiS5_IjLj3EEiiiiiiiiiiiliiliiiiil
		.amdhsa_group_segment_fixed_size 0
		.amdhsa_private_segment_fixed_size 16
		.amdhsa_kernarg_size 464
		.amdhsa_user_sgpr_count 8
		.amdhsa_user_sgpr_private_segment_buffer 1
		.amdhsa_user_sgpr_dispatch_ptr 0
		.amdhsa_user_sgpr_queue_ptr 0
		.amdhsa_user_sgpr_kernarg_segment_ptr 1
		.amdhsa_user_sgpr_dispatch_id 0
		.amdhsa_user_sgpr_flat_scratch_init 1
		.amdhsa_user_sgpr_kernarg_preload_length 0
		.amdhsa_user_sgpr_kernarg_preload_offset 0
		.amdhsa_user_sgpr_private_segment_size 0
		.amdhsa_uses_dynamic_stack 0
		.amdhsa_system_sgpr_private_segment_wavefront_offset 1
		.amdhsa_system_sgpr_workgroup_id_x 1
		.amdhsa_system_sgpr_workgroup_id_y 0
		.amdhsa_system_sgpr_workgroup_id_z 0
		.amdhsa_system_sgpr_workgroup_info 0
		.amdhsa_system_vgpr_workitem_id 0
		.amdhsa_next_free_vgpr 39
		.amdhsa_next_free_sgpr 34
		.amdhsa_accum_offset 40
		.amdhsa_reserve_vcc 1
		.amdhsa_reserve_flat_scratch 1
		.amdhsa_float_round_mode_32 0
		.amdhsa_float_round_mode_16_64 0
		.amdhsa_float_denorm_mode_32 3
		.amdhsa_float_denorm_mode_16_64 3
		.amdhsa_dx10_clamp 1
		.amdhsa_ieee_mode 1
		.amdhsa_fp16_overflow 0
		.amdhsa_tg_split 0
		.amdhsa_exception_fp_ieee_invalid_op 0
		.amdhsa_exception_fp_denorm_src 0
		.amdhsa_exception_fp_ieee_div_zero 0
		.amdhsa_exception_fp_ieee_overflow 0
		.amdhsa_exception_fp_ieee_underflow 0
		.amdhsa_exception_fp_ieee_inexact 0
		.amdhsa_exception_int_div_zero 0
	.end_amdhsa_kernel
	.section	.text._ZL18flash_attn_ext_f16ILi64ELi64ELi64ELi1ELb1ELb0EEvPKcS1_S1_S1_S1_PKiPfP15HIP_vector_typeIfLj2EEffffjfiS5_IjLj3EEiiiiiiiiiiiliiliiiiil,"axG",@progbits,_ZL18flash_attn_ext_f16ILi64ELi64ELi64ELi1ELb1ELb0EEvPKcS1_S1_S1_S1_PKiPfP15HIP_vector_typeIfLj2EEffffjfiS5_IjLj3EEiiiiiiiiiiiliiliiiiil,comdat
.Lfunc_end4:
	.size	_ZL18flash_attn_ext_f16ILi64ELi64ELi64ELi1ELb1ELb0EEvPKcS1_S1_S1_S1_PKiPfP15HIP_vector_typeIfLj2EEffffjfiS5_IjLj3EEiiiiiiiiiiiliiliiiiil, .Lfunc_end4-_ZL18flash_attn_ext_f16ILi64ELi64ELi64ELi1ELb1ELb0EEvPKcS1_S1_S1_S1_PKiPfP15HIP_vector_typeIfLj2EEffffjfiS5_IjLj3EEiiiiiiiiiiiliiliiiiil
                                        ; -- End function
	.section	.AMDGPU.csdata,"",@progbits
; Kernel info:
; codeLenInByte = 56
; NumSgprs: 40
; NumVgprs: 39
; NumAgprs: 0
; TotalNumVgprs: 39
; ScratchSize: 16
; MemoryBound: 0
; FloatMode: 240
; IeeeMode: 1
; LDSByteSize: 0 bytes/workgroup (compile time only)
; SGPRBlocks: 4
; VGPRBlocks: 4
; NumSGPRsForWavesPerEU: 40
; NumVGPRsForWavesPerEU: 39
; AccumOffset: 40
; Occupancy: 8
; WaveLimiterHint : 1
; COMPUTE_PGM_RSRC2:SCRATCH_EN: 1
; COMPUTE_PGM_RSRC2:USER_SGPR: 8
; COMPUTE_PGM_RSRC2:TRAP_HANDLER: 0
; COMPUTE_PGM_RSRC2:TGID_X_EN: 1
; COMPUTE_PGM_RSRC2:TGID_Y_EN: 0
; COMPUTE_PGM_RSRC2:TGID_Z_EN: 0
; COMPUTE_PGM_RSRC2:TIDIG_COMP_CNT: 0
; COMPUTE_PGM_RSRC3_GFX90A:ACCUM_OFFSET: 9
; COMPUTE_PGM_RSRC3_GFX90A:TG_SPLIT: 0
	.section	.text._ZL25flash_attn_mask_to_KV_maxILi64EEvPK7__half2Piiii,"axG",@progbits,_ZL25flash_attn_mask_to_KV_maxILi64EEvPK7__half2Piiii,comdat
	.globl	_ZL25flash_attn_mask_to_KV_maxILi64EEvPK7__half2Piiii ; -- Begin function _ZL25flash_attn_mask_to_KV_maxILi64EEvPK7__half2Piiii
	.p2align	8
	.type	_ZL25flash_attn_mask_to_KV_maxILi64EEvPK7__half2Piiii,@function
_ZL25flash_attn_mask_to_KV_maxILi64EEvPK7__half2Piiii: ; @_ZL25flash_attn_mask_to_KV_maxILi64EEvPK7__half2Piiii
; %bb.0:
	s_load_dwordx4 s[8:11], s[4:5], 0x0
	v_cmp_gt_u32_e32 vcc, 32, v0
	s_and_saveexec_b64 s[0:1], vcc
	s_cbranch_execz .LBB5_2
; %bb.1:
	v_lshlrev_b32_e32 v1, 2, v0
	v_mov_b32_e32 v2, 1
	ds_write_b32 v1, v2
.LBB5_2:
	s_or_b64 exec, exec, s[0:1]
	s_load_dwordx4 s[12:15], s[4:5], 0x10
	s_load_dword s33, s[4:5], 0x20
	v_and_b32_e32 v2, 31, v0
	v_lshlrev_b32_e32 v6, 2, v2
	v_lshrrev_b32_e32 v1, 3, v0
	s_waitcnt lgkmcnt(0)
	s_mul_i32 s1, s6, s13
	s_mul_i32 s0, s7, s14
	s_lshl_b32 s1, s1, 6
	s_add_i32 s0, s0, s1
	s_ashr_i32 s1, s0, 31
	s_lshl_b64 s[0:1], s[0:1], 2
	s_add_u32 s94, s8, s0
	s_addc_u32 s95, s9, s1
	v_cmp_eq_u32_e64 s[0:1], 0, v2
	v_mbcnt_lo_u32_b32 v2, -1, 0
	s_lshl_b32 s12, s12, 8
	s_mov_b64 s[4:5], 0
	v_mov_b32_e32 v3, 0
	s_movk_i32 s92, 0x204
	s_movk_i32 s93, 0x7fff
	;; [unrolled: 1-line block ×3, first 2 shown]
	v_mbcnt_hi_u32_b32 v7, -1, v2
	s_barrier
	s_waitcnt lgkmcnt(0)
                                        ; implicit-def: $sgpr2_sgpr3
	s_branch .LBB5_5
.LBB5_3:                                ;   in Loop: Header=BB5_5 Depth=1
	s_or_b64 exec, exec, s[8:9]
	s_waitcnt lgkmcnt(0)
	s_barrier
	ds_read_b32 v10, v6
	s_waitcnt lgkmcnt(0)
	s_barrier
	ds_bpermute_b32 v2, v2, v10
	v_cmp_ne_u32_e32 vcc, 0, v10
	s_waitcnt lgkmcnt(0)
	v_cmp_ne_u32_e64 s[2:3], 0, v2
	s_and_b64 s[2:3], vcc, s[2:3]
	v_cndmask_b32_e64 v2, 0, 1, s[2:3]
	ds_bpermute_b32 v2, v4, v2
	s_waitcnt lgkmcnt(0)
	v_cmp_ne_u32_e32 vcc, 0, v2
	s_and_b64 s[2:3], vcc, s[2:3]
	v_cndmask_b32_e64 v2, 0, 1, s[2:3]
	ds_bpermute_b32 v2, v5, v2
	s_waitcnt lgkmcnt(0)
	v_cmp_ne_u32_e32 vcc, 0, v2
	;; [unrolled: 5-line block ×3, first 2 shown]
	s_and_b64 s[2:3], vcc, s[2:3]
	v_cndmask_b32_e64 v2, 0, 1, s[2:3]
	ds_bpermute_b32 v2, v9, v2
	s_xor_b64 s[2:3], s[2:3], -1
	s_waitcnt lgkmcnt(0)
	v_cmp_eq_u32_e32 vcc, 0, v2
	s_or_b64 s[2:3], vcc, s[2:3]
.LBB5_4:                                ;   in Loop: Header=BB5_5 Depth=1
	s_and_b64 s[8:9], exec, s[2:3]
	s_or_b64 s[4:5], s[8:9], s[4:5]
	v_mov_b32_e32 v2, s12
	s_mov_b32 s12, s91
	s_andn2_b64 exec, exec, s[4:5]
	s_cbranch_execz .LBB5_260
.LBB5_5:                                ; =>This Inner Loop Header: Depth=1
	s_add_i32 s91, s12, 0xffffff00
	s_or_b64 s[2:3], s[2:3], exec
	s_cmp_lt_i32 s91, 0
	s_cbranch_scc1 .LBB5_4
; %bb.6:                                ;   in Loop: Header=BB5_5 Depth=1
	s_lshr_b32 s2, s91, 1
	v_add_u32_e32 v2, s2, v0
	v_lshlrev_b64 v[4:5], 2, v[2:3]
	v_mov_b32_e32 v8, s95
	v_add_co_u32_e32 v4, vcc, s94, v4
	v_addc_co_u32_e32 v5, vcc, v8, v5, vcc
	global_load_dword v4, v[4:5], off
	s_mov_b64 s[8:9], 0
	s_waitcnt vmcnt(0)
	v_cmp_class_f16_e64 s[2:3], v4, s92
	v_and_b32_sdwa v4, s93, v4 dst_sel:DWORD dst_unused:UNUSED_PAD src0_sel:DWORD src1_sel:WORD_1
	v_cmp_eq_f16_e32 vcc, s90, v4
	s_and_b64 s[14:15], s[2:3], vcc
	s_and_saveexec_b64 s[2:3], s[14:15]
	s_cbranch_execz .LBB5_258
; %bb.7:                                ;   in Loop: Header=BB5_5 Depth=1
	v_add_u32_e32 v4, s13, v2
	v_ashrrev_i32_e32 v5, 31, v4
	v_lshlrev_b64 v[8:9], 2, v[4:5]
	v_mov_b32_e32 v2, s95
	v_add_co_u32_e32 v8, vcc, s94, v8
	v_addc_co_u32_e32 v9, vcc, v2, v9, vcc
	global_load_dword v2, v[8:9], off
	s_mov_b64 s[14:15], 0
	s_waitcnt vmcnt(0)
	v_cmp_class_f16_e64 s[16:17], v2, s92
	s_and_saveexec_b64 s[8:9], s[16:17]
	s_cbranch_execz .LBB5_257
; %bb.8:                                ;   in Loop: Header=BB5_5 Depth=1
	v_cmp_class_f16_sdwa s[18:19], v2, s92 src0_sel:WORD_1 src1_sel:DWORD
	s_mov_b64 s[16:17], 0
	s_and_saveexec_b64 s[14:15], s[18:19]
	s_cbranch_execz .LBB5_256
; %bb.9:                                ;   in Loop: Header=BB5_5 Depth=1
	v_add_u32_e32 v4, s13, v4
	v_ashrrev_i32_e32 v5, 31, v4
	v_lshlrev_b64 v[8:9], 2, v[4:5]
	v_mov_b32_e32 v2, s95
	v_add_co_u32_e32 v8, vcc, s94, v8
	v_addc_co_u32_e32 v9, vcc, v2, v9, vcc
	global_load_dword v2, v[8:9], off
	s_mov_b64 s[18:19], 0
	s_waitcnt vmcnt(0)
	v_cmp_class_f16_e64 s[20:21], v2, s92
	s_and_saveexec_b64 s[16:17], s[20:21]
	s_cbranch_execz .LBB5_255
; %bb.10:                               ;   in Loop: Header=BB5_5 Depth=1
	v_cmp_class_f16_sdwa s[22:23], v2, s92 src0_sel:WORD_1 src1_sel:DWORD
	s_mov_b64 s[20:21], 0
	s_and_saveexec_b64 s[18:19], s[22:23]
	s_cbranch_execz .LBB5_254
; %bb.11:                               ;   in Loop: Header=BB5_5 Depth=1
	v_add_u32_e32 v4, s13, v4
	v_ashrrev_i32_e32 v5, 31, v4
	v_lshlrev_b64 v[8:9], 2, v[4:5]
	v_mov_b32_e32 v2, s95
	v_add_co_u32_e32 v8, vcc, s94, v8
	v_addc_co_u32_e32 v9, vcc, v2, v9, vcc
	global_load_dword v2, v[8:9], off
	s_mov_b64 s[22:23], 0
	s_waitcnt vmcnt(0)
	v_cmp_class_f16_e64 s[24:25], v2, s92
	s_and_saveexec_b64 s[20:21], s[24:25]
	s_cbranch_execz .LBB5_253
; %bb.12:                               ;   in Loop: Header=BB5_5 Depth=1
	v_cmp_class_f16_sdwa s[26:27], v2, s92 src0_sel:WORD_1 src1_sel:DWORD
	s_mov_b64 s[24:25], 0
	s_and_saveexec_b64 s[22:23], s[26:27]
	s_cbranch_execz .LBB5_252
; %bb.13:                               ;   in Loop: Header=BB5_5 Depth=1
	;; [unrolled: 18-line block ×17, first 2 shown]
	v_add_u32_e32 v4, s13, v4
	v_ashrrev_i32_e32 v5, 31, v4
	v_lshlrev_b64 v[8:9], 2, v[4:5]
	v_mov_b32_e32 v2, s95
	v_add_co_u32_e32 v8, vcc, s94, v8
	v_addc_co_u32_e32 v9, vcc, v2, v9, vcc
	global_load_dword v2, v[8:9], off
	s_mov_b64 s[88:89], 0
	s_waitcnt vmcnt(0)
	v_cmp_class_f16_e64 vcc, v2, s92
	s_mov_b64 s[86:87], exec
                                        ; implicit-def: $vgpr14 : SGPR spill to VGPR lane
	v_writelane_b32 v14, s86, 0
	s_and_b64 vcc, s[86:87], vcc
	v_writelane_b32 v14, s87, 1
	s_mov_b64 exec, vcc
	s_cbranch_execz .LBB5_221
; %bb.44:                               ;   in Loop: Header=BB5_5 Depth=1
	v_cmp_class_f16_sdwa s[88:89], v2, s92 src0_sel:WORD_1 src1_sel:DWORD
	s_mov_b64 vcc, 0
	s_mov_b64 s[86:87], exec
	v_writelane_b32 v14, s86, 2
	s_and_b64 s[88:89], s[86:87], s[88:89]
	v_writelane_b32 v14, s87, 3
	s_mov_b64 exec, s[88:89]
	s_cbranch_execz .LBB5_220
; %bb.45:                               ;   in Loop: Header=BB5_5 Depth=1
	v_add_u32_e32 v4, s13, v4
	v_ashrrev_i32_e32 v5, 31, v4
	v_lshlrev_b64 v[8:9], 2, v[4:5]
	v_mov_b32_e32 v2, s95
	v_add_co_u32_e32 v8, vcc, s94, v8
	v_addc_co_u32_e32 v9, vcc, v2, v9, vcc
	global_load_dword v2, v[8:9], off
	s_mov_b64 vcc, 0
	s_waitcnt vmcnt(0)
	v_cmp_class_f16_e64 s[88:89], v2, s92
	s_mov_b64 s[86:87], exec
	v_writelane_b32 v14, s86, 4
	s_and_b64 s[88:89], s[86:87], s[88:89]
	v_writelane_b32 v14, s87, 5
	s_mov_b64 exec, s[88:89]
	s_cbranch_execz .LBB5_219
; %bb.46:                               ;   in Loop: Header=BB5_5 Depth=1
	v_cmp_class_f16_sdwa s[88:89], v2, s92 src0_sel:WORD_1 src1_sel:DWORD
	s_mov_b64 vcc, 0
	s_mov_b64 s[86:87], exec
	v_writelane_b32 v14, s86, 6
	s_and_b64 s[88:89], s[86:87], s[88:89]
	v_writelane_b32 v14, s87, 7
	s_mov_b64 exec, s[88:89]
	s_cbranch_execz .LBB5_218
; %bb.47:                               ;   in Loop: Header=BB5_5 Depth=1
	v_add_u32_e32 v4, s13, v4
	v_ashrrev_i32_e32 v5, 31, v4
	v_lshlrev_b64 v[8:9], 2, v[4:5]
	v_mov_b32_e32 v2, s95
	v_add_co_u32_e32 v8, vcc, s94, v8
	v_addc_co_u32_e32 v9, vcc, v2, v9, vcc
	global_load_dword v2, v[8:9], off
	s_mov_b64 vcc, 0
	s_waitcnt vmcnt(0)
	v_cmp_class_f16_e64 s[88:89], v2, s92
	s_mov_b64 s[86:87], exec
	v_writelane_b32 v14, s86, 8
	s_and_b64 s[88:89], s[86:87], s[88:89]
	v_writelane_b32 v14, s87, 9
	s_mov_b64 exec, s[88:89]
	;; [unrolled: 26-line block ×15, first 2 shown]
	s_cbranch_execz .LBB5_191
; %bb.74:                               ;   in Loop: Header=BB5_5 Depth=1
	v_cmp_class_f16_sdwa s[88:89], v2, s92 src0_sel:WORD_1 src1_sel:DWORD
	s_mov_b64 vcc, 0
	s_mov_b64 s[86:87], exec
	v_writelane_b32 v14, s86, 62
	s_and_b64 s[88:89], s[86:87], s[88:89]
	v_writelane_b32 v14, s87, 63
	s_mov_b64 exec, s[88:89]
	s_cbranch_execz .LBB5_190
; %bb.75:                               ;   in Loop: Header=BB5_5 Depth=1
	v_add_u32_e32 v4, s13, v4
	v_ashrrev_i32_e32 v5, 31, v4
	v_lshlrev_b64 v[8:9], 2, v[4:5]
	v_mov_b32_e32 v2, s95
	v_add_co_u32_e32 v8, vcc, s94, v8
	v_addc_co_u32_e32 v9, vcc, v2, v9, vcc
	global_load_dword v2, v[8:9], off
	s_mov_b64 vcc, 0
	s_waitcnt vmcnt(0)
	v_cmp_class_f16_e64 s[88:89], v2, s92
	s_mov_b64 s[86:87], exec
                                        ; implicit-def: $vgpr13 : SGPR spill to VGPR lane
	v_writelane_b32 v13, s86, 0
	s_and_b64 s[88:89], s[86:87], s[88:89]
	v_writelane_b32 v13, s87, 1
	s_mov_b64 exec, s[88:89]
	s_cbranch_execz .LBB5_189
; %bb.76:                               ;   in Loop: Header=BB5_5 Depth=1
	v_cmp_class_f16_sdwa s[88:89], v2, s92 src0_sel:WORD_1 src1_sel:DWORD
	s_mov_b64 vcc, 0
	s_mov_b64 s[86:87], exec
	v_writelane_b32 v13, s86, 2
	s_and_b64 s[88:89], s[86:87], s[88:89]
	v_writelane_b32 v13, s87, 3
	s_mov_b64 exec, s[88:89]
	s_cbranch_execz .LBB5_188
; %bb.77:                               ;   in Loop: Header=BB5_5 Depth=1
	v_add_u32_e32 v4, s13, v4
	v_ashrrev_i32_e32 v5, 31, v4
	v_lshlrev_b64 v[8:9], 2, v[4:5]
	v_mov_b32_e32 v2, s95
	v_add_co_u32_e32 v8, vcc, s94, v8
	v_addc_co_u32_e32 v9, vcc, v2, v9, vcc
	global_load_dword v2, v[8:9], off
	s_mov_b64 vcc, 0
	s_waitcnt vmcnt(0)
	v_cmp_class_f16_e64 s[88:89], v2, s92
	s_mov_b64 s[86:87], exec
	v_writelane_b32 v13, s86, 4
	s_and_b64 s[88:89], s[86:87], s[88:89]
	v_writelane_b32 v13, s87, 5
	s_mov_b64 exec, s[88:89]
	s_cbranch_execz .LBB5_187
; %bb.78:                               ;   in Loop: Header=BB5_5 Depth=1
	v_cmp_class_f16_sdwa s[88:89], v2, s92 src0_sel:WORD_1 src1_sel:DWORD
	s_mov_b64 vcc, 0
	s_mov_b64 s[86:87], exec
	v_writelane_b32 v13, s86, 6
	s_and_b64 s[88:89], s[86:87], s[88:89]
	v_writelane_b32 v13, s87, 7
	s_mov_b64 exec, s[88:89]
	s_cbranch_execz .LBB5_186
; %bb.79:                               ;   in Loop: Header=BB5_5 Depth=1
	v_add_u32_e32 v4, s13, v4
	v_ashrrev_i32_e32 v5, 31, v4
	v_lshlrev_b64 v[8:9], 2, v[4:5]
	v_mov_b32_e32 v2, s95
	v_add_co_u32_e32 v8, vcc, s94, v8
	v_addc_co_u32_e32 v9, vcc, v2, v9, vcc
	global_load_dword v2, v[8:9], off
	s_mov_b64 vcc, 0
	s_waitcnt vmcnt(0)
	v_cmp_class_f16_e64 s[88:89], v2, s92
	s_mov_b64 s[86:87], exec
	;; [unrolled: 26-line block ×12, first 2 shown]
	v_writelane_b32 v13, s86, 48
	s_and_b64 s[88:89], s[86:87], s[88:89]
	v_writelane_b32 v13, s87, 49
	s_mov_b64 exec, s[88:89]
	s_cbranch_execz .LBB5_165
; %bb.100:                              ;   in Loop: Header=BB5_5 Depth=1
	v_cmp_class_f16_sdwa s[88:89], v2, s92 src0_sel:WORD_1 src1_sel:DWORD
	s_mov_b64 vcc, 0
	s_mov_b64 s[86:87], exec
	v_writelane_b32 v13, s86, 50
	s_and_b64 s[88:89], s[86:87], s[88:89]
	v_writelane_b32 v13, s87, 51
	s_mov_b64 exec, s[88:89]
	s_cbranch_execz .LBB5_164
; %bb.101:                              ;   in Loop: Header=BB5_5 Depth=1
	v_add_u32_e32 v4, s13, v4
	v_ashrrev_i32_e32 v5, 31, v4
	v_lshlrev_b64 v[8:9], 2, v[4:5]
	v_mov_b32_e32 v2, s95
	v_add_co_u32_e32 v8, vcc, s94, v8
	v_addc_co_u32_e32 v9, vcc, v2, v9, vcc
	global_load_dword v2, v[8:9], off
	s_mov_b64 vcc, 0
	s_waitcnt vmcnt(0)
	v_cmp_class_f16_e64 s[88:89], v2, s92
	s_mov_b64 s[86:87], exec
	v_writelane_b32 v13, s86, 52
	s_and_b64 s[88:89], s[86:87], s[88:89]
	v_writelane_b32 v13, s87, 53
	s_mov_b64 exec, s[88:89]
	s_cbranch_execz .LBB5_163
; %bb.102:                              ;   in Loop: Header=BB5_5 Depth=1
	v_cmp_class_f16_sdwa s[88:89], v2, s92 src0_sel:WORD_1 src1_sel:DWORD
	s_mov_b64 vcc, 0
	s_mov_b64 s[86:87], exec
	v_writelane_b32 v13, s86, 54
	s_and_b64 s[88:89], s[86:87], s[88:89]
	v_writelane_b32 v13, s87, 55
	s_mov_b64 exec, s[88:89]
	s_cbranch_execz .LBB5_162
; %bb.103:                              ;   in Loop: Header=BB5_5 Depth=1
	v_add_u32_e32 v4, s13, v4
	v_ashrrev_i32_e32 v5, 31, v4
	v_lshlrev_b64 v[8:9], 2, v[4:5]
	v_mov_b32_e32 v2, s95
	v_add_co_u32_e32 v8, vcc, s94, v8
	v_addc_co_u32_e32 v9, vcc, v2, v9, vcc
	global_load_dword v2, v[8:9], off
	s_mov_b64 vcc, 0
	s_waitcnt vmcnt(0)
	v_cmp_class_f16_e64 s[88:89], v2, s92
	s_mov_b64 s[86:87], exec
	;; [unrolled: 26-line block ×4, first 2 shown]
                                        ; implicit-def: $vgpr12 : SGPR spill to VGPR lane
	v_writelane_b32 v12, s86, 0
	s_and_b64 s[88:89], s[86:87], s[88:89]
	v_writelane_b32 v12, s87, 1
	s_mov_b64 exec, s[88:89]
	s_cbranch_execz .LBB5_157
; %bb.108:                              ;   in Loop: Header=BB5_5 Depth=1
	v_cmp_class_f16_sdwa s[88:89], v2, s92 src0_sel:WORD_1 src1_sel:DWORD
	s_mov_b64 vcc, 0
	s_mov_b64 s[86:87], exec
	v_writelane_b32 v12, s86, 2
	s_and_b64 s[88:89], s[86:87], s[88:89]
	v_writelane_b32 v12, s87, 3
	s_mov_b64 exec, s[88:89]
	s_cbranch_execz .LBB5_156
; %bb.109:                              ;   in Loop: Header=BB5_5 Depth=1
	v_add_u32_e32 v4, s13, v4
	v_ashrrev_i32_e32 v5, 31, v4
	v_lshlrev_b64 v[8:9], 2, v[4:5]
	v_mov_b32_e32 v2, s95
	v_add_co_u32_e32 v8, vcc, s94, v8
	v_addc_co_u32_e32 v9, vcc, v2, v9, vcc
	global_load_dword v2, v[8:9], off
	s_mov_b64 vcc, 0
	s_waitcnt vmcnt(0)
	v_cmp_class_f16_e64 s[88:89], v2, s92
	s_mov_b64 s[86:87], exec
	v_writelane_b32 v12, s86, 4
	s_and_b64 s[88:89], s[86:87], s[88:89]
	v_writelane_b32 v12, s87, 5
	s_mov_b64 exec, s[88:89]
	s_cbranch_execz .LBB5_155
; %bb.110:                              ;   in Loop: Header=BB5_5 Depth=1
	v_cmp_class_f16_sdwa s[88:89], v2, s92 src0_sel:WORD_1 src1_sel:DWORD
	s_mov_b64 vcc, 0
	s_mov_b64 s[86:87], exec
	v_writelane_b32 v12, s86, 6
	s_and_b64 s[88:89], s[86:87], s[88:89]
	v_writelane_b32 v12, s87, 7
	s_mov_b64 exec, s[88:89]
	s_cbranch_execz .LBB5_154
; %bb.111:                              ;   in Loop: Header=BB5_5 Depth=1
	v_add_u32_e32 v4, s13, v4
	v_ashrrev_i32_e32 v5, 31, v4
	v_lshlrev_b64 v[8:9], 2, v[4:5]
	v_mov_b32_e32 v2, s95
	v_add_co_u32_e32 v8, vcc, s94, v8
	v_addc_co_u32_e32 v9, vcc, v2, v9, vcc
	global_load_dword v2, v[8:9], off
	s_mov_b64 vcc, 0
	s_waitcnt vmcnt(0)
	v_cmp_class_f16_e64 s[88:89], v2, s92
	s_mov_b64 s[86:87], exec
	v_writelane_b32 v12, s86, 8
	s_and_b64 s[88:89], s[86:87], s[88:89]
	v_writelane_b32 v12, s87, 9
	s_mov_b64 exec, s[88:89]
	s_cbranch_execz .LBB5_153
; %bb.112:                              ;   in Loop: Header=BB5_5 Depth=1
	v_cmp_class_f16_sdwa s[88:89], v2, s92 src0_sel:WORD_1 src1_sel:DWORD
	s_mov_b64 vcc, 0
	s_mov_b64 s[86:87], exec
	v_writelane_b32 v12, s86, 10
	s_and_b64 s[88:89], s[86:87], s[88:89]
	v_writelane_b32 v12, s87, 11
	s_mov_b64 exec, s[88:89]
	s_cbranch_execz .LBB5_152
; %bb.113:                              ;   in Loop: Header=BB5_5 Depth=1
	v_add_u32_e32 v4, s13, v4
	v_ashrrev_i32_e32 v5, 31, v4
	v_lshlrev_b64 v[8:9], 2, v[4:5]
	v_mov_b32_e32 v2, s95
	v_add_co_u32_e32 v8, vcc, s94, v8
	v_addc_co_u32_e32 v9, vcc, v2, v9, vcc
	global_load_dword v2, v[8:9], off
	s_mov_b64 vcc, 0
	s_waitcnt vmcnt(0)
	v_cmp_class_f16_e64 s[88:89], v2, s92
	s_mov_b64 s[86:87], exec
	v_writelane_b32 v12, s86, 12
	s_and_b64 s[88:89], s[86:87], s[88:89]
	v_writelane_b32 v12, s87, 13
	s_mov_b64 exec, s[88:89]
	s_cbranch_execz .LBB5_151
; %bb.114:                              ;   in Loop: Header=BB5_5 Depth=1
	v_cmp_class_f16_sdwa s[88:89], v2, s92 src0_sel:WORD_1 src1_sel:DWORD
	s_mov_b64 vcc, 0
	s_mov_b64 s[86:87], exec
	v_writelane_b32 v12, s86, 14
	s_and_b64 s[88:89], s[86:87], s[88:89]
	v_writelane_b32 v12, s87, 15
	s_mov_b64 exec, s[88:89]
	s_cbranch_execz .LBB5_150
; %bb.115:                              ;   in Loop: Header=BB5_5 Depth=1
	v_add_u32_e32 v4, s13, v4
	v_ashrrev_i32_e32 v5, 31, v4
	v_lshlrev_b64 v[8:9], 2, v[4:5]
	v_mov_b32_e32 v2, s95
	v_add_co_u32_e32 v8, vcc, s94, v8
	v_addc_co_u32_e32 v9, vcc, v2, v9, vcc
	global_load_dword v2, v[8:9], off
	s_mov_b64 vcc, 0
	s_waitcnt vmcnt(0)
	v_cmp_class_f16_e64 s[88:89], v2, s92
	s_mov_b64 s[86:87], exec
	v_writelane_b32 v12, s86, 16
	s_and_b64 s[88:89], s[86:87], s[88:89]
	v_writelane_b32 v12, s87, 17
	s_mov_b64 exec, s[88:89]
	s_cbranch_execz .LBB5_149
; %bb.116:                              ;   in Loop: Header=BB5_5 Depth=1
	v_cmp_class_f16_sdwa s[88:89], v2, s92 src0_sel:WORD_1 src1_sel:DWORD
	s_mov_b64 vcc, 0
	s_mov_b64 s[86:87], exec
	v_writelane_b32 v12, s86, 18
	s_and_b64 s[88:89], s[86:87], s[88:89]
	v_writelane_b32 v12, s87, 19
	s_mov_b64 exec, s[88:89]
	s_cbranch_execz .LBB5_148
; %bb.117:                              ;   in Loop: Header=BB5_5 Depth=1
	v_add_u32_e32 v4, s13, v4
	v_ashrrev_i32_e32 v5, 31, v4
	v_lshlrev_b64 v[8:9], 2, v[4:5]
	v_mov_b32_e32 v2, s95
	v_add_co_u32_e32 v8, vcc, s94, v8
	v_addc_co_u32_e32 v9, vcc, v2, v9, vcc
	global_load_dword v2, v[8:9], off
	s_mov_b64 vcc, 0
	s_waitcnt vmcnt(0)
	v_cmp_class_f16_e64 s[88:89], v2, s92
	s_mov_b64 s[86:87], exec
	v_writelane_b32 v12, s86, 20
	s_and_b64 s[88:89], s[86:87], s[88:89]
	v_writelane_b32 v12, s87, 21
	s_mov_b64 exec, s[88:89]
	s_cbranch_execz .LBB5_147
; %bb.118:                              ;   in Loop: Header=BB5_5 Depth=1
	v_cmp_class_f16_sdwa s[88:89], v2, s92 src0_sel:WORD_1 src1_sel:DWORD
	s_mov_b64 vcc, 0
	s_mov_b64 s[86:87], exec
	v_writelane_b32 v12, s86, 22
	s_and_b64 s[88:89], s[86:87], s[88:89]
	v_writelane_b32 v12, s87, 23
	s_mov_b64 exec, s[88:89]
	s_cbranch_execz .LBB5_146
; %bb.119:                              ;   in Loop: Header=BB5_5 Depth=1
	v_add_u32_e32 v4, s13, v4
	v_ashrrev_i32_e32 v5, 31, v4
	v_lshlrev_b64 v[8:9], 2, v[4:5]
	v_mov_b32_e32 v2, s95
	v_add_co_u32_e32 v8, vcc, s94, v8
	v_addc_co_u32_e32 v9, vcc, v2, v9, vcc
	global_load_dword v2, v[8:9], off
	s_mov_b64 vcc, 0
	s_waitcnt vmcnt(0)
	v_cmp_class_f16_e64 s[88:89], v2, s92
	s_mov_b64 s[86:87], exec
	v_writelane_b32 v12, s86, 24
	s_and_b64 s[88:89], s[86:87], s[88:89]
	v_writelane_b32 v12, s87, 25
	s_mov_b64 exec, s[88:89]
	s_cbranch_execz .LBB5_145
; %bb.120:                              ;   in Loop: Header=BB5_5 Depth=1
	v_cmp_class_f16_sdwa s[88:89], v2, s92 src0_sel:WORD_1 src1_sel:DWORD
	s_mov_b64 vcc, 0
	s_mov_b64 s[86:87], exec
	v_writelane_b32 v12, s86, 26
	s_and_b64 s[88:89], s[86:87], s[88:89]
	v_writelane_b32 v12, s87, 27
	s_mov_b64 exec, s[88:89]
	s_cbranch_execz .LBB5_144
; %bb.121:                              ;   in Loop: Header=BB5_5 Depth=1
	v_add_u32_e32 v4, s13, v4
	v_ashrrev_i32_e32 v5, 31, v4
	v_lshlrev_b64 v[8:9], 2, v[4:5]
	v_mov_b32_e32 v2, s95
	v_add_co_u32_e32 v8, vcc, s94, v8
	v_addc_co_u32_e32 v9, vcc, v2, v9, vcc
	global_load_dword v2, v[8:9], off
	s_mov_b64 vcc, 0
	s_waitcnt vmcnt(0)
	v_cmp_class_f16_e64 s[88:89], v2, s92
	s_mov_b64 s[86:87], exec
	v_writelane_b32 v12, s86, 28
	s_and_b64 s[88:89], s[86:87], s[88:89]
	v_writelane_b32 v12, s87, 29
	s_mov_b64 exec, s[88:89]
	s_cbranch_execz .LBB5_143
; %bb.122:                              ;   in Loop: Header=BB5_5 Depth=1
	v_cmp_class_f16_sdwa s[88:89], v2, s92 src0_sel:WORD_1 src1_sel:DWORD
	s_mov_b64 vcc, 0
	s_mov_b64 s[86:87], exec
	v_writelane_b32 v12, s86, 30
	s_and_b64 s[88:89], s[86:87], s[88:89]
	v_writelane_b32 v12, s87, 31
	s_mov_b64 exec, s[88:89]
	s_cbranch_execz .LBB5_142
; %bb.123:                              ;   in Loop: Header=BB5_5 Depth=1
	v_add_u32_e32 v4, s13, v4
	v_ashrrev_i32_e32 v5, 31, v4
	v_lshlrev_b64 v[8:9], 2, v[4:5]
	v_mov_b32_e32 v2, s95
	v_add_co_u32_e32 v8, vcc, s94, v8
	v_addc_co_u32_e32 v9, vcc, v2, v9, vcc
	global_load_dword v2, v[8:9], off
	s_mov_b64 vcc, 0
	s_waitcnt vmcnt(0)
	v_cmp_class_f16_e64 s[88:89], v2, s92
	s_mov_b64 s[86:87], exec
	v_writelane_b32 v12, s86, 32
	s_and_b64 s[88:89], s[86:87], s[88:89]
	v_writelane_b32 v12, s87, 33
	s_mov_b64 exec, s[88:89]
	s_cbranch_execz .LBB5_141
; %bb.124:                              ;   in Loop: Header=BB5_5 Depth=1
	v_cmp_class_f16_sdwa s[88:89], v2, s92 src0_sel:WORD_1 src1_sel:DWORD
	s_mov_b64 vcc, 0
	s_mov_b64 s[86:87], exec
	v_writelane_b32 v12, s86, 34
	s_and_b64 s[88:89], s[86:87], s[88:89]
	v_writelane_b32 v12, s87, 35
	s_mov_b64 exec, s[88:89]
	s_cbranch_execz .LBB5_140
; %bb.125:                              ;   in Loop: Header=BB5_5 Depth=1
	v_add_u32_e32 v4, s13, v4
	v_ashrrev_i32_e32 v5, 31, v4
	v_lshlrev_b64 v[8:9], 2, v[4:5]
	v_mov_b32_e32 v2, s95
	v_add_co_u32_e32 v8, vcc, s94, v8
	v_addc_co_u32_e32 v9, vcc, v2, v9, vcc
	global_load_dword v2, v[8:9], off
	s_mov_b64 vcc, 0
	s_waitcnt vmcnt(0)
	v_cmp_class_f16_e64 s[88:89], v2, s92
	s_mov_b64 s[86:87], exec
	v_writelane_b32 v12, s86, 36
	s_and_b64 s[88:89], s[86:87], s[88:89]
	v_writelane_b32 v12, s87, 37
	s_mov_b64 exec, s[88:89]
	s_cbranch_execz .LBB5_139
; %bb.126:                              ;   in Loop: Header=BB5_5 Depth=1
	v_cmp_class_f16_sdwa s[88:89], v2, s92 src0_sel:WORD_1 src1_sel:DWORD
	s_mov_b64 vcc, 0
	s_mov_b64 s[86:87], exec
	v_writelane_b32 v12, s86, 38
	s_and_b64 s[88:89], s[86:87], s[88:89]
	v_writelane_b32 v12, s87, 39
	s_mov_b64 exec, s[88:89]
	s_cbranch_execz .LBB5_138
; %bb.127:                              ;   in Loop: Header=BB5_5 Depth=1
	v_add_u32_e32 v4, s13, v4
	v_ashrrev_i32_e32 v5, 31, v4
	v_lshlrev_b64 v[8:9], 2, v[4:5]
	v_mov_b32_e32 v2, s95
	v_add_co_u32_e32 v8, vcc, s94, v8
	v_addc_co_u32_e32 v9, vcc, v2, v9, vcc
	global_load_dword v2, v[8:9], off
	s_mov_b64 vcc, 0
	s_waitcnt vmcnt(0)
	v_cmp_class_f16_e64 s[88:89], v2, s92
	s_mov_b64 s[86:87], exec
	v_writelane_b32 v12, s86, 40
	s_and_b64 s[88:89], s[86:87], s[88:89]
	v_writelane_b32 v12, s87, 41
	s_mov_b64 exec, s[88:89]
	s_cbranch_execz .LBB5_137
; %bb.128:                              ;   in Loop: Header=BB5_5 Depth=1
	v_cmp_class_f16_sdwa s[88:89], v2, s92 src0_sel:WORD_1 src1_sel:DWORD
	s_mov_b64 vcc, 0
	s_mov_b64 s[86:87], exec
	v_writelane_b32 v12, s86, 42
	s_and_b64 s[88:89], s[86:87], s[88:89]
	v_writelane_b32 v12, s87, 43
	s_mov_b64 exec, s[88:89]
	s_cbranch_execz .LBB5_136
; %bb.129:                              ;   in Loop: Header=BB5_5 Depth=1
	v_add_u32_e32 v4, s13, v4
	v_ashrrev_i32_e32 v5, 31, v4
	v_lshlrev_b64 v[8:9], 2, v[4:5]
	v_mov_b32_e32 v2, s95
	v_add_co_u32_e32 v8, vcc, s94, v8
	v_addc_co_u32_e32 v9, vcc, v2, v9, vcc
	global_load_dword v2, v[8:9], off
	s_mov_b64 vcc, 0
	s_waitcnt vmcnt(0)
	v_cmp_class_f16_e64 s[88:89], v2, s92
	s_mov_b64 s[86:87], exec
	v_writelane_b32 v12, s86, 44
	s_and_b64 s[88:89], s[86:87], s[88:89]
	v_writelane_b32 v12, s87, 45
	s_mov_b64 exec, s[88:89]
	s_cbranch_execz .LBB5_135
; %bb.130:                              ;   in Loop: Header=BB5_5 Depth=1
	v_cmp_class_f16_sdwa s[88:89], v2, s92 src0_sel:WORD_1 src1_sel:DWORD
	s_mov_b64 vcc, 0
	s_mov_b64 s[86:87], exec
	v_writelane_b32 v12, s86, 46
	s_and_b64 s[88:89], s[86:87], s[88:89]
	v_writelane_b32 v12, s87, 47
	s_mov_b64 exec, s[88:89]
	s_cbranch_execz .LBB5_134
; %bb.131:                              ;   in Loop: Header=BB5_5 Depth=1
	v_add_u32_e32 v4, s13, v4
	v_ashrrev_i32_e32 v5, 31, v4
	v_lshlrev_b64 v[4:5], 2, v[4:5]
	v_mov_b32_e32 v2, s95
	v_add_co_u32_e32 v4, vcc, s94, v4
	v_addc_co_u32_e32 v5, vcc, v2, v5, vcc
	global_load_dword v2, v[4:5], off
	s_mov_b64 vcc, 0
	s_waitcnt vmcnt(0)
	v_cmp_class_f16_e64 s[88:89], v2, s92
	s_and_saveexec_b64 s[86:87], s[88:89]
; %bb.132:                              ;   in Loop: Header=BB5_5 Depth=1
	v_cmp_class_f16_sdwa s[88:89], v2, s92 src0_sel:WORD_1 src1_sel:DWORD
	s_and_b64 vcc, s[88:89], exec
; %bb.133:                              ;   in Loop: Header=BB5_5 Depth=1
	s_or_b64 exec, exec, s[86:87]
	s_and_b64 vcc, vcc, exec
.LBB5_134:                              ;   in Loop: Header=BB5_5 Depth=1
	v_readlane_b32 s88, v12, 46
	v_readlane_b32 s89, v12, 47
	s_or_b64 exec, exec, s[88:89]
	s_and_b64 vcc, vcc, exec
.LBB5_135:                              ;   in Loop: Header=BB5_5 Depth=1
	v_readlane_b32 s86, v12, 44
	v_readlane_b32 s87, v12, 45
	s_or_b64 exec, exec, s[86:87]
	s_and_b64 vcc, vcc, exec
.LBB5_136:                              ;   in Loop: Header=BB5_5 Depth=1
	v_readlane_b32 s88, v12, 42
	v_readlane_b32 s89, v12, 43
	s_or_b64 exec, exec, s[88:89]
	s_and_b64 vcc, vcc, exec
.LBB5_137:                              ;   in Loop: Header=BB5_5 Depth=1
	v_readlane_b32 s86, v12, 40
	v_readlane_b32 s87, v12, 41
	s_or_b64 exec, exec, s[86:87]
	s_and_b64 vcc, vcc, exec
.LBB5_138:                              ;   in Loop: Header=BB5_5 Depth=1
	v_readlane_b32 s88, v12, 38
	v_readlane_b32 s89, v12, 39
	s_or_b64 exec, exec, s[88:89]
	s_and_b64 vcc, vcc, exec
.LBB5_139:                              ;   in Loop: Header=BB5_5 Depth=1
	v_readlane_b32 s86, v12, 36
	v_readlane_b32 s87, v12, 37
	s_or_b64 exec, exec, s[86:87]
	s_and_b64 vcc, vcc, exec
.LBB5_140:                              ;   in Loop: Header=BB5_5 Depth=1
	v_readlane_b32 s88, v12, 34
	v_readlane_b32 s89, v12, 35
	s_or_b64 exec, exec, s[88:89]
	s_and_b64 vcc, vcc, exec
.LBB5_141:                              ;   in Loop: Header=BB5_5 Depth=1
	v_readlane_b32 s86, v12, 32
	v_readlane_b32 s87, v12, 33
	s_or_b64 exec, exec, s[86:87]
	s_and_b64 vcc, vcc, exec
.LBB5_142:                              ;   in Loop: Header=BB5_5 Depth=1
	v_readlane_b32 s88, v12, 30
	v_readlane_b32 s89, v12, 31
	s_or_b64 exec, exec, s[88:89]
	s_and_b64 vcc, vcc, exec
.LBB5_143:                              ;   in Loop: Header=BB5_5 Depth=1
	v_readlane_b32 s86, v12, 28
	v_readlane_b32 s87, v12, 29
	s_or_b64 exec, exec, s[86:87]
	s_and_b64 vcc, vcc, exec
.LBB5_144:                              ;   in Loop: Header=BB5_5 Depth=1
	v_readlane_b32 s88, v12, 26
	v_readlane_b32 s89, v12, 27
	s_or_b64 exec, exec, s[88:89]
	s_and_b64 vcc, vcc, exec
.LBB5_145:                              ;   in Loop: Header=BB5_5 Depth=1
	v_readlane_b32 s86, v12, 24
	v_readlane_b32 s87, v12, 25
	s_or_b64 exec, exec, s[86:87]
	s_and_b64 vcc, vcc, exec
.LBB5_146:                              ;   in Loop: Header=BB5_5 Depth=1
	v_readlane_b32 s88, v12, 22
	v_readlane_b32 s89, v12, 23
	s_or_b64 exec, exec, s[88:89]
	s_and_b64 vcc, vcc, exec
.LBB5_147:                              ;   in Loop: Header=BB5_5 Depth=1
	v_readlane_b32 s86, v12, 20
	v_readlane_b32 s87, v12, 21
	s_or_b64 exec, exec, s[86:87]
	s_and_b64 vcc, vcc, exec
.LBB5_148:                              ;   in Loop: Header=BB5_5 Depth=1
	v_readlane_b32 s88, v12, 18
	v_readlane_b32 s89, v12, 19
	s_or_b64 exec, exec, s[88:89]
	s_and_b64 vcc, vcc, exec
.LBB5_149:                              ;   in Loop: Header=BB5_5 Depth=1
	v_readlane_b32 s86, v12, 16
	v_readlane_b32 s87, v12, 17
	s_or_b64 exec, exec, s[86:87]
	s_and_b64 vcc, vcc, exec
.LBB5_150:                              ;   in Loop: Header=BB5_5 Depth=1
	v_readlane_b32 s88, v12, 14
	v_readlane_b32 s89, v12, 15
	s_or_b64 exec, exec, s[88:89]
	s_and_b64 vcc, vcc, exec
.LBB5_151:                              ;   in Loop: Header=BB5_5 Depth=1
	v_readlane_b32 s86, v12, 12
	v_readlane_b32 s87, v12, 13
	s_or_b64 exec, exec, s[86:87]
	s_and_b64 vcc, vcc, exec
.LBB5_152:                              ;   in Loop: Header=BB5_5 Depth=1
	v_readlane_b32 s88, v12, 10
	v_readlane_b32 s89, v12, 11
	s_or_b64 exec, exec, s[88:89]
	s_and_b64 vcc, vcc, exec
.LBB5_153:                              ;   in Loop: Header=BB5_5 Depth=1
	v_readlane_b32 s86, v12, 8
	v_readlane_b32 s87, v12, 9
	s_or_b64 exec, exec, s[86:87]
	s_and_b64 vcc, vcc, exec
.LBB5_154:                              ;   in Loop: Header=BB5_5 Depth=1
	v_readlane_b32 s88, v12, 6
	v_readlane_b32 s89, v12, 7
	s_or_b64 exec, exec, s[88:89]
	s_and_b64 vcc, vcc, exec
.LBB5_155:                              ;   in Loop: Header=BB5_5 Depth=1
	v_readlane_b32 s86, v12, 4
	v_readlane_b32 s87, v12, 5
	s_or_b64 exec, exec, s[86:87]
	s_and_b64 vcc, vcc, exec
.LBB5_156:                              ;   in Loop: Header=BB5_5 Depth=1
	v_readlane_b32 s88, v12, 2
	v_readlane_b32 s89, v12, 3
	s_or_b64 exec, exec, s[88:89]
	s_and_b64 vcc, vcc, exec
.LBB5_157:                              ;   in Loop: Header=BB5_5 Depth=1
	v_readlane_b32 s86, v12, 0
	v_readlane_b32 s87, v12, 1
	s_or_b64 exec, exec, s[86:87]
	s_and_b64 vcc, vcc, exec
.LBB5_158:                              ;   in Loop: Header=BB5_5 Depth=1
	v_readlane_b32 s88, v13, 62
	v_readlane_b32 s89, v13, 63
	s_or_b64 exec, exec, s[88:89]
	s_and_b64 vcc, vcc, exec
.LBB5_159:                              ;   in Loop: Header=BB5_5 Depth=1
	v_readlane_b32 s86, v13, 60
	v_readlane_b32 s87, v13, 61
	s_or_b64 exec, exec, s[86:87]
	s_and_b64 vcc, vcc, exec
.LBB5_160:                              ;   in Loop: Header=BB5_5 Depth=1
	v_readlane_b32 s88, v13, 58
	v_readlane_b32 s89, v13, 59
	s_or_b64 exec, exec, s[88:89]
	s_and_b64 vcc, vcc, exec
.LBB5_161:                              ;   in Loop: Header=BB5_5 Depth=1
	v_readlane_b32 s86, v13, 56
	v_readlane_b32 s87, v13, 57
	s_or_b64 exec, exec, s[86:87]
	s_and_b64 vcc, vcc, exec
.LBB5_162:                              ;   in Loop: Header=BB5_5 Depth=1
	v_readlane_b32 s88, v13, 54
	v_readlane_b32 s89, v13, 55
	s_or_b64 exec, exec, s[88:89]
	s_and_b64 vcc, vcc, exec
.LBB5_163:                              ;   in Loop: Header=BB5_5 Depth=1
	v_readlane_b32 s86, v13, 52
	v_readlane_b32 s87, v13, 53
	s_or_b64 exec, exec, s[86:87]
	s_and_b64 vcc, vcc, exec
.LBB5_164:                              ;   in Loop: Header=BB5_5 Depth=1
	v_readlane_b32 s88, v13, 50
	v_readlane_b32 s89, v13, 51
	s_or_b64 exec, exec, s[88:89]
	s_and_b64 vcc, vcc, exec
.LBB5_165:                              ;   in Loop: Header=BB5_5 Depth=1
	v_readlane_b32 s86, v13, 48
	v_readlane_b32 s87, v13, 49
	s_or_b64 exec, exec, s[86:87]
	s_and_b64 vcc, vcc, exec
.LBB5_166:                              ;   in Loop: Header=BB5_5 Depth=1
	v_readlane_b32 s88, v13, 46
	v_readlane_b32 s89, v13, 47
	s_or_b64 exec, exec, s[88:89]
	s_and_b64 vcc, vcc, exec
.LBB5_167:                              ;   in Loop: Header=BB5_5 Depth=1
	v_readlane_b32 s86, v13, 44
	v_readlane_b32 s87, v13, 45
	s_or_b64 exec, exec, s[86:87]
	s_and_b64 vcc, vcc, exec
.LBB5_168:                              ;   in Loop: Header=BB5_5 Depth=1
	v_readlane_b32 s88, v13, 42
	v_readlane_b32 s89, v13, 43
	s_or_b64 exec, exec, s[88:89]
	s_and_b64 vcc, vcc, exec
.LBB5_169:                              ;   in Loop: Header=BB5_5 Depth=1
	v_readlane_b32 s86, v13, 40
	v_readlane_b32 s87, v13, 41
	s_or_b64 exec, exec, s[86:87]
	s_and_b64 vcc, vcc, exec
.LBB5_170:                              ;   in Loop: Header=BB5_5 Depth=1
	v_readlane_b32 s88, v13, 38
	v_readlane_b32 s89, v13, 39
	s_or_b64 exec, exec, s[88:89]
	s_and_b64 vcc, vcc, exec
.LBB5_171:                              ;   in Loop: Header=BB5_5 Depth=1
	v_readlane_b32 s86, v13, 36
	v_readlane_b32 s87, v13, 37
	s_or_b64 exec, exec, s[86:87]
	s_and_b64 vcc, vcc, exec
.LBB5_172:                              ;   in Loop: Header=BB5_5 Depth=1
	v_readlane_b32 s88, v13, 34
	v_readlane_b32 s89, v13, 35
	s_or_b64 exec, exec, s[88:89]
	s_and_b64 vcc, vcc, exec
.LBB5_173:                              ;   in Loop: Header=BB5_5 Depth=1
	v_readlane_b32 s86, v13, 32
	v_readlane_b32 s87, v13, 33
	s_or_b64 exec, exec, s[86:87]
	s_and_b64 vcc, vcc, exec
.LBB5_174:                              ;   in Loop: Header=BB5_5 Depth=1
	v_readlane_b32 s88, v13, 30
	v_readlane_b32 s89, v13, 31
	s_or_b64 exec, exec, s[88:89]
	s_and_b64 vcc, vcc, exec
.LBB5_175:                              ;   in Loop: Header=BB5_5 Depth=1
	v_readlane_b32 s86, v13, 28
	v_readlane_b32 s87, v13, 29
	s_or_b64 exec, exec, s[86:87]
	s_and_b64 vcc, vcc, exec
.LBB5_176:                              ;   in Loop: Header=BB5_5 Depth=1
	v_readlane_b32 s88, v13, 26
	v_readlane_b32 s89, v13, 27
	s_or_b64 exec, exec, s[88:89]
	s_and_b64 vcc, vcc, exec
.LBB5_177:                              ;   in Loop: Header=BB5_5 Depth=1
	v_readlane_b32 s86, v13, 24
	v_readlane_b32 s87, v13, 25
	s_or_b64 exec, exec, s[86:87]
	s_and_b64 vcc, vcc, exec
.LBB5_178:                              ;   in Loop: Header=BB5_5 Depth=1
	v_readlane_b32 s88, v13, 22
	v_readlane_b32 s89, v13, 23
	s_or_b64 exec, exec, s[88:89]
	s_and_b64 vcc, vcc, exec
.LBB5_179:                              ;   in Loop: Header=BB5_5 Depth=1
	v_readlane_b32 s86, v13, 20
	v_readlane_b32 s87, v13, 21
	s_or_b64 exec, exec, s[86:87]
	s_and_b64 vcc, vcc, exec
.LBB5_180:                              ;   in Loop: Header=BB5_5 Depth=1
	v_readlane_b32 s88, v13, 18
	v_readlane_b32 s89, v13, 19
	s_or_b64 exec, exec, s[88:89]
	s_and_b64 vcc, vcc, exec
.LBB5_181:                              ;   in Loop: Header=BB5_5 Depth=1
	v_readlane_b32 s86, v13, 16
	v_readlane_b32 s87, v13, 17
	s_or_b64 exec, exec, s[86:87]
	s_and_b64 vcc, vcc, exec
.LBB5_182:                              ;   in Loop: Header=BB5_5 Depth=1
	v_readlane_b32 s88, v13, 14
	v_readlane_b32 s89, v13, 15
	s_or_b64 exec, exec, s[88:89]
	s_and_b64 vcc, vcc, exec
.LBB5_183:                              ;   in Loop: Header=BB5_5 Depth=1
	v_readlane_b32 s86, v13, 12
	v_readlane_b32 s87, v13, 13
	s_or_b64 exec, exec, s[86:87]
	s_and_b64 vcc, vcc, exec
.LBB5_184:                              ;   in Loop: Header=BB5_5 Depth=1
	v_readlane_b32 s88, v13, 10
	v_readlane_b32 s89, v13, 11
	s_or_b64 exec, exec, s[88:89]
	s_and_b64 vcc, vcc, exec
.LBB5_185:                              ;   in Loop: Header=BB5_5 Depth=1
	v_readlane_b32 s86, v13, 8
	v_readlane_b32 s87, v13, 9
	s_or_b64 exec, exec, s[86:87]
	s_and_b64 vcc, vcc, exec
.LBB5_186:                              ;   in Loop: Header=BB5_5 Depth=1
	v_readlane_b32 s88, v13, 6
	v_readlane_b32 s89, v13, 7
	s_or_b64 exec, exec, s[88:89]
	s_and_b64 vcc, vcc, exec
.LBB5_187:                              ;   in Loop: Header=BB5_5 Depth=1
	v_readlane_b32 s86, v13, 4
	v_readlane_b32 s87, v13, 5
	s_or_b64 exec, exec, s[86:87]
	s_and_b64 vcc, vcc, exec
.LBB5_188:                              ;   in Loop: Header=BB5_5 Depth=1
	v_readlane_b32 s88, v13, 2
	v_readlane_b32 s89, v13, 3
	s_or_b64 exec, exec, s[88:89]
	s_and_b64 vcc, vcc, exec
.LBB5_189:                              ;   in Loop: Header=BB5_5 Depth=1
	v_readlane_b32 s86, v13, 0
	v_readlane_b32 s87, v13, 1
	s_or_b64 exec, exec, s[86:87]
	s_and_b64 vcc, vcc, exec
.LBB5_190:                              ;   in Loop: Header=BB5_5 Depth=1
	v_readlane_b32 s88, v14, 62
	v_readlane_b32 s89, v14, 63
	s_or_b64 exec, exec, s[88:89]
	s_and_b64 vcc, vcc, exec
.LBB5_191:                              ;   in Loop: Header=BB5_5 Depth=1
	v_readlane_b32 s86, v14, 60
	v_readlane_b32 s87, v14, 61
	s_or_b64 exec, exec, s[86:87]
	s_and_b64 vcc, vcc, exec
.LBB5_192:                              ;   in Loop: Header=BB5_5 Depth=1
	v_readlane_b32 s88, v14, 58
	v_readlane_b32 s89, v14, 59
	s_or_b64 exec, exec, s[88:89]
	s_and_b64 vcc, vcc, exec
.LBB5_193:                              ;   in Loop: Header=BB5_5 Depth=1
	v_readlane_b32 s86, v14, 56
	v_readlane_b32 s87, v14, 57
	s_or_b64 exec, exec, s[86:87]
	s_and_b64 vcc, vcc, exec
.LBB5_194:                              ;   in Loop: Header=BB5_5 Depth=1
	v_readlane_b32 s88, v14, 54
	v_readlane_b32 s89, v14, 55
	s_or_b64 exec, exec, s[88:89]
	s_and_b64 vcc, vcc, exec
.LBB5_195:                              ;   in Loop: Header=BB5_5 Depth=1
	v_readlane_b32 s86, v14, 52
	v_readlane_b32 s87, v14, 53
	s_or_b64 exec, exec, s[86:87]
	s_and_b64 vcc, vcc, exec
.LBB5_196:                              ;   in Loop: Header=BB5_5 Depth=1
	v_readlane_b32 s88, v14, 50
	v_readlane_b32 s89, v14, 51
	s_or_b64 exec, exec, s[88:89]
	s_and_b64 vcc, vcc, exec
.LBB5_197:                              ;   in Loop: Header=BB5_5 Depth=1
	v_readlane_b32 s86, v14, 48
	v_readlane_b32 s87, v14, 49
	s_or_b64 exec, exec, s[86:87]
	s_and_b64 vcc, vcc, exec
.LBB5_198:                              ;   in Loop: Header=BB5_5 Depth=1
	v_readlane_b32 s88, v14, 46
	v_readlane_b32 s89, v14, 47
	s_or_b64 exec, exec, s[88:89]
	s_and_b64 vcc, vcc, exec
.LBB5_199:                              ;   in Loop: Header=BB5_5 Depth=1
	v_readlane_b32 s86, v14, 44
	v_readlane_b32 s87, v14, 45
	s_or_b64 exec, exec, s[86:87]
	s_and_b64 vcc, vcc, exec
.LBB5_200:                              ;   in Loop: Header=BB5_5 Depth=1
	v_readlane_b32 s88, v14, 42
	v_readlane_b32 s89, v14, 43
	s_or_b64 exec, exec, s[88:89]
	s_and_b64 vcc, vcc, exec
.LBB5_201:                              ;   in Loop: Header=BB5_5 Depth=1
	v_readlane_b32 s86, v14, 40
	v_readlane_b32 s87, v14, 41
	s_or_b64 exec, exec, s[86:87]
	s_and_b64 vcc, vcc, exec
.LBB5_202:                              ;   in Loop: Header=BB5_5 Depth=1
	v_readlane_b32 s88, v14, 38
	v_readlane_b32 s89, v14, 39
	s_or_b64 exec, exec, s[88:89]
	s_and_b64 vcc, vcc, exec
.LBB5_203:                              ;   in Loop: Header=BB5_5 Depth=1
	v_readlane_b32 s86, v14, 36
	v_readlane_b32 s87, v14, 37
	s_or_b64 exec, exec, s[86:87]
	s_and_b64 vcc, vcc, exec
.LBB5_204:                              ;   in Loop: Header=BB5_5 Depth=1
	v_readlane_b32 s88, v14, 34
	v_readlane_b32 s89, v14, 35
	s_or_b64 exec, exec, s[88:89]
	s_and_b64 vcc, vcc, exec
.LBB5_205:                              ;   in Loop: Header=BB5_5 Depth=1
	v_readlane_b32 s86, v14, 32
	v_readlane_b32 s87, v14, 33
	s_or_b64 exec, exec, s[86:87]
	s_and_b64 vcc, vcc, exec
.LBB5_206:                              ;   in Loop: Header=BB5_5 Depth=1
	v_readlane_b32 s88, v14, 30
	v_readlane_b32 s89, v14, 31
	s_or_b64 exec, exec, s[88:89]
	s_and_b64 vcc, vcc, exec
.LBB5_207:                              ;   in Loop: Header=BB5_5 Depth=1
	v_readlane_b32 s86, v14, 28
	v_readlane_b32 s87, v14, 29
	s_or_b64 exec, exec, s[86:87]
	s_and_b64 vcc, vcc, exec
.LBB5_208:                              ;   in Loop: Header=BB5_5 Depth=1
	v_readlane_b32 s88, v14, 26
	v_readlane_b32 s89, v14, 27
	s_or_b64 exec, exec, s[88:89]
	s_and_b64 vcc, vcc, exec
.LBB5_209:                              ;   in Loop: Header=BB5_5 Depth=1
	v_readlane_b32 s86, v14, 24
	v_readlane_b32 s87, v14, 25
	s_or_b64 exec, exec, s[86:87]
	s_and_b64 vcc, vcc, exec
.LBB5_210:                              ;   in Loop: Header=BB5_5 Depth=1
	v_readlane_b32 s88, v14, 22
	v_readlane_b32 s89, v14, 23
	s_or_b64 exec, exec, s[88:89]
	s_and_b64 vcc, vcc, exec
.LBB5_211:                              ;   in Loop: Header=BB5_5 Depth=1
	v_readlane_b32 s86, v14, 20
	v_readlane_b32 s87, v14, 21
	s_or_b64 exec, exec, s[86:87]
	s_and_b64 vcc, vcc, exec
.LBB5_212:                              ;   in Loop: Header=BB5_5 Depth=1
	v_readlane_b32 s88, v14, 18
	v_readlane_b32 s89, v14, 19
	s_or_b64 exec, exec, s[88:89]
	s_and_b64 vcc, vcc, exec
.LBB5_213:                              ;   in Loop: Header=BB5_5 Depth=1
	v_readlane_b32 s86, v14, 16
	v_readlane_b32 s87, v14, 17
	s_or_b64 exec, exec, s[86:87]
	s_and_b64 vcc, vcc, exec
.LBB5_214:                              ;   in Loop: Header=BB5_5 Depth=1
	v_readlane_b32 s88, v14, 14
	v_readlane_b32 s89, v14, 15
	s_or_b64 exec, exec, s[88:89]
	s_and_b64 vcc, vcc, exec
.LBB5_215:                              ;   in Loop: Header=BB5_5 Depth=1
	v_readlane_b32 s86, v14, 12
	v_readlane_b32 s87, v14, 13
	s_or_b64 exec, exec, s[86:87]
	s_and_b64 vcc, vcc, exec
.LBB5_216:                              ;   in Loop: Header=BB5_5 Depth=1
	v_readlane_b32 s88, v14, 10
	v_readlane_b32 s89, v14, 11
	s_or_b64 exec, exec, s[88:89]
	s_and_b64 vcc, vcc, exec
.LBB5_217:                              ;   in Loop: Header=BB5_5 Depth=1
	v_readlane_b32 s86, v14, 8
	v_readlane_b32 s87, v14, 9
	s_or_b64 exec, exec, s[86:87]
	s_and_b64 vcc, vcc, exec
.LBB5_218:                              ;   in Loop: Header=BB5_5 Depth=1
	v_readlane_b32 s88, v14, 6
	v_readlane_b32 s89, v14, 7
	s_or_b64 exec, exec, s[88:89]
	s_and_b64 vcc, vcc, exec
.LBB5_219:                              ;   in Loop: Header=BB5_5 Depth=1
	v_readlane_b32 s86, v14, 4
	v_readlane_b32 s87, v14, 5
	s_or_b64 exec, exec, s[86:87]
	s_and_b64 vcc, vcc, exec
.LBB5_220:                              ;   in Loop: Header=BB5_5 Depth=1
	v_readlane_b32 s88, v14, 2
	v_readlane_b32 s89, v14, 3
	s_or_b64 exec, exec, s[88:89]
	s_and_b64 s[88:89], vcc, exec
.LBB5_221:                              ;   in Loop: Header=BB5_5 Depth=1
	v_readlane_b32 s86, v14, 0
	v_readlane_b32 s87, v14, 1
	s_or_b64 exec, exec, s[86:87]
	s_and_b64 s[86:87], s[88:89], exec
.LBB5_222:                              ;   in Loop: Header=BB5_5 Depth=1
	s_or_b64 exec, exec, s[84:85]
	s_and_b64 s[84:85], s[86:87], exec
.LBB5_223:                              ;   in Loop: Header=BB5_5 Depth=1
	s_or_b64 exec, exec, s[82:83]
	s_and_b64 s[82:83], s[84:85], exec
.LBB5_224:                              ;   in Loop: Header=BB5_5 Depth=1
	s_or_b64 exec, exec, s[80:81]
	s_and_b64 s[80:81], s[82:83], exec
.LBB5_225:                              ;   in Loop: Header=BB5_5 Depth=1
	s_or_b64 exec, exec, s[78:79]
	s_and_b64 s[78:79], s[80:81], exec
.LBB5_226:                              ;   in Loop: Header=BB5_5 Depth=1
	s_or_b64 exec, exec, s[76:77]
	s_and_b64 s[76:77], s[78:79], exec
.LBB5_227:                              ;   in Loop: Header=BB5_5 Depth=1
	s_or_b64 exec, exec, s[74:75]
	s_and_b64 s[74:75], s[76:77], exec
.LBB5_228:                              ;   in Loop: Header=BB5_5 Depth=1
	s_or_b64 exec, exec, s[72:73]
	s_and_b64 s[72:73], s[74:75], exec
.LBB5_229:                              ;   in Loop: Header=BB5_5 Depth=1
	s_or_b64 exec, exec, s[70:71]
	s_and_b64 s[70:71], s[72:73], exec
.LBB5_230:                              ;   in Loop: Header=BB5_5 Depth=1
	s_or_b64 exec, exec, s[68:69]
	s_and_b64 s[68:69], s[70:71], exec
.LBB5_231:                              ;   in Loop: Header=BB5_5 Depth=1
	s_or_b64 exec, exec, s[66:67]
	s_and_b64 s[66:67], s[68:69], exec
.LBB5_232:                              ;   in Loop: Header=BB5_5 Depth=1
	s_or_b64 exec, exec, s[64:65]
	s_and_b64 s[64:65], s[66:67], exec
.LBB5_233:                              ;   in Loop: Header=BB5_5 Depth=1
	s_or_b64 exec, exec, s[62:63]
	s_and_b64 s[62:63], s[64:65], exec
.LBB5_234:                              ;   in Loop: Header=BB5_5 Depth=1
	s_or_b64 exec, exec, s[60:61]
	s_and_b64 s[60:61], s[62:63], exec
.LBB5_235:                              ;   in Loop: Header=BB5_5 Depth=1
	s_or_b64 exec, exec, s[58:59]
	s_and_b64 s[58:59], s[60:61], exec
.LBB5_236:                              ;   in Loop: Header=BB5_5 Depth=1
	s_or_b64 exec, exec, s[56:57]
	s_and_b64 s[56:57], s[58:59], exec
.LBB5_237:                              ;   in Loop: Header=BB5_5 Depth=1
	s_or_b64 exec, exec, s[54:55]
	s_and_b64 s[54:55], s[56:57], exec
.LBB5_238:                              ;   in Loop: Header=BB5_5 Depth=1
	s_or_b64 exec, exec, s[52:53]
	s_and_b64 s[52:53], s[54:55], exec
.LBB5_239:                              ;   in Loop: Header=BB5_5 Depth=1
	s_or_b64 exec, exec, s[50:51]
	s_and_b64 s[50:51], s[52:53], exec
.LBB5_240:                              ;   in Loop: Header=BB5_5 Depth=1
	s_or_b64 exec, exec, s[48:49]
	s_and_b64 s[48:49], s[50:51], exec
.LBB5_241:                              ;   in Loop: Header=BB5_5 Depth=1
	s_or_b64 exec, exec, s[46:47]
	s_and_b64 s[46:47], s[48:49], exec
.LBB5_242:                              ;   in Loop: Header=BB5_5 Depth=1
	s_or_b64 exec, exec, s[44:45]
	s_and_b64 s[44:45], s[46:47], exec
.LBB5_243:                              ;   in Loop: Header=BB5_5 Depth=1
	s_or_b64 exec, exec, s[42:43]
	s_and_b64 s[42:43], s[44:45], exec
.LBB5_244:                              ;   in Loop: Header=BB5_5 Depth=1
	s_or_b64 exec, exec, s[40:41]
	s_and_b64 s[40:41], s[42:43], exec
.LBB5_245:                              ;   in Loop: Header=BB5_5 Depth=1
	s_or_b64 exec, exec, s[38:39]
	s_and_b64 s[38:39], s[40:41], exec
.LBB5_246:                              ;   in Loop: Header=BB5_5 Depth=1
	s_or_b64 exec, exec, s[36:37]
	s_and_b64 s[36:37], s[38:39], exec
.LBB5_247:                              ;   in Loop: Header=BB5_5 Depth=1
	s_or_b64 exec, exec, s[34:35]
	s_and_b64 s[34:35], s[36:37], exec
.LBB5_248:                              ;   in Loop: Header=BB5_5 Depth=1
	s_or_b64 exec, exec, s[30:31]
	s_and_b64 s[30:31], s[34:35], exec
.LBB5_249:                              ;   in Loop: Header=BB5_5 Depth=1
	s_or_b64 exec, exec, s[28:29]
	s_and_b64 s[28:29], s[30:31], exec
.LBB5_250:                              ;   in Loop: Header=BB5_5 Depth=1
	s_or_b64 exec, exec, s[26:27]
	s_and_b64 s[26:27], s[28:29], exec
.LBB5_251:                              ;   in Loop: Header=BB5_5 Depth=1
	s_or_b64 exec, exec, s[24:25]
	s_and_b64 s[24:25], s[26:27], exec
.LBB5_252:                              ;   in Loop: Header=BB5_5 Depth=1
	s_or_b64 exec, exec, s[22:23]
	s_and_b64 s[22:23], s[24:25], exec
.LBB5_253:                              ;   in Loop: Header=BB5_5 Depth=1
	s_or_b64 exec, exec, s[20:21]
	s_and_b64 s[20:21], s[22:23], exec
.LBB5_254:                              ;   in Loop: Header=BB5_5 Depth=1
	s_or_b64 exec, exec, s[18:19]
	s_and_b64 s[18:19], s[20:21], exec
.LBB5_255:                              ;   in Loop: Header=BB5_5 Depth=1
	s_or_b64 exec, exec, s[16:17]
	s_and_b64 s[16:17], s[18:19], exec
.LBB5_256:                              ;   in Loop: Header=BB5_5 Depth=1
	s_or_b64 exec, exec, s[14:15]
	s_and_b64 s[14:15], s[16:17], exec
.LBB5_257:                              ;   in Loop: Header=BB5_5 Depth=1
	s_or_b64 exec, exec, s[8:9]
	s_and_b64 s[8:9], s[14:15], exec
.LBB5_258:                              ;   in Loop: Header=BB5_5 Depth=1
	s_or_b64 exec, exec, s[2:3]
	v_and_b32_e32 v2, 0x60, v7
	v_add_u32_e32 v9, 32, v2
	v_xor_b32_e32 v2, 16, v7
	v_cmp_lt_i32_e32 vcc, v2, v9
	v_cndmask_b32_e32 v2, v7, v2, vcc
	v_cndmask_b32_e64 v4, 0, 1, s[8:9]
	v_lshlrev_b32_e32 v2, 2, v2
	ds_bpermute_b32 v4, v2, v4
	v_xor_b32_e32 v11, 1, v7
	s_waitcnt lgkmcnt(0)
	v_cmp_ne_u32_e32 vcc, 0, v4
	v_xor_b32_e32 v4, 8, v7
	s_and_b64 s[2:3], s[8:9], vcc
	v_cmp_lt_i32_e32 vcc, v4, v9
	v_cndmask_b32_e32 v4, v7, v4, vcc
	v_cndmask_b32_e64 v5, 0, 1, s[2:3]
	v_lshlrev_b32_e32 v4, 2, v4
	ds_bpermute_b32 v5, v4, v5
	s_waitcnt lgkmcnt(0)
	v_cmp_ne_u32_e32 vcc, 0, v5
	v_xor_b32_e32 v5, 4, v7
	s_and_b64 s[2:3], vcc, s[2:3]
	v_cmp_lt_i32_e32 vcc, v5, v9
	v_cndmask_b32_e32 v5, v7, v5, vcc
	v_cndmask_b32_e64 v8, 0, 1, s[2:3]
	v_lshlrev_b32_e32 v5, 2, v5
	ds_bpermute_b32 v8, v5, v8
	s_waitcnt lgkmcnt(0)
	v_cmp_ne_u32_e32 vcc, 0, v8
	v_xor_b32_e32 v8, 2, v7
	s_and_b64 s[2:3], vcc, s[2:3]
	v_cmp_lt_i32_e32 vcc, v8, v9
	v_cndmask_b32_e32 v8, v7, v8, vcc
	v_cndmask_b32_e64 v10, 0, 1, s[2:3]
	v_lshlrev_b32_e32 v8, 2, v8
	ds_bpermute_b32 v10, v8, v10
	s_waitcnt lgkmcnt(0)
	v_cmp_ne_u32_e32 vcc, 0, v10
	s_and_b64 s[2:3], vcc, s[2:3]
	v_cmp_lt_i32_e32 vcc, v11, v9
	v_cndmask_b32_e32 v9, v7, v11, vcc
	v_cndmask_b32_e64 v10, 0, 1, s[2:3]
	v_lshlrev_b32_e32 v9, 2, v9
	ds_bpermute_b32 v10, v9, v10
	s_and_saveexec_b64 s[8:9], s[0:1]
	s_cbranch_execz .LBB5_3
; %bb.259:                              ;   in Loop: Header=BB5_5 Depth=1
	s_waitcnt lgkmcnt(0)
	v_cmp_ne_u32_e32 vcc, 0, v10
	s_and_b64 s[2:3], vcc, s[2:3]
	v_cndmask_b32_e64 v10, 0, 1, s[2:3]
	ds_write_b32 v1, v10
	s_branch .LBB5_3
.LBB5_260:
	s_or_b64 exec, exec, s[4:5]
	v_cmp_eq_u32_e32 vcc, 0, v0
	s_and_saveexec_b64 s[0:1], vcc
	s_cbranch_execz .LBB5_262
; %bb.261:
	s_mul_i32 s0, s33, s7
	s_add_i32 s0, s0, s6
	s_ashr_i32 s1, s0, 31
	s_lshl_b64 s[0:1], s[0:1], 2
	s_add_u32 s0, s10, s0
	s_addc_u32 s1, s11, s1
	v_mov_b32_e32 v0, 0
	global_store_dword v0, v2, s[0:1]
.LBB5_262:
	s_endpgm
	.section	.rodata,"a",@progbits
	.p2align	6, 0x0
	.amdhsa_kernel _ZL25flash_attn_mask_to_KV_maxILi64EEvPK7__half2Piiii
		.amdhsa_group_segment_fixed_size 128
		.amdhsa_private_segment_fixed_size 0
		.amdhsa_kernarg_size 288
		.amdhsa_user_sgpr_count 6
		.amdhsa_user_sgpr_private_segment_buffer 1
		.amdhsa_user_sgpr_dispatch_ptr 0
		.amdhsa_user_sgpr_queue_ptr 0
		.amdhsa_user_sgpr_kernarg_segment_ptr 1
		.amdhsa_user_sgpr_dispatch_id 0
		.amdhsa_user_sgpr_flat_scratch_init 0
		.amdhsa_user_sgpr_kernarg_preload_length 0
		.amdhsa_user_sgpr_kernarg_preload_offset 0
		.amdhsa_user_sgpr_private_segment_size 0
		.amdhsa_uses_dynamic_stack 0
		.amdhsa_system_sgpr_private_segment_wavefront_offset 0
		.amdhsa_system_sgpr_workgroup_id_x 1
		.amdhsa_system_sgpr_workgroup_id_y 1
		.amdhsa_system_sgpr_workgroup_id_z 0
		.amdhsa_system_sgpr_workgroup_info 0
		.amdhsa_system_vgpr_workitem_id 0
		.amdhsa_next_free_vgpr 15
		.amdhsa_next_free_sgpr 96
		.amdhsa_accum_offset 16
		.amdhsa_reserve_vcc 1
		.amdhsa_reserve_flat_scratch 0
		.amdhsa_float_round_mode_32 0
		.amdhsa_float_round_mode_16_64 0
		.amdhsa_float_denorm_mode_32 3
		.amdhsa_float_denorm_mode_16_64 3
		.amdhsa_dx10_clamp 1
		.amdhsa_ieee_mode 1
		.amdhsa_fp16_overflow 0
		.amdhsa_tg_split 0
		.amdhsa_exception_fp_ieee_invalid_op 0
		.amdhsa_exception_fp_denorm_src 0
		.amdhsa_exception_fp_ieee_div_zero 0
		.amdhsa_exception_fp_ieee_overflow 0
		.amdhsa_exception_fp_ieee_underflow 0
		.amdhsa_exception_fp_ieee_inexact 0
		.amdhsa_exception_int_div_zero 0
	.end_amdhsa_kernel
	.section	.text._ZL25flash_attn_mask_to_KV_maxILi64EEvPK7__half2Piiii,"axG",@progbits,_ZL25flash_attn_mask_to_KV_maxILi64EEvPK7__half2Piiii,comdat
.Lfunc_end5:
	.size	_ZL25flash_attn_mask_to_KV_maxILi64EEvPK7__half2Piiii, .Lfunc_end5-_ZL25flash_attn_mask_to_KV_maxILi64EEvPK7__half2Piiii
                                        ; -- End function
	.section	.AMDGPU.csdata,"",@progbits
; Kernel info:
; codeLenInByte = 10324
; NumSgprs: 100
; NumVgprs: 15
; NumAgprs: 0
; TotalNumVgprs: 15
; ScratchSize: 0
; MemoryBound: 0
; FloatMode: 240
; IeeeMode: 1
; LDSByteSize: 128 bytes/workgroup (compile time only)
; SGPRBlocks: 12
; VGPRBlocks: 1
; NumSGPRsForWavesPerEU: 100
; NumVGPRsForWavesPerEU: 15
; AccumOffset: 16
; Occupancy: 8
; WaveLimiterHint : 0
; COMPUTE_PGM_RSRC2:SCRATCH_EN: 0
; COMPUTE_PGM_RSRC2:USER_SGPR: 6
; COMPUTE_PGM_RSRC2:TRAP_HANDLER: 0
; COMPUTE_PGM_RSRC2:TGID_X_EN: 1
; COMPUTE_PGM_RSRC2:TGID_Y_EN: 1
; COMPUTE_PGM_RSRC2:TGID_Z_EN: 0
; COMPUTE_PGM_RSRC2:TIDIG_COMP_CNT: 0
; COMPUTE_PGM_RSRC3_GFX90A:ACCUM_OFFSET: 3
; COMPUTE_PGM_RSRC3_GFX90A:TG_SPLIT: 0
	.section	.text._ZL33flash_attn_stream_k_fixup_uniformILi64ELi64ELi1EEvPfPK15HIP_vector_typeIfLj2EEiiiiiiS1_IjLj3EES5_S5_,"axG",@progbits,_ZL33flash_attn_stream_k_fixup_uniformILi64ELi64ELi1EEvPfPK15HIP_vector_typeIfLj2EEiiiiiiS1_IjLj3EES5_S5_,comdat
	.globl	_ZL33flash_attn_stream_k_fixup_uniformILi64ELi64ELi1EEvPfPK15HIP_vector_typeIfLj2EEiiiiiiS1_IjLj3EES5_S5_ ; -- Begin function _ZL33flash_attn_stream_k_fixup_uniformILi64ELi64ELi1EEvPfPK15HIP_vector_typeIfLj2EEiiiiiiS1_IjLj3EES5_S5_
	.p2align	8
	.type	_ZL33flash_attn_stream_k_fixup_uniformILi64ELi64ELi1EEvPfPK15HIP_vector_typeIfLj2EEiiiiiiS1_IjLj3EES5_S5_,@function
_ZL33flash_attn_stream_k_fixup_uniformILi64ELi64ELi1EEvPfPK15HIP_vector_typeIfLj2EEiiiiiiS1_IjLj3EES5_S5_: ; @_ZL33flash_attn_stream_k_fixup_uniformILi64ELi64ELi1EEvPfPK15HIP_vector_typeIfLj2EEiiiiiiS1_IjLj3EES5_S5_
; %bb.0:
	s_load_dwordx8 s[12:19], s[4:5], 0x1c
	s_load_dwordx2 s[10:11], s[4:5], 0x10
	s_load_dwordx4 s[0:3], s[4:5], 0x3c
	s_waitcnt lgkmcnt(0)
	s_mul_hi_u32 s9, s15, s6
	s_add_i32 s9, s6, s9
	s_lshr_b32 s9, s9, s16
	s_mul_i32 s15, s9, s17
	s_sub_i32 s15, s6, s15
	s_mul_hi_u32 s16, s15, s18
	s_add_i32 s16, s15, s16
	s_lshr_b32 s16, s16, s19
	s_mul_i32 s0, s16, s0
	s_sub_i32 s0, s15, s0
	;; [unrolled: 5-line block ×3, first 2 shown]
	s_lshl_b32 s0, s17, 6
	s_add_i32 s0, s0, s7
	s_cmp_lt_i32 s0, s10
	s_cselect_b64 s[0:1], -1, 0
	s_add_i32 s2, s15, s8
	s_cmp_lt_i32 s2, s13
	s_cselect_b64 s[2:3], -1, 0
	s_and_b64 s[0:1], s[0:1], s[2:3]
	s_andn2_b64 vcc, exec, s[0:1]
	s_cbranch_vccnz .LBB6_6
; %bb.1:
	s_load_dwordx4 s[0:3], s[4:5], 0x0
	s_mul_i32 s4, s9, s10
	s_add_i32 s4, s4, s7
	s_mul_i32 s4, s4, s11
	s_mul_i32 s16, s16, s13
	s_add_i32 s4, s4, s8
	s_add_i32 s4, s4, s16
	s_mul_i32 s5, s11, s17
	s_add_i32 s4, s4, s15
	s_lshl_b32 s5, s5, 12
	s_lshl_b32 s4, s4, 6
	s_add_i32 s5, s5, s4
	v_or_b32_e32 v2, s5, v0
	v_ashrrev_i32_e32 v3, 31, v2
	v_lshlrev_b64 v[2:3], 2, v[2:3]
	s_waitcnt lgkmcnt(0)
	v_mov_b32_e32 v1, s1
	v_add_co_u32_e32 v2, vcc, s0, v2
	v_addc_co_u32_e32 v3, vcc, v1, v3, vcc
	global_load_dword v8, v[2:3], off
	s_add_i32 s4, s7, s8
	s_mul_i32 s7, s6, s14
	s_add_i32 s5, s7, s14
	s_lshl_b32 s0, s5, 6
	s_add_i32 s0, s4, s0
	s_sub_i32 s0, s0, 64
	s_ashr_i32 s1, s0, 31
	s_lshl_b64 s[0:1], s[0:1], 3
	s_add_u32 s0, s2, s0
	s_addc_u32 s1, s3, s1
	s_load_dword s10, s[0:1], 0x4
	s_add_i32 s8, s5, -2
	s_cmp_lt_i32 s8, s7
	s_cbranch_scc1 .LBB6_4
; %bb.2:
	s_lshl_b32 s8, s12, 8
	s_ashr_i32 s9, s8, 31
	s_lshl_b64 s[8:9], s[8:9], 2
	s_add_u32 s8, s2, s8
	s_addc_u32 s11, s3, s9
	s_add_i32 s6, s6, 1
	s_add_i32 s9, s5, -1
	s_mul_i32 s5, s14, s6
	s_load_dword s0, s[0:1], 0x0
	s_lshl_b32 s1, s4, 6
	s_lshl_b32 s6, s5, 12
	s_add_i32 s1, s1, s6
	v_or_b32_e32 v0, s1, v0
	s_lshl_b32 s1, s5, 6
	s_add_i32 s1, s4, s1
	s_lshl_b32 s4, s12, 6
	s_add_i32 s1, s1, s4
	v_add_u32_e32 v0, 0xffffe000, v0
	s_add_i32 s4, s1, 0xffffff80
	s_waitcnt lgkmcnt(0)
	v_mov_b32_e32 v7, s10
	v_mov_b32_e32 v6, s0
	;; [unrolled: 1-line block ×3, first 2 shown]
	s_mov_b32 s6, 0x3fb8aa3b
	s_mov_b32 s10, 0xc2ce8ed0
	;; [unrolled: 1-line block ×3, first 2 shown]
	v_mov_b32_e32 v5, 0x7f800000
	s_mov_b32 s12, 0xc1a00000
.LBB6_3:                                ; =>This Inner Loop Header: Depth=1
	v_ashrrev_i32_e32 v1, 31, v0
	v_lshlrev_b64 v[10:11], 2, v[0:1]
	v_add_co_u32_e32 v10, vcc, s8, v10
	v_addc_co_u32_e32 v11, vcc, v4, v11, vcc
	global_load_dword v1, v[10:11], off
	s_ashr_i32 s5, s4, 31
	s_lshl_b64 s[0:1], s[4:5], 3
	s_add_u32 s0, s2, s0
	s_addc_u32 s1, s3, s1
	s_load_dwordx2 s[14:15], s[0:1], 0x0
	s_waitcnt vmcnt(1)
	v_mov_b32_e32 v9, v8
	v_max_f32_e32 v8, v6, v6
	v_mov_b32_e32 v10, v7
	s_add_i32 s9, s9, -1
	s_waitcnt lgkmcnt(0)
	v_max_f32_e64 v7, s14, s14
	v_max_f32_e32 v7, v8, v7
	v_sub_f32_e32 v11, s14, v7
	v_sub_f32_e32 v8, v6, v7
	v_mul_f32_e32 v12, 0x3fb8aa3b, v11
	v_mov_b32_e32 v6, v7
	v_mul_f32_e32 v7, 0x3fb8aa3b, v8
	v_fma_f32 v15, v11, s6, -v12
	v_rndne_f32_e32 v16, v12
	v_fma_f32 v13, v8, s6, -v7
	v_rndne_f32_e32 v14, v7
	v_fmac_f32_e32 v15, 0x32a5705f, v11
	v_sub_f32_e32 v12, v12, v16
	v_fmac_f32_e32 v13, 0x32a5705f, v8
	v_sub_f32_e32 v7, v7, v14
	v_add_f32_e32 v12, v12, v15
	v_cvt_i32_f32_e32 v16, v16
	v_add_f32_e32 v7, v7, v13
	v_exp_f32_e32 v12, v12
	v_cvt_i32_f32_e32 v14, v14
	v_exp_f32_e32 v7, v7
	v_cmp_ngt_f32_e32 vcc, s10, v11
	v_ldexp_f32 v12, v12, v16
	v_cmp_ngt_f32_e64 s[0:1], s10, v8
	v_ldexp_f32 v7, v7, v14
	v_cndmask_b32_e32 v12, 0, v12, vcc
	v_cmp_nlt_f32_e32 vcc, s11, v11
	v_cndmask_b32_e64 v7, 0, v7, s[0:1]
	v_cmp_nlt_f32_e64 s[0:1], s11, v8
	v_cndmask_b32_e32 v12, v5, v12, vcc
	v_cmp_le_f32_e32 vcc, s12, v11
	v_cndmask_b32_e64 v7, v5, v7, s[0:1]
	v_cmp_le_f32_e64 s[0:1], s12, v8
	v_cndmask_b32_e32 v8, 0, v12, vcc
	s_sub_i32 s4, s4, 64
	v_cndmask_b32_e64 v11, 0, v7, s[0:1]
	v_mul_f32_e32 v7, s15, v8
	v_add_u32_e32 v0, 0xfffff000, v0
	s_cmp_le_i32 s9, s7
	v_fmac_f32_e32 v7, v10, v11
	s_waitcnt vmcnt(0)
	v_mul_f32_e32 v8, v1, v8
	v_fmac_f32_e32 v8, v9, v11
	s_cbranch_scc0 .LBB6_3
	s_branch .LBB6_5
.LBB6_4:
	s_waitcnt lgkmcnt(0)
	v_mov_b32_e32 v7, s10
.LBB6_5:
	s_waitcnt vmcnt(0)
	v_div_scale_f32 v0, s[0:1], v7, v7, v8
	v_rcp_f32_e32 v1, v0
	v_div_scale_f32 v4, vcc, v8, v7, v8
	v_fma_f32 v5, -v0, v1, 1.0
	v_fmac_f32_e32 v1, v5, v1
	v_mul_f32_e32 v5, v4, v1
	v_fma_f32 v6, -v0, v5, v4
	v_fmac_f32_e32 v5, v6, v1
	v_fma_f32 v0, -v0, v5, v4
	v_div_fmas_f32 v0, v0, v1, v5
	v_div_fixup_f32 v0, v0, v7, v8
	global_store_dword v[2:3], v0, off
.LBB6_6:
	s_endpgm
	.section	.rodata,"a",@progbits
	.p2align	6, 0x0
	.amdhsa_kernel _ZL33flash_attn_stream_k_fixup_uniformILi64ELi64ELi1EEvPfPK15HIP_vector_typeIfLj2EEiiiiiiS1_IjLj3EES5_S5_
		.amdhsa_group_segment_fixed_size 0
		.amdhsa_private_segment_fixed_size 0
		.amdhsa_kernarg_size 76
		.amdhsa_user_sgpr_count 6
		.amdhsa_user_sgpr_private_segment_buffer 1
		.amdhsa_user_sgpr_dispatch_ptr 0
		.amdhsa_user_sgpr_queue_ptr 0
		.amdhsa_user_sgpr_kernarg_segment_ptr 1
		.amdhsa_user_sgpr_dispatch_id 0
		.amdhsa_user_sgpr_flat_scratch_init 0
		.amdhsa_user_sgpr_kernarg_preload_length 0
		.amdhsa_user_sgpr_kernarg_preload_offset 0
		.amdhsa_user_sgpr_private_segment_size 0
		.amdhsa_uses_dynamic_stack 0
		.amdhsa_system_sgpr_private_segment_wavefront_offset 0
		.amdhsa_system_sgpr_workgroup_id_x 1
		.amdhsa_system_sgpr_workgroup_id_y 1
		.amdhsa_system_sgpr_workgroup_id_z 1
		.amdhsa_system_sgpr_workgroup_info 0
		.amdhsa_system_vgpr_workitem_id 0
		.amdhsa_next_free_vgpr 17
		.amdhsa_next_free_sgpr 20
		.amdhsa_accum_offset 20
		.amdhsa_reserve_vcc 1
		.amdhsa_reserve_flat_scratch 0
		.amdhsa_float_round_mode_32 0
		.amdhsa_float_round_mode_16_64 0
		.amdhsa_float_denorm_mode_32 3
		.amdhsa_float_denorm_mode_16_64 3
		.amdhsa_dx10_clamp 1
		.amdhsa_ieee_mode 1
		.amdhsa_fp16_overflow 0
		.amdhsa_tg_split 0
		.amdhsa_exception_fp_ieee_invalid_op 0
		.amdhsa_exception_fp_denorm_src 0
		.amdhsa_exception_fp_ieee_div_zero 0
		.amdhsa_exception_fp_ieee_overflow 0
		.amdhsa_exception_fp_ieee_underflow 0
		.amdhsa_exception_fp_ieee_inexact 0
		.amdhsa_exception_int_div_zero 0
	.end_amdhsa_kernel
	.section	.text._ZL33flash_attn_stream_k_fixup_uniformILi64ELi64ELi1EEvPfPK15HIP_vector_typeIfLj2EEiiiiiiS1_IjLj3EES5_S5_,"axG",@progbits,_ZL33flash_attn_stream_k_fixup_uniformILi64ELi64ELi1EEvPfPK15HIP_vector_typeIfLj2EEiiiiiiS1_IjLj3EES5_S5_,comdat
.Lfunc_end6:
	.size	_ZL33flash_attn_stream_k_fixup_uniformILi64ELi64ELi1EEvPfPK15HIP_vector_typeIfLj2EEiiiiiiS1_IjLj3EES5_S5_, .Lfunc_end6-_ZL33flash_attn_stream_k_fixup_uniformILi64ELi64ELi1EEvPfPK15HIP_vector_typeIfLj2EEiiiiiiS1_IjLj3EES5_S5_
                                        ; -- End function
	.section	.AMDGPU.csdata,"",@progbits
; Kernel info:
; codeLenInByte = 840
; NumSgprs: 24
; NumVgprs: 17
; NumAgprs: 0
; TotalNumVgprs: 17
; ScratchSize: 0
; MemoryBound: 0
; FloatMode: 240
; IeeeMode: 1
; LDSByteSize: 0 bytes/workgroup (compile time only)
; SGPRBlocks: 2
; VGPRBlocks: 2
; NumSGPRsForWavesPerEU: 24
; NumVGPRsForWavesPerEU: 17
; AccumOffset: 20
; Occupancy: 8
; WaveLimiterHint : 0
; COMPUTE_PGM_RSRC2:SCRATCH_EN: 0
; COMPUTE_PGM_RSRC2:USER_SGPR: 6
; COMPUTE_PGM_RSRC2:TRAP_HANDLER: 0
; COMPUTE_PGM_RSRC2:TGID_X_EN: 1
; COMPUTE_PGM_RSRC2:TGID_Y_EN: 1
; COMPUTE_PGM_RSRC2:TGID_Z_EN: 1
; COMPUTE_PGM_RSRC2:TIDIG_COMP_CNT: 0
; COMPUTE_PGM_RSRC3_GFX90A:ACCUM_OFFSET: 4
; COMPUTE_PGM_RSRC3_GFX90A:TG_SPLIT: 0
	.section	.text._ZL33flash_attn_stream_k_fixup_generalILi64ELi64ELi1EEvPfPK15HIP_vector_typeIfLj2EEiiiiS1_IjLj3EES5_S5_S5_,"axG",@progbits,_ZL33flash_attn_stream_k_fixup_generalILi64ELi64ELi1EEvPfPK15HIP_vector_typeIfLj2EEiiiiS1_IjLj3EES5_S5_S5_,comdat
	.globl	_ZL33flash_attn_stream_k_fixup_generalILi64ELi64ELi1EEvPfPK15HIP_vector_typeIfLj2EEiiiiS1_IjLj3EES5_S5_S5_ ; -- Begin function _ZL33flash_attn_stream_k_fixup_generalILi64ELi64ELi1EEvPfPK15HIP_vector_typeIfLj2EEiiiiS1_IjLj3EES5_S5_S5_
	.p2align	8
	.type	_ZL33flash_attn_stream_k_fixup_generalILi64ELi64ELi1EEvPfPK15HIP_vector_typeIfLj2EEiiiiS1_IjLj3EES5_S5_S5_,@function
_ZL33flash_attn_stream_k_fixup_generalILi64ELi64ELi1EEvPfPK15HIP_vector_typeIfLj2EEiiiiS1_IjLj3EES5_S5_S5_: ; @_ZL33flash_attn_stream_k_fixup_generalILi64ELi64ELi1EEvPfPK15HIP_vector_typeIfLj2EEiiiiS1_IjLj3EES5_S5_S5_
; %bb.0:
	s_load_dwordx4 s[12:15], s[4:5], 0x10
	s_load_dword s9, s[4:5], 0x50
	s_mov_b32 s2, 0
	s_waitcnt lgkmcnt(0)
	s_mul_hi_i32 s3, s15, s6
	s_cmp_lg_u64 s[2:3], 0
	s_mul_i32 s2, s15, s6
	s_cbranch_scc0 .LBB7_21
; %bb.1:
	v_cvt_f32_u32_e32 v1, s9
	v_cvt_f32_ubyte0_e32 v2, 0
	s_sub_u32 s10, 0, s9
	s_subb_u32 s11, 0, 0
	v_madmk_f32 v1, v2, 0x4f800000, v1
	v_rcp_f32_e32 v1, v1
	v_mul_f32_e32 v1, 0x5f7ffffc, v1
	v_mul_f32_e32 v2, 0x2f800000, v1
	v_trunc_f32_e32 v2, v2
	v_madmk_f32 v1, v2, 0xcf800000, v1
	v_cvt_u32_f32_e32 v2, v2
	v_cvt_u32_f32_e32 v1, v1
	v_readfirstlane_b32 s16, v2
	v_readfirstlane_b32 s17, v1
	s_mul_i32 s18, s10, s16
	s_mul_hi_u32 s20, s10, s17
	s_mul_i32 s19, s11, s17
	s_add_i32 s18, s20, s18
	s_add_i32 s18, s18, s19
	s_mul_i32 s21, s10, s17
	s_mul_hi_u32 s19, s17, s18
	s_mul_i32 s20, s17, s18
	s_mul_hi_u32 s17, s17, s21
	s_add_u32 s17, s17, s20
	s_addc_u32 s19, 0, s19
	s_mul_hi_u32 s22, s16, s21
	s_mul_i32 s21, s16, s21
	s_add_u32 s17, s17, s21
	s_mul_hi_u32 s20, s16, s18
	s_addc_u32 s17, s19, s22
	s_addc_u32 s19, s20, 0
	s_mul_i32 s18, s16, s18
	s_add_u32 s17, s17, s18
	s_addc_u32 s18, 0, s19
	v_add_co_u32_e32 v1, vcc, s17, v1
	s_cmp_lg_u64 vcc, 0
	s_addc_u32 s16, s16, s18
	v_readfirstlane_b32 s18, v1
	s_mul_i32 s17, s10, s16
	s_mul_hi_u32 s19, s10, s18
	s_add_i32 s17, s19, s17
	s_mul_i32 s11, s11, s18
	s_add_i32 s17, s17, s11
	s_mul_i32 s10, s10, s18
	s_mul_hi_u32 s19, s16, s10
	s_mul_i32 s20, s16, s10
	s_mul_i32 s22, s18, s17
	s_mul_hi_u32 s10, s18, s10
	s_mul_hi_u32 s21, s18, s17
	s_add_u32 s10, s10, s22
	s_addc_u32 s18, 0, s21
	s_add_u32 s10, s10, s20
	s_mul_hi_u32 s11, s16, s17
	s_addc_u32 s10, s18, s19
	s_addc_u32 s11, s11, 0
	s_mul_i32 s17, s16, s17
	s_add_u32 s10, s10, s17
	s_addc_u32 s11, 0, s11
	v_add_co_u32_e32 v1, vcc, s10, v1
	s_cmp_lg_u64 vcc, 0
	s_addc_u32 s18, s16, s11
	s_ashr_i32 s10, s3, 31
	s_add_u32 s16, s2, s10
	s_mov_b32 s11, s10
	s_addc_u32 s17, s3, s10
	s_xor_b64 s[16:17], s[16:17], s[10:11]
	v_readfirstlane_b32 s20, v1
	s_mul_i32 s19, s16, s18
	s_mul_hi_u32 s21, s16, s20
	s_mul_hi_u32 s3, s16, s18
	s_add_u32 s19, s21, s19
	s_addc_u32 s3, 0, s3
	s_mul_hi_u32 s22, s17, s20
	s_mul_i32 s20, s17, s20
	s_add_u32 s19, s19, s20
	s_mul_hi_u32 s21, s17, s18
	s_addc_u32 s3, s3, s22
	s_addc_u32 s19, s21, 0
	s_mul_i32 s18, s17, s18
	s_add_u32 s3, s3, s18
	s_addc_u32 s18, 0, s19
	s_add_u32 s19, s3, 1
	s_addc_u32 s20, s18, 0
	s_add_u32 s21, s3, 2
	s_mul_i32 s23, s9, s18
	s_mul_hi_u32 s24, s9, s3
	s_addc_u32 s22, s18, 0
	s_add_i32 s24, s24, s23
	s_mul_i32 s23, s9, s3
	v_mov_b32_e32 v1, s23
	v_sub_co_u32_e32 v1, vcc, s16, v1
	s_cmp_lg_u64 vcc, 0
	s_subb_u32 s16, s17, s24
	v_subrev_co_u32_e32 v2, vcc, s9, v1
	s_cmp_lg_u64 vcc, 0
	s_subb_u32 s17, s16, 0
	v_readfirstlane_b32 s23, v2
	s_cmp_ge_u32 s23, s9
	s_cselect_b32 s23, -1, 0
	s_cmp_eq_u32 s17, 0
	s_cselect_b32 s17, s23, -1
	s_cmp_lg_u32 s17, 0
	s_cselect_b32 s17, s22, s20
	v_readfirstlane_b32 s20, v1
	s_cselect_b32 s19, s21, s19
	s_cmp_ge_u32 s20, s9
	s_cselect_b32 s20, -1, 0
	s_cmp_eq_u32 s16, 0
	s_cselect_b32 s16, s20, -1
	s_cmp_lg_u32 s16, 0
	s_cselect_b32 s17, s17, s18
	s_cselect_b32 s16, s19, s3
	s_xor_b64 s[16:17], s[16:17], s[10:11]
	s_sub_u32 s20, s16, s10
	s_load_dwordx4 s[16:19], s[4:5], 0x44
	s_cbranch_execnz .LBB7_3
.LBB7_2:
	v_cvt_f32_u32_e32 v1, s9
	s_sub_i32 s0, 0, s9
	v_rcp_iflag_f32_e32 v1, v1
	v_mul_f32_e32 v1, 0x4f7ffffe, v1
	v_cvt_u32_f32_e32 v1, v1
	v_readfirstlane_b32 s1, v1
	s_mul_i32 s0, s0, s1
	s_mul_hi_u32 s0, s1, s0
	s_add_i32 s1, s1, s0
	s_mul_hi_u32 s0, s2, s1
	s_mul_i32 s3, s0, s9
	s_sub_i32 s2, s2, s3
	s_add_i32 s1, s0, 1
	s_sub_i32 s3, s2, s9
	s_cmp_ge_u32 s2, s9
	s_cselect_b32 s0, s1, s0
	s_cselect_b32 s2, s3, s2
	s_add_i32 s1, s0, 1
	s_cmp_ge_u32 s2, s9
	s_cselect_b32 s20, s1, s0
.LBB7_3:
	s_add_i32 s0, s6, 1
	s_mul_hi_i32 s3, s15, s0
	s_mov_b32 s2, 0
	s_cmp_lg_u64 s[2:3], 0
	s_mul_i32 s2, s15, s0
	s_cbranch_scc0 .LBB7_22
; %bb.4:
	v_cvt_f32_u32_e32 v1, s9
	v_cvt_f32_ubyte0_e32 v2, 0
	s_sub_u32 s10, 0, s9
	s_subb_u32 s11, 0, 0
	v_madmk_f32 v1, v2, 0x4f800000, v1
	v_rcp_f32_e32 v1, v1
	v_mul_f32_e32 v1, 0x5f7ffffc, v1
	v_mul_f32_e32 v2, 0x2f800000, v1
	v_trunc_f32_e32 v2, v2
	v_madmk_f32 v1, v2, 0xcf800000, v1
	v_cvt_u32_f32_e32 v2, v2
	v_cvt_u32_f32_e32 v1, v1
	s_waitcnt lgkmcnt(0)
	v_readfirstlane_b32 s19, v2
	v_readfirstlane_b32 s21, v1
	s_mul_i32 s22, s10, s19
	s_mul_hi_u32 s24, s10, s21
	s_mul_i32 s23, s11, s21
	s_add_i32 s22, s24, s22
	s_add_i32 s22, s22, s23
	s_mul_i32 s25, s10, s21
	s_mul_hi_u32 s23, s21, s22
	s_mul_i32 s24, s21, s22
	s_mul_hi_u32 s21, s21, s25
	s_add_u32 s21, s21, s24
	s_addc_u32 s23, 0, s23
	s_mul_hi_u32 s26, s19, s25
	s_mul_i32 s25, s19, s25
	s_add_u32 s21, s21, s25
	s_mul_hi_u32 s24, s19, s22
	s_addc_u32 s21, s23, s26
	s_addc_u32 s23, s24, 0
	s_mul_i32 s22, s19, s22
	s_add_u32 s21, s21, s22
	s_addc_u32 s22, 0, s23
	v_add_co_u32_e32 v1, vcc, s21, v1
	s_cmp_lg_u64 vcc, 0
	s_addc_u32 s19, s19, s22
	v_readfirstlane_b32 s22, v1
	s_mul_i32 s21, s10, s19
	s_mul_hi_u32 s23, s10, s22
	s_add_i32 s21, s23, s21
	s_mul_i32 s11, s11, s22
	s_add_i32 s21, s21, s11
	s_mul_i32 s10, s10, s22
	s_mul_hi_u32 s23, s19, s10
	s_mul_i32 s24, s19, s10
	s_mul_i32 s26, s22, s21
	s_mul_hi_u32 s10, s22, s10
	s_mul_hi_u32 s25, s22, s21
	s_add_u32 s10, s10, s26
	s_addc_u32 s22, 0, s25
	s_add_u32 s10, s10, s24
	s_mul_hi_u32 s11, s19, s21
	s_addc_u32 s10, s22, s23
	s_addc_u32 s11, s11, 0
	s_mul_i32 s21, s19, s21
	s_add_u32 s10, s10, s21
	s_addc_u32 s11, 0, s11
	v_add_co_u32_e32 v1, vcc, s10, v1
	s_cmp_lg_u64 vcc, 0
	s_addc_u32 s19, s19, s11
	s_ashr_i32 s10, s3, 31
	s_add_u32 s22, s2, s10
	s_mov_b32 s11, s10
	s_addc_u32 s23, s3, s10
	s_xor_b64 s[22:23], s[22:23], s[10:11]
	v_readfirstlane_b32 s21, v1
	s_mul_i32 s11, s22, s19
	s_mul_hi_u32 s24, s22, s21
	s_mul_hi_u32 s3, s22, s19
	s_add_u32 s11, s24, s11
	s_addc_u32 s3, 0, s3
	s_mul_hi_u32 s25, s23, s21
	s_mul_i32 s21, s23, s21
	s_add_u32 s11, s11, s21
	s_mul_hi_u32 s24, s23, s19
	s_addc_u32 s3, s3, s25
	s_addc_u32 s11, s24, 0
	s_mul_i32 s19, s23, s19
	s_add_u32 s3, s3, s19
	s_addc_u32 s11, 0, s11
	s_mul_i32 s11, s9, s11
	s_mul_hi_u32 s24, s9, s3
	s_add_i32 s24, s24, s11
	s_mul_i32 s11, s9, s3
	v_mov_b32_e32 v1, s11
	s_add_u32 s19, s3, 1
	s_add_u32 s21, s3, 2
	v_sub_co_u32_e32 v1, vcc, s22, v1
	s_cmp_lg_u64 vcc, 0
	s_subb_u32 s11, s23, s24
	v_subrev_co_u32_e32 v2, vcc, s9, v1
	s_cmp_lg_u64 vcc, 0
	s_subb_u32 s22, s11, 0
	v_cmp_le_u32_e32 vcc, s9, v2
	s_cmp_eq_u32 s22, 0
	v_cndmask_b32_e64 v2, 0, -1, vcc
	s_cselect_b64 vcc, -1, 0
	v_cndmask_b32_e32 v2, -1, v2, vcc
	v_mov_b32_e32 v3, s19
	v_mov_b32_e32 v4, s21
	v_cmp_ne_u32_e32 vcc, 0, v2
	v_cndmask_b32_e32 v2, v3, v4, vcc
	v_cmp_le_u32_e32 vcc, s9, v1
	s_cmp_eq_u32 s11, 0
	v_cndmask_b32_e64 v1, 0, -1, vcc
	s_cselect_b64 vcc, -1, 0
	v_cndmask_b32_e32 v1, -1, v1, vcc
	v_mov_b32_e32 v3, s3
	v_cmp_ne_u32_e32 vcc, 0, v1
	v_cndmask_b32_e32 v1, v3, v2, vcc
	v_xor_b32_e32 v1, s10, v1
	v_subrev_co_u32_e32 v2, vcc, s10, v1
	s_cbranch_execnz .LBB7_6
.LBB7_5:
	v_cvt_f32_u32_e32 v1, s9
	s_sub_i32 s0, 0, s9
	s_mov_b32 s1, 0
	v_rcp_iflag_f32_e32 v1, v1
	v_mul_f32_e32 v1, 0x4f7ffffe, v1
	v_cvt_u32_f32_e32 v1, v1
	v_readfirstlane_b32 s3, v1
	s_mul_i32 s0, s0, s3
	s_mul_hi_u32 s0, s3, s0
	s_add_i32 s3, s3, s0
	s_mul_hi_u32 s0, s2, s3
	s_mul_i32 s10, s0, s9
	s_sub_i32 s2, s2, s10
	s_add_i32 s3, s0, 1
	s_sub_i32 s10, s2, s9
	s_cmp_ge_u32 s2, s9
	s_cselect_b32 s0, s3, s0
	s_cselect_b32 s2, s10, s2
	s_add_i32 s3, s0, 1
	s_cmp_ge_u32 s2, s9
	s_cselect_b32 s0, s3, s0
	v_pk_mov_b32 v[2:3], s[0:1], s[0:1] op_sel:[0,1]
.LBB7_6:
	s_waitcnt lgkmcnt(0)
	s_mul_hi_u32 s0, s20, s16
	s_add_i32 s0, s0, s20
	v_mul_hi_u32 v1, v2, s16
	s_lshr_b32 s19, s0, s17
	v_add_u32_e32 v1, v1, v2
	s_mul_i32 s0, s19, s18
	v_lshrrev_b32_e32 v1, s17, v1
	s_cmp_eq_u32 s0, s20
	v_cmp_eq_u32_e64 s[0:1], s19, v1
	v_mul_lo_u32 v1, v1, s18
	v_cmp_eq_u32_e32 vcc, s20, v2
	s_cselect_b64 s[10:11], -1, 0
	v_cmp_ne_u32_e64 s[2:3], v1, v2
	s_and_b64 s[0:1], s[0:1], s[2:3]
	s_or_b64 s[2:3], vcc, s[10:11]
	s_or_b64 s[0:1], s[2:3], s[0:1]
	s_and_b64 vcc, exec, s[0:1]
	s_cbranch_vccnz .LBB7_24
; %bb.7:
	s_load_dwordx8 s[24:31], s[4:5], 0x20
	s_load_dword s0, s[4:5], 0x40
	s_mov_b32 s10, 0
	s_waitcnt lgkmcnt(0)
	s_mul_hi_u32 s1, s20, s24
	s_add_i32 s1, s1, s20
	s_lshr_b32 s11, s1, s25
	s_mul_i32 s1, s11, s26
	s_sub_i32 s1, s20, s1
	s_mul_hi_u32 s2, s1, s27
	s_add_i32 s2, s1, s2
	s_lshr_b32 s25, s2, s28
	s_mul_i32 s2, s25, s29
	s_sub_i32 s1, s1, s2
	s_mul_hi_u32 s2, s1, s30
	s_add_i32 s2, s1, s2
	s_lshr_b32 s24, s2, s31
	s_mul_i32 s0, s24, s0
	s_sub_i32 s0, s1, s0
	s_mul_hi_u32 s1, s0, s16
	s_add_i32 s0, s0, s1
	s_lshr_b32 s26, s0, s17
	s_lshl_b32 s0, s26, 6
	s_add_i32 s0, s0, s7
	s_cmp_lt_i32 s0, s12
	s_cselect_b64 s[0:1], -1, 0
	s_add_i32 s2, s24, s8
	s_cmp_lt_i32 s2, s14
	s_cselect_b64 s[2:3], -1, 0
	s_and_b64 s[0:1], s[0:1], s[2:3]
	s_andn2_b64 vcc, exec, s[0:1]
	s_cbranch_vccnz .LBB7_24
; %bb.8:
	s_load_dwordx4 s[0:3], s[4:5], 0x0
	s_lshl_b32 s4, s9, 8
	s_mov_b32 s5, s10
	s_add_i32 s21, s7, s8
	s_lshl_b64 s[4:5], s[4:5], 2
	s_waitcnt lgkmcnt(0)
	s_add_u32 s22, s2, s4
	s_mul_i32 s4, s11, s12
	s_addc_u32 s23, s3, s5
	s_add_i32 s4, s4, s7
	s_mul_i32 s4, s4, s13
	s_mul_i32 s25, s25, s14
	s_add_i32 s4, s4, s8
	s_add_i32 s4, s4, s25
	s_mul_i32 s5, s13, s26
	s_add_i32 s4, s4, s24
	s_lshl_b32 s5, s5, 12
	s_lshl_b32 s4, s4, 6
	s_add_i32 s5, s5, s4
	v_or_b32_e32 v2, s5, v0
	v_ashrrev_i32_e32 v3, 31, v2
	v_lshlrev_b64 v[2:3], 2, v[2:3]
	v_mov_b32_e32 v1, s1
	v_add_co_u32_e32 v2, vcc, s0, v2
	v_addc_co_u32_e32 v3, vcc, v1, v3, vcc
	global_load_dword v5, v[2:3], off
	v_lshl_or_b32 v4, s21, 6, v0
	v_cvt_f32_u32_e32 v0, s9
	v_cvt_f32_ubyte0_e32 v1, 0
	s_lshl_b32 s0, s6, 6
	s_add_i32 s0, s0, s21
	v_mac_f32_e32 v0, 0x4f800000, v1
	v_rcp_f32_e32 v0, v0
	v_cvt_f32_u32_e32 v1, s9
	s_ashr_i32 s1, s0, 31
	s_lshl_b64 s[0:1], s[0:1], 3
	v_mul_f32_e32 v0, 0x5f7ffffc, v0
	v_rcp_iflag_f32_e32 v1, v1
	s_add_u32 s0, s2, s0
	v_mul_f32_e32 v9, 0x2f800000, v0
	s_addc_u32 s1, s3, s1
	v_trunc_f32_e32 v10, v9
	s_load_dwordx2 s[0:1], s[0:1], 0x0
	v_mac_f32_e32 v0, 0xcf800000, v10
	v_cvt_u32_f32_e32 v9, v0
	v_mul_f32_e32 v0, 0x4f7ffffe, v1
	v_cvt_u32_f32_e32 v10, v10
	v_cvt_u32_f32_e32 v11, v0
	s_add_i32 s8, s6, -1
	s_waitcnt lgkmcnt(0)
	v_mov_b32_e32 v6, s1
	v_mov_b32_e32 v7, s0
	;; [unrolled: 1-line block ×3, first 2 shown]
	s_mov_b32 s6, 0x3fb8aa3b
	s_mov_b32 s7, 0xc2ce8ed0
	;; [unrolled: 1-line block ×4, first 2 shown]
	v_mov_b32_e32 v12, 0x7f800000
	s_mul_hi_i32 s11, s8, s15
	s_cmp_lg_u64 s[10:11], 0
	s_mul_i32 s4, s8, s15
	s_cbranch_scc0 .LBB7_15
.LBB7_9:
	s_sub_u32 s0, 0, s9
	v_readfirstlane_b32 s5, v9
	v_readfirstlane_b32 s24, v10
	s_subb_u32 s1, 0, 0
	s_mul_hi_u32 s20, s0, s5
	s_mul_i32 s25, s0, s24
	s_mul_i32 s14, s1, s5
	s_add_i32 s20, s20, s25
	s_add_i32 s20, s20, s14
	s_mul_i32 s26, s0, s5
	s_mul_hi_u32 s14, s5, s20
	s_mul_i32 s25, s5, s20
	s_mul_hi_u32 s5, s5, s26
	s_add_u32 s5, s5, s25
	s_addc_u32 s14, 0, s14
	s_mul_hi_u32 s27, s24, s26
	s_mul_i32 s26, s24, s26
	s_add_u32 s5, s5, s26
	s_mul_hi_u32 s25, s24, s20
	s_addc_u32 s5, s14, s27
	s_addc_u32 s14, s25, 0
	s_mul_i32 s20, s24, s20
	s_add_u32 s5, s5, s20
	s_addc_u32 s14, 0, s14
	v_add_co_u32_e32 v0, vcc, s5, v9
	s_cmp_lg_u64 vcc, 0
	s_addc_u32 s5, s24, s14
	v_readfirstlane_b32 s20, v0
	s_mul_i32 s14, s0, s5
	s_mul_hi_u32 s24, s0, s20
	s_add_i32 s14, s24, s14
	s_mul_i32 s1, s1, s20
	s_add_i32 s14, s14, s1
	s_mul_i32 s0, s0, s20
	s_mul_hi_u32 s24, s5, s0
	s_mul_i32 s25, s5, s0
	s_mul_i32 s27, s20, s14
	s_mul_hi_u32 s0, s20, s0
	s_mul_hi_u32 s26, s20, s14
	s_add_u32 s0, s0, s27
	s_addc_u32 s20, 0, s26
	s_add_u32 s0, s0, s25
	s_mul_hi_u32 s1, s5, s14
	s_addc_u32 s0, s20, s24
	s_addc_u32 s1, s1, 0
	s_mul_i32 s14, s5, s14
	s_add_u32 s0, s0, s14
	s_addc_u32 s1, 0, s1
	v_add_co_u32_e32 v0, vcc, s0, v0
	s_cmp_lg_u64 vcc, 0
	s_addc_u32 s5, s5, s1
	s_ashr_i32 s0, s11, 31
	s_add_u32 s24, s4, s0
	s_mov_b32 s1, s0
	s_addc_u32 s25, s11, s0
	s_xor_b64 s[24:25], s[24:25], s[0:1]
	v_readfirstlane_b32 s14, v0
	s_mul_i32 s11, s24, s5
	s_mul_hi_u32 s20, s24, s14
	s_mul_hi_u32 s1, s24, s5
	s_add_u32 s11, s20, s11
	s_addc_u32 s1, 0, s1
	s_mul_hi_u32 s26, s25, s14
	s_mul_i32 s14, s25, s14
	s_add_u32 s11, s11, s14
	s_mul_hi_u32 s20, s25, s5
	s_addc_u32 s1, s1, s26
	s_addc_u32 s11, s20, 0
	s_mul_i32 s5, s25, s5
	s_add_u32 s1, s1, s5
	s_addc_u32 s5, 0, s11
	s_mul_i32 s5, s9, s5
	s_mul_hi_u32 s20, s9, s1
	s_add_i32 s20, s20, s5
	s_mul_i32 s5, s9, s1
	v_mov_b32_e32 v0, s5
	s_add_u32 s11, s1, 1
	s_add_u32 s14, s1, 2
	v_sub_co_u32_e32 v0, vcc, s24, v0
	s_cmp_lg_u64 vcc, 0
	s_subb_u32 s5, s25, s20
	v_subrev_co_u32_e32 v1, vcc, s9, v0
	s_cmp_lg_u64 vcc, 0
	s_subb_u32 s20, s5, 0
	v_cmp_le_u32_e32 vcc, s9, v1
	s_cmp_eq_u32 s20, 0
	v_cndmask_b32_e64 v1, 0, -1, vcc
	s_cselect_b64 vcc, -1, 0
	v_cndmask_b32_e32 v1, -1, v1, vcc
	v_mov_b32_e32 v13, s11
	v_mov_b32_e32 v14, s14
	v_cmp_ne_u32_e32 vcc, 0, v1
	v_cndmask_b32_e32 v1, v13, v14, vcc
	v_cmp_le_u32_e32 vcc, s9, v0
	s_cmp_eq_u32 s5, 0
	v_cndmask_b32_e64 v0, 0, -1, vcc
	s_cselect_b64 vcc, -1, 0
	v_cndmask_b32_e32 v0, -1, v0, vcc
	v_mov_b32_e32 v13, s1
	v_cmp_ne_u32_e32 vcc, 0, v0
	v_cndmask_b32_e32 v0, v13, v1, vcc
	v_xor_b32_e32 v0, s0, v0
	v_subrev_co_u32_e32 v0, vcc, s0, v0
	s_cbranch_execnz .LBB7_11
.LBB7_10:
	s_sub_i32 s0, 0, s9
	v_mul_lo_u32 v0, s0, v11
	v_mul_hi_u32 v0, v11, v0
	v_add_u32_e32 v0, v11, v0
	v_mul_hi_u32 v0, s4, v0
	v_mul_lo_u32 v13, v0, s9
	v_sub_u32_e32 v13, s4, v13
	v_add_u32_e32 v1, 1, v0
	v_subrev_u32_e32 v14, s9, v13
	v_cmp_le_u32_e32 vcc, s9, v13
	v_cndmask_b32_e32 v13, v13, v14, vcc
	v_cndmask_b32_e32 v0, v0, v1, vcc
	v_add_u32_e32 v1, 1, v0
	v_cmp_le_u32_e32 vcc, s9, v13
	v_cndmask_b32_e32 v0, v0, v1, vcc
.LBB7_11:
	v_cmp_ne_u32_e32 vcc, v8, v0
	s_cbranch_vccz .LBB7_14
; %bb.12:
	s_add_i32 s0, s8, s9
	s_lshl_b32 s0, s0, 6
	v_mul_hi_u32 v1, v0, s16
	s_add_i32 s0, s0, s21
	s_mov_b32 s1, s10
	v_add_u32_e32 v1, v1, v0
	s_lshl_b64 s[0:1], s[0:1], 3
	v_lshrrev_b32_e32 v1, s17, v1
	s_add_u32 s4, s2, s0
	v_mul_lo_u32 v13, v1, s18
	s_addc_u32 s5, s3, s1
	v_cmp_eq_u32_e32 vcc, v13, v0
	v_cmp_gt_u32_e64 s[0:1], s19, v1
	s_or_b64 s[0:1], s[0:1], vcc
	s_and_b64 vcc, exec, s[0:1]
	s_cbranch_vccnz .LBB7_16
; %bb.13:
	s_add_i32 s11, s8, -1
	s_mov_b64 s[0:1], 0
	s_branch .LBB7_17
.LBB7_14:
                                        ; implicit-def: $sgpr0_sgpr1
                                        ; implicit-def: $vgpr14
                                        ; implicit-def: $vgpr1
                                        ; implicit-def: $vgpr13
                                        ; implicit-def: $sgpr11
                                        ; implicit-def: $vgpr0
	s_branch .LBB7_18
.LBB7_15:
                                        ; implicit-def: $vgpr0_vgpr1
	s_branch .LBB7_10
.LBB7_16:
	s_mov_b64 s[0:1], -1
	s_mov_b32 s11, s8
	v_mov_b32_e32 v0, v8
.LBB7_17:
	v_lshl_add_u32 v14, s8, 12, v4
	v_ashrrev_i32_e32 v15, 31, v14
	v_lshlrev_b64 v[14:15], 2, v[14:15]
	v_mov_b32_e32 v1, s23
	v_add_co_u32_e32 v14, vcc, s22, v14
	v_addc_co_u32_e32 v15, vcc, v1, v15, vcc
	global_load_dword v14, v[14:15], off
	s_load_dwordx2 s[4:5], s[4:5], 0x0
	v_max_f32_e32 v1, v7, v7
	s_waitcnt lgkmcnt(0)
	v_max_f32_e64 v13, s4, s4
	v_max_f32_e32 v1, v1, v13
	v_sub_f32_e32 v13, v7, v1
	v_sub_f32_e32 v15, s4, v1
	v_mul_f32_e32 v16, 0x3fb8aa3b, v13
	v_mul_f32_e32 v17, 0x3fb8aa3b, v15
	v_fma_f32 v18, v13, s6, -v16
	v_rndne_f32_e32 v19, v16
	v_fma_f32 v20, v15, s6, -v17
	v_rndne_f32_e32 v21, v17
	v_fmac_f32_e32 v18, 0x32a5705f, v13
	v_sub_f32_e32 v16, v16, v19
	v_fmac_f32_e32 v20, 0x32a5705f, v15
	v_sub_f32_e32 v17, v17, v21
	v_add_f32_e32 v16, v16, v18
	v_cvt_i32_f32_e32 v19, v19
	v_add_f32_e32 v17, v17, v20
	v_exp_f32_e32 v16, v16
	v_cvt_i32_f32_e32 v21, v21
	v_exp_f32_e32 v17, v17
	v_cmp_ngt_f32_e32 vcc, s7, v13
	v_ldexp_f32 v16, v16, v19
	v_cndmask_b32_e32 v16, 0, v16, vcc
	v_ldexp_f32 v17, v17, v21
	v_cmp_ngt_f32_e32 vcc, s7, v15
	v_cndmask_b32_e32 v17, 0, v17, vcc
	v_cmp_nlt_f32_e32 vcc, s12, v13
	v_cndmask_b32_e32 v16, v12, v16, vcc
	v_cmp_nlt_f32_e32 vcc, s12, v15
	v_cndmask_b32_e32 v17, v12, v17, vcc
	v_cmp_le_f32_e32 vcc, s13, v13
	v_cndmask_b32_e32 v16, 0, v16, vcc
	v_cmp_le_f32_e32 vcc, s13, v15
	v_cndmask_b32_e32 v15, 0, v17, vcc
	v_mul_f32_e32 v13, s5, v15
	v_fmac_f32_e32 v13, v6, v16
	s_waitcnt vmcnt(0)
	v_mul_f32_e32 v14, v14, v15
	v_fmac_f32_e32 v14, v5, v16
	s_cbranch_execnz .LBB7_19
.LBB7_18:
	s_add_i32 s11, s8, -1
	s_mov_b64 s[0:1], 0
	v_mov_b32_e32 v0, v8
	v_mov_b32_e32 v13, v6
	;; [unrolled: 1-line block ×3, first 2 shown]
	s_waitcnt vmcnt(0)
	v_mov_b32_e32 v14, v5
.LBB7_19:
	s_andn2_b64 vcc, exec, s[0:1]
	s_cbranch_vccz .LBB7_23
; %bb.20:
	v_mov_b32_e32 v8, v0
	s_mov_b32 s8, s11
	v_mov_b32_e32 v6, v13
	v_mov_b32_e32 v7, v1
	s_waitcnt vmcnt(0)
	v_mov_b32_e32 v5, v14
	s_mul_hi_i32 s11, s8, s15
	s_cmp_lg_u64 s[10:11], 0
	s_mul_i32 s4, s8, s15
	s_cbranch_scc1 .LBB7_9
	s_branch .LBB7_15
.LBB7_21:
                                        ; implicit-def: $sgpr20_sgpr21
	s_load_dwordx4 s[16:19], s[4:5], 0x44
	s_branch .LBB7_2
.LBB7_22:
                                        ; implicit-def: $vgpr2_vgpr3
	s_branch .LBB7_5
.LBB7_23:
	v_div_scale_f32 v0, s[0:1], v13, v13, v14
	v_rcp_f32_e32 v1, v0
	v_div_scale_f32 v4, vcc, v14, v13, v14
	s_waitcnt vmcnt(0)
	v_fma_f32 v5, -v0, v1, 1.0
	v_fmac_f32_e32 v1, v5, v1
	v_mul_f32_e32 v5, v4, v1
	v_fma_f32 v6, -v0, v5, v4
	v_fmac_f32_e32 v5, v6, v1
	v_fma_f32 v0, -v0, v5, v4
	v_div_fmas_f32 v0, v0, v1, v5
	v_div_fixup_f32 v0, v0, v13, v14
	global_store_dword v[2:3], v0, off
.LBB7_24:
	s_endpgm
	.section	.rodata,"a",@progbits
	.p2align	6, 0x0
	.amdhsa_kernel _ZL33flash_attn_stream_k_fixup_generalILi64ELi64ELi1EEvPfPK15HIP_vector_typeIfLj2EEiiiiS1_IjLj3EES5_S5_S5_
		.amdhsa_group_segment_fixed_size 0
		.amdhsa_private_segment_fixed_size 0
		.amdhsa_kernarg_size 336
		.amdhsa_user_sgpr_count 6
		.amdhsa_user_sgpr_private_segment_buffer 1
		.amdhsa_user_sgpr_dispatch_ptr 0
		.amdhsa_user_sgpr_queue_ptr 0
		.amdhsa_user_sgpr_kernarg_segment_ptr 1
		.amdhsa_user_sgpr_dispatch_id 0
		.amdhsa_user_sgpr_flat_scratch_init 0
		.amdhsa_user_sgpr_kernarg_preload_length 0
		.amdhsa_user_sgpr_kernarg_preload_offset 0
		.amdhsa_user_sgpr_private_segment_size 0
		.amdhsa_uses_dynamic_stack 0
		.amdhsa_system_sgpr_private_segment_wavefront_offset 0
		.amdhsa_system_sgpr_workgroup_id_x 1
		.amdhsa_system_sgpr_workgroup_id_y 1
		.amdhsa_system_sgpr_workgroup_id_z 1
		.amdhsa_system_sgpr_workgroup_info 0
		.amdhsa_system_vgpr_workitem_id 0
		.amdhsa_next_free_vgpr 22
		.amdhsa_next_free_sgpr 32
		.amdhsa_accum_offset 24
		.amdhsa_reserve_vcc 1
		.amdhsa_reserve_flat_scratch 0
		.amdhsa_float_round_mode_32 0
		.amdhsa_float_round_mode_16_64 0
		.amdhsa_float_denorm_mode_32 3
		.amdhsa_float_denorm_mode_16_64 3
		.amdhsa_dx10_clamp 1
		.amdhsa_ieee_mode 1
		.amdhsa_fp16_overflow 0
		.amdhsa_tg_split 0
		.amdhsa_exception_fp_ieee_invalid_op 0
		.amdhsa_exception_fp_denorm_src 0
		.amdhsa_exception_fp_ieee_div_zero 0
		.amdhsa_exception_fp_ieee_overflow 0
		.amdhsa_exception_fp_ieee_underflow 0
		.amdhsa_exception_fp_ieee_inexact 0
		.amdhsa_exception_int_div_zero 0
	.end_amdhsa_kernel
	.section	.text._ZL33flash_attn_stream_k_fixup_generalILi64ELi64ELi1EEvPfPK15HIP_vector_typeIfLj2EEiiiiS1_IjLj3EES5_S5_S5_,"axG",@progbits,_ZL33flash_attn_stream_k_fixup_generalILi64ELi64ELi1EEvPfPK15HIP_vector_typeIfLj2EEiiiiS1_IjLj3EES5_S5_S5_,comdat
.Lfunc_end7:
	.size	_ZL33flash_attn_stream_k_fixup_generalILi64ELi64ELi1EEvPfPK15HIP_vector_typeIfLj2EEiiiiS1_IjLj3EES5_S5_S5_, .Lfunc_end7-_ZL33flash_attn_stream_k_fixup_generalILi64ELi64ELi1EEvPfPK15HIP_vector_typeIfLj2EEiiiiS1_IjLj3EES5_S5_S5_
                                        ; -- End function
	.section	.AMDGPU.csdata,"",@progbits
; Kernel info:
; codeLenInByte = 2816
; NumSgprs: 36
; NumVgprs: 22
; NumAgprs: 0
; TotalNumVgprs: 22
; ScratchSize: 0
; MemoryBound: 0
; FloatMode: 240
; IeeeMode: 1
; LDSByteSize: 0 bytes/workgroup (compile time only)
; SGPRBlocks: 4
; VGPRBlocks: 2
; NumSGPRsForWavesPerEU: 36
; NumVGPRsForWavesPerEU: 22
; AccumOffset: 24
; Occupancy: 8
; WaveLimiterHint : 0
; COMPUTE_PGM_RSRC2:SCRATCH_EN: 0
; COMPUTE_PGM_RSRC2:USER_SGPR: 6
; COMPUTE_PGM_RSRC2:TRAP_HANDLER: 0
; COMPUTE_PGM_RSRC2:TGID_X_EN: 1
; COMPUTE_PGM_RSRC2:TGID_Y_EN: 1
; COMPUTE_PGM_RSRC2:TGID_Z_EN: 1
; COMPUTE_PGM_RSRC2:TIDIG_COMP_CNT: 0
; COMPUTE_PGM_RSRC3_GFX90A:ACCUM_OFFSET: 5
; COMPUTE_PGM_RSRC3_GFX90A:TG_SPLIT: 0
	.section	.text._ZL26flash_attn_combine_resultsILi64EEvPKfPK15HIP_vector_typeIfLj2EEPfi,"axG",@progbits,_ZL26flash_attn_combine_resultsILi64EEvPKfPK15HIP_vector_typeIfLj2EEPfi,comdat
	.globl	_ZL26flash_attn_combine_resultsILi64EEvPKfPK15HIP_vector_typeIfLj2EEPfi ; -- Begin function _ZL26flash_attn_combine_resultsILi64EEvPKfPK15HIP_vector_typeIfLj2EEPfi
	.p2align	8
	.type	_ZL26flash_attn_combine_resultsILi64EEvPKfPK15HIP_vector_typeIfLj2EEPfi,@function
_ZL26flash_attn_combine_resultsILi64EEvPKfPK15HIP_vector_typeIfLj2EEPfi: ; @_ZL26flash_attn_combine_resultsILi64EEvPKfPK15HIP_vector_typeIfLj2EEPfi
; %bb.0:
	s_load_dwordx2 s[10:11], s[4:5], 0x20
	s_load_dword s17, s[4:5], 0x18
	s_load_dwordx4 s[0:3], s[4:5], 0x0
	s_load_dwordx2 s[14:15], s[4:5], 0x10
	s_waitcnt lgkmcnt(0)
	s_mul_i32 s4, s10, s8
	s_add_i32 s4, s4, s6
	s_mul_i32 s16, s4, s11
	s_add_i32 s16, s16, s7
	s_lshl_b32 s18, s17, 1
	s_mul_i32 s4, s16, s17
	v_cmp_gt_i32_e32 vcc, s18, v0
	s_and_saveexec_b64 s[6:7], vcc
	s_cbranch_execz .LBB8_13
; %bb.1:
	v_xad_u32 v1, v0, -1, s18
	s_ashr_i32 s5, s4, 31
	v_cmp_lt_u32_e32 vcc, 63, v1
	s_mov_b64 s[10:11], -1
	v_mov_b32_e32 v2, v0
	s_and_saveexec_b64 s[8:9], vcc
	s_cbranch_execz .LBB8_10
; %bb.2:
	v_lshrrev_b32_e32 v6, 6, v1
	s_lshl_b64 s[10:11], s[4:5], 3
	v_add_u32_e32 v2, -1, v6
	s_add_u32 s19, s2, s10
	v_or_b32_e32 v1, 64, v0
	v_lshrrev_b32_e32 v3, 1, v2
	s_addc_u32 s20, s3, s11
	v_add_u32_e32 v7, 1, v3
	v_cmp_lt_u32_e32 vcc, 13, v2
	v_mov_b32_e32 v4, 0
	v_pk_mov_b32 v[2:3], v[0:1], v[0:1] op_sel:[0,1]
	s_and_saveexec_b64 s[10:11], vcc
	s_cbranch_execz .LBB8_6
; %bb.3:
	v_and_b32_e32 v8, -8, v7
	s_mov_b32 s21, 0
	v_lshl_add_u32 v9, v0, 2, 0
	s_mov_b64 s[12:13], 0
	v_mov_b32_e32 v10, s20
	v_mov_b32_e32 v5, 0
	v_pk_mov_b32 v[2:3], v[0:1], v[0:1] op_sel:[0,1]
.LBB8_4:                                ; =>This Inner Loop Header: Depth=1
	v_mov_b32_e32 v4, v2
	v_lshlrev_b64 v[26:27], 2, v[4:5]
	v_add_u32_e32 v12, 0x80, v3
	v_mov_b32_e32 v13, v5
	v_add_co_u32_e32 v26, vcc, s19, v26
	v_lshlrev_b64 v[12:13], 2, v[12:13]
	v_addc_co_u32_e32 v27, vcc, v10, v27, vcc
	v_add_u32_e32 v14, 0x100, v3
	v_mov_b32_e32 v15, v5
	v_add_co_u32_e32 v12, vcc, s19, v12
	v_lshlrev_b64 v[14:15], 2, v[14:15]
	v_addc_co_u32_e32 v13, vcc, v10, v13, vcc
	;; [unrolled: 5-line block ×7, first 2 shown]
	v_mov_b32_e32 v4, v3
	v_add_co_u32_e32 v24, vcc, s19, v24
	v_lshlrev_b64 v[28:29], 2, v[4:5]
	v_addc_co_u32_e32 v25, vcc, v10, v25, vcc
	v_add_u32_e32 v4, 0x80, v2
	v_add_co_u32_e32 v28, vcc, s19, v28
	v_addc_co_u32_e32 v29, vcc, v10, v29, vcc
	global_load_dword v1, v[26:27], off
	v_lshlrev_b64 v[26:27], 2, v[4:5]
	v_add_u32_e32 v4, 0x100, v2
	v_add_co_u32_e32 v26, vcc, s19, v26
	v_addc_co_u32_e32 v27, vcc, v10, v27, vcc
	v_lshlrev_b64 v[30:31], 2, v[4:5]
	v_add_u32_e32 v4, 0x180, v2
	global_load_dword v11, v[28:29], off
	global_load_dword v32, v[26:27], off
	global_load_dword v33, v[12:13], off
	v_add_co_u32_e32 v12, vcc, s19, v30
	v_addc_co_u32_e32 v13, vcc, v10, v31, vcc
	v_lshlrev_b64 v[26:27], 2, v[4:5]
	v_add_u32_e32 v4, 0x200, v2
	v_add_co_u32_e32 v26, vcc, s19, v26
	v_addc_co_u32_e32 v27, vcc, v10, v27, vcc
	v_lshlrev_b64 v[28:29], 2, v[4:5]
	v_add_u32_e32 v4, 0x280, v2
	global_load_dword v30, v[12:13], off
	global_load_dword v31, v[14:15], off
	;; [unrolled: 1-line block ×4, first 2 shown]
	v_add_co_u32_e32 v12, vcc, s19, v28
	v_addc_co_u32_e32 v13, vcc, v10, v29, vcc
	v_lshlrev_b64 v[14:15], 2, v[4:5]
	v_add_u32_e32 v4, 0x300, v2
	v_add_co_u32_e32 v14, vcc, s19, v14
	v_addc_co_u32_e32 v15, vcc, v10, v15, vcc
	v_lshlrev_b64 v[16:17], 2, v[4:5]
	v_add_u32_e32 v4, 0x380, v2
	global_load_dword v26, v[12:13], off
	global_load_dword v27, v[18:19], off
	;; [unrolled: 1-line block ×4, first 2 shown]
	v_add_co_u32_e32 v12, vcc, s19, v16
	v_addc_co_u32_e32 v13, vcc, v10, v17, vcc
	v_lshlrev_b64 v[14:15], 2, v[4:5]
	v_add_co_u32_e32 v14, vcc, s19, v14
	v_addc_co_u32_e32 v15, vcc, v10, v15, vcc
	global_load_dword v16, v[12:13], off
	global_load_dword v17, v[22:23], off
	;; [unrolled: 1-line block ×4, first 2 shown]
	v_add_u32_e32 v8, -8, v8
	s_add_i32 s21, s21, 16
	v_cmp_eq_u32_e32 vcc, 0, v8
	v_add_u32_e32 v3, 0x400, v3
	v_mov_b32_e32 v4, s21
	s_or_b64 s[12:13], vcc, s[12:13]
	v_add_u32_e32 v2, 0x400, v2
	s_waitcnt vmcnt(14)
	ds_write2st64_b32 v9, v1, v11 offset1:1
	s_waitcnt vmcnt(12)
	ds_write2st64_b32 v9, v32, v33 offset0:2 offset1:3
	s_waitcnt vmcnt(10)
	ds_write2st64_b32 v9, v30, v31 offset0:4 offset1:5
	;; [unrolled: 2-line block ×7, first 2 shown]
	v_add_u32_e32 v9, 0x1000, v9
	s_andn2_b64 exec, exec, s[12:13]
	s_cbranch_execnz .LBB8_4
; %bb.5:
	s_or_b64 exec, exec, s[12:13]
.LBB8_6:
	s_or_b64 exec, exec, s[10:11]
	v_and_b32_e32 v1, 7, v7
	v_cmp_ne_u32_e32 vcc, 0, v1
	s_and_saveexec_b64 s[10:11], vcc
	s_cbranch_execz .LBB8_9
; %bb.7:
	v_lshlrev_b32_e32 v5, 2, v0
	v_lshl_or_b32 v4, v4, 8, v5
	v_add_u32_e32 v7, 0, v4
	s_mov_b64 s[12:13], 0
	v_mov_b32_e32 v8, s20
	v_mov_b32_e32 v5, 0
.LBB8_8:                                ; =>This Inner Loop Header: Depth=1
	v_mov_b32_e32 v4, v2
	v_lshlrev_b64 v[10:11], 2, v[4:5]
	v_mov_b32_e32 v4, v3
	v_add_co_u32_e32 v10, vcc, s19, v10
	v_addc_co_u32_e32 v11, vcc, v8, v11, vcc
	v_lshlrev_b64 v[12:13], 2, v[4:5]
	v_add_co_u32_e32 v12, vcc, s19, v12
	v_addc_co_u32_e32 v13, vcc, v8, v13, vcc
	global_load_dword v4, v[10:11], off
	global_load_dword v9, v[12:13], off
	v_add_u32_e32 v1, -1, v1
	v_cmp_eq_u32_e32 vcc, 0, v1
	v_add_u32_e32 v2, 0x80, v2
	v_add_u32_e32 v3, 0x80, v3
	s_or_b64 s[12:13], vcc, s[12:13]
	s_waitcnt vmcnt(0)
	ds_write2st64_b32 v7, v4, v9 offset1:1
	v_add_u32_e32 v7, 0x200, v7
	s_andn2_b64 exec, exec, s[12:13]
	s_cbranch_execnz .LBB8_8
.LBB8_9:
	s_or_b64 exec, exec, s[10:11]
	v_add_u32_e32 v1, 1, v6
	v_and_b32_e32 v3, 0x7fffffe, v1
	v_cmp_ne_u32_e32 vcc, v1, v3
	v_lshl_or_b32 v2, v3, 6, v0
	s_orn2_b64 s[10:11], vcc, exec
.LBB8_10:
	s_or_b64 exec, exec, s[8:9]
	s_and_b64 exec, exec, s[10:11]
	s_cbranch_execz .LBB8_13
; %bb.11:
	s_lshl_b64 s[8:9], s[4:5], 3
	v_mov_b32_e32 v3, 0
	s_add_u32 s2, s2, s8
	v_lshlrev_b64 v[4:5], 2, v[2:3]
	s_addc_u32 s3, s3, s9
	v_mov_b32_e32 v1, s3
	v_add_co_u32_e32 v4, vcc, s2, v4
	v_addc_co_u32_e32 v5, vcc, v1, v5, vcc
	v_lshl_add_u32 v1, v2, 2, 0
	s_mov_b64 s[2:3], 0
.LBB8_12:                               ; =>This Inner Loop Header: Depth=1
	global_load_dword v3, v[4:5], off
	v_add_co_u32_e32 v4, vcc, 0x100, v4
	v_add_u32_e32 v2, 64, v2
	v_addc_co_u32_e32 v5, vcc, 0, v5, vcc
	v_cmp_le_i32_e32 vcc, s18, v2
	s_or_b64 s[2:3], vcc, s[2:3]
	s_waitcnt vmcnt(0)
	ds_write_b32 v1, v3
	v_add_u32_e32 v1, 0x100, v1
	s_andn2_b64 exec, exec, s[2:3]
	s_cbranch_execnz .LBB8_12
.LBB8_13:
	s_or_b64 exec, exec, s[6:7]
	v_mov_b32_e32 v1, 0
	s_waitcnt lgkmcnt(0)
	; wave barrier
	s_waitcnt lgkmcnt(0)
	ds_read_b32 v1, v1
	s_cmp_lt_i32 s17, 2
	s_cbranch_scc1 .LBB8_21
; %bb.14:
	s_add_i32 s2, s17, -1
	s_add_i32 s3, s17, -2
	s_cmp_lt_u32 s3, 7
	s_cbranch_scc1 .LBB8_18
; %bb.15:
	s_mov_b32 s6, 0
	s_add_i32 s3, 0, 8
	s_and_b32 s5, s2, -8
.LBB8_16:                               ; =>This Inner Loop Header: Depth=1
	v_mov_b32_e32 v8, s3
	ds_read2_b32 v[2:3], v8 offset1:2
	ds_read2_b32 v[4:5], v8 offset0:4 offset1:6
	ds_read2_b32 v[6:7], v8 offset0:8 offset1:10
	ds_read2_b32 v[8:9], v8 offset0:12 offset1:14
	s_mov_b32 s7, s6
	s_waitcnt lgkmcnt(3)
	v_max3_f32 v1, v1, v2, v3
	s_waitcnt lgkmcnt(2)
	v_max3_f32 v1, v1, v4, v5
	s_add_i32 s3, s3, 64
	s_add_i32 s6, s6, 8
	s_waitcnt lgkmcnt(1)
	v_max3_f32 v1, v1, v6, v7
	s_cmp_eq_u32 s5, s6
	s_waitcnt lgkmcnt(0)
	v_max3_f32 v1, v1, v8, v9
	s_cbranch_scc0 .LBB8_16
; %bb.17:
	s_add_i32 s3, s7, 9
	s_and_b32 s2, s2, 7
	s_cmp_eq_u32 s2, 0
	s_cbranch_scc0 .LBB8_19
	s_branch .LBB8_21
.LBB8_18:
	s_mov_b32 s3, 1
	s_and_b32 s2, s2, 7
	s_cmp_eq_u32 s2, 0
	s_cbranch_scc1 .LBB8_21
.LBB8_19:
	s_lshl_b32 s3, s3, 3
	s_add_i32 s3, s3, 0
.LBB8_20:                               ; =>This Inner Loop Header: Depth=1
	v_mov_b32_e32 v2, s3
	ds_read_b32 v2, v2
	s_waitcnt lgkmcnt(1)
	v_max_f32_e32 v1, v1, v1
	s_add_i32 s3, s3, 8
	s_add_i32 s2, s2, -1
	s_cmp_lg_u32 s2, 0
	s_waitcnt lgkmcnt(0)
	v_max_f32_e32 v2, v2, v2
	v_max_f32_e32 v1, v1, v2
	s_cbranch_scc1 .LBB8_20
.LBB8_21:
	s_cmp_lt_i32 s17, 1
	s_cbranch_scc1 .LBB8_26
; %bb.22:
	s_lshl_b32 s2, s4, 6
	s_ashr_i32 s3, s2, 31
	s_lshl_b64 s[2:3], s[2:3], 2
	s_add_u32 s18, s0, s2
	s_addc_u32 s19, s1, s3
	s_cmp_lt_u32 s17, 8
	v_mov_b32_e32 v6, 0
	s_cbranch_scc1 .LBB8_27
; %bb.23:
	s_and_b32 s20, s17, 0x7ffffff8
	v_or_b32_e32 v2, 0x1c0, v0
	s_mov_b32 s21, 0
	v_mov_b32_e32 v5, 0
	s_mov_b32 s22, 0x3fb8aa3b
	s_mov_b32 s23, 0xc2ce8ed0
	;; [unrolled: 1-line block ×3, first 2 shown]
	v_mov_b32_e32 v8, 0x7f800000
	v_mov_b32_e32 v9, s19
	s_mov_b32 s25, 0
	v_mov_b32_e32 v7, 0
	v_mov_b32_e32 v6, 0
.LBB8_24:                               ; =>This Inner Loop Header: Depth=1
	v_add_u32_e32 v4, 0xfffffe40, v2
	v_lshlrev_b64 v[26:27], 2, v[4:5]
	v_mov_b32_e32 v3, v5
	v_add_co_u32_e32 v26, vcc, s18, v26
	v_lshlrev_b64 v[28:29], 2, v[2:3]
	v_addc_co_u32_e32 v27, vcc, v9, v27, vcc
	v_add_u32_e32 v4, 0xfffffe80, v2
	v_add_co_u32_e32 v28, vcc, s18, v28
	v_mov_b32_e32 v22, s21
	v_lshlrev_b64 v[30:31], 2, v[4:5]
	v_addc_co_u32_e32 v29, vcc, v9, v29, vcc
	ds_read2_b64 v[10:13], v22 offset1:1
	ds_read2_b64 v[14:17], v22 offset0:2 offset1:3
	ds_read2_b64 v[18:21], v22 offset0:4 offset1:5
	;; [unrolled: 1-line block ×3, first 2 shown]
	v_add_u32_e32 v4, 0xfffffec0, v2
	global_load_dword v3, v[26:27], off
	v_add_co_u32_e32 v26, vcc, s18, v30
	v_addc_co_u32_e32 v27, vcc, v9, v31, vcc
	v_lshlrev_b64 v[30:31], 2, v[4:5]
	v_add_u32_e32 v4, 0xffffff00, v2
	v_add_co_u32_e32 v30, vcc, s18, v30
	v_addc_co_u32_e32 v31, vcc, v9, v31, vcc
	v_lshlrev_b64 v[32:33], 2, v[4:5]
	v_add_u32_e32 v4, 0xffffff40, v2
	global_load_dword v34, v[26:27], off
	global_load_dword v35, v[30:31], off
	v_add_co_u32_e32 v26, vcc, s18, v32
	v_addc_co_u32_e32 v27, vcc, v9, v33, vcc
	v_lshlrev_b64 v[30:31], 2, v[4:5]
	v_add_u32_e32 v4, 0xffffff80, v2
	v_add_co_u32_e32 v30, vcc, s18, v30
	v_addc_co_u32_e32 v31, vcc, v9, v31, vcc
	v_lshlrev_b64 v[32:33], 2, v[4:5]
	global_load_dword v36, v[26:27], off
	v_subrev_u32_e32 v4, 64, v2
	global_load_dword v28, v[28:29], off
	v_add_co_u32_e32 v26, vcc, s18, v32
	v_addc_co_u32_e32 v27, vcc, v9, v33, vcc
	global_load_dword v42, v[30:31], off
	s_waitcnt lgkmcnt(3)
	v_sub_f32_e32 v12, v12, v1
	global_load_dword v26, v[26:27], off
	v_lshlrev_b64 v[30:31], 2, v[4:5]
	v_add_co_u32_e32 v30, vcc, s18, v30
	v_addc_co_u32_e32 v31, vcc, v9, v31, vcc
	global_load_dword v30, v[30:31], off
	s_waitcnt lgkmcnt(2)
	v_sub_f32_e32 v14, v14, v1
	v_sub_f32_e32 v10, v10, v1
	v_mul_f32_e32 v38, 0x3fb8aa3b, v12
	v_mul_f32_e32 v39, 0x3fb8aa3b, v14
	s_waitcnt lgkmcnt(1)
	v_sub_f32_e32 v18, v18, v1
	s_waitcnt lgkmcnt(0)
	v_sub_f32_e32 v22, v22, v1
	v_mul_f32_e32 v37, 0x3fb8aa3b, v10
	v_fma_f32 v45, v12, s22, -v38
	v_rndne_f32_e32 v46, v38
	v_fma_f32 v47, v14, s22, -v39
	v_rndne_f32_e32 v48, v39
	v_sub_f32_e32 v16, v16, v1
	v_sub_f32_e32 v20, v20, v1
	v_mul_f32_e32 v41, 0x3fb8aa3b, v18
	v_mul_f32_e32 v32, 0x3fb8aa3b, v22
	v_fma_f32 v33, v10, s22, -v37
	v_rndne_f32_e32 v44, v37
	v_fmac_f32_e32 v45, 0x32a5705f, v12
	v_sub_f32_e32 v38, v38, v46
	v_fmac_f32_e32 v47, 0x32a5705f, v14
	v_sub_f32_e32 v39, v39, v48
	v_mul_f32_e32 v40, 0x3fb8aa3b, v16
	v_mul_f32_e32 v43, 0x3fb8aa3b, v20
	v_fma_f32 v27, v18, s22, -v41
	v_rndne_f32_e32 v31, v41
	v_fmac_f32_e32 v33, 0x32a5705f, v10
	v_sub_f32_e32 v37, v37, v44
	v_add_f32_e32 v38, v38, v45
	v_fma_f32 v45, v22, s22, -v32
	v_add_f32_e32 v39, v39, v47
	v_rndne_f32_e32 v47, v32
	v_fma_f32 v49, v16, s22, -v40
	v_rndne_f32_e32 v50, v40
	v_fma_f32 v29, v20, s22, -v43
	v_add_f32_e32 v33, v37, v33
	v_rndne_f32_e32 v37, v43
	v_fmac_f32_e32 v27, 0x32a5705f, v18
	v_sub_f32_e32 v41, v41, v31
	v_fmac_f32_e32 v45, 0x32a5705f, v22
	v_sub_f32_e32 v32, v32, v47
	;; [unrolled: 2-line block ×3, first 2 shown]
	v_add_f32_e32 v27, v41, v27
	v_cvt_i32_f32_e32 v44, v44
	v_fmac_f32_e32 v29, 0x32a5705f, v20
	v_sub_f32_e32 v43, v43, v37
	v_add_f32_e32 v32, v32, v45
	v_exp_f32_e32 v33, v33
	v_add_f32_e32 v40, v40, v49
	v_cvt_i32_f32_e32 v46, v46
	v_cvt_i32_f32_e32 v31, v31
	;; [unrolled: 1-line block ×3, first 2 shown]
	v_add_f32_e32 v29, v43, v29
	v_exp_f32_e32 v38, v38
	v_exp_f32_e32 v27, v27
	;; [unrolled: 1-line block ×3, first 2 shown]
	v_sub_f32_e32 v24, v24, v1
	v_cvt_i32_f32_e32 v48, v48
	v_cvt_i32_f32_e32 v50, v50
	;; [unrolled: 1-line block ×3, first 2 shown]
	v_exp_f32_e32 v39, v39
	v_exp_f32_e32 v40, v40
	;; [unrolled: 1-line block ×3, first 2 shown]
	v_mul_f32_e32 v4, 0x3fb8aa3b, v24
	v_fma_f32 v49, v24, s22, -v4
	v_rndne_f32_e32 v41, v4
	v_ldexp_f32 v33, v33, v44
	v_cmp_ngt_f32_e64 s[12:13], s23, v10
	v_fmac_f32_e32 v49, 0x32a5705f, v24
	v_sub_f32_e32 v4, v4, v41
	v_ldexp_f32 v38, v38, v46
	v_cmp_ngt_f32_e32 vcc, s23, v12
	v_ldexp_f32 v27, v27, v31
	v_ldexp_f32 v31, v32, v47
	v_cndmask_b32_e64 v32, 0, v33, s[12:13]
	v_cmp_nlt_f32_e64 s[12:13], s24, v10
	v_add_f32_e32 v4, v4, v49
	v_ldexp_f32 v39, v39, v48
	v_cmp_ngt_f32_e64 s[0:1], s23, v14
	v_ldexp_f32 v40, v40, v50
	v_cmp_ngt_f32_e64 s[2:3], s23, v16
	v_cmp_ngt_f32_e64 s[4:5], s23, v18
	v_ldexp_f32 v29, v29, v37
	v_cmp_ngt_f32_e64 s[6:7], s23, v20
	v_cmp_ngt_f32_e64 s[8:9], s23, v22
	v_cndmask_b32_e32 v33, 0, v38, vcc
	v_cmp_nlt_f32_e32 vcc, s24, v12
	v_cndmask_b32_e64 v10, v8, v32, s[12:13]
	v_cvt_i32_f32_e32 v41, v41
	v_exp_f32_e32 v4, v4
	v_cndmask_b32_e64 v12, 0, v39, s[0:1]
	v_cmp_nlt_f32_e64 s[0:1], s24, v14
	v_cndmask_b32_e64 v14, 0, v40, s[2:3]
	v_cmp_nlt_f32_e64 s[2:3], s24, v16
	;; [unrolled: 2-line block ×5, first 2 shown]
	v_cndmask_b32_e32 v22, v8, v33, vcc
	v_fmac_f32_e32 v7, v10, v11
	s_waitcnt vmcnt(7)
	v_fmac_f32_e32 v6, v3, v10
	v_cndmask_b32_e64 v12, v8, v12, s[0:1]
	v_fmac_f32_e32 v7, v22, v13
	s_waitcnt vmcnt(6)
	v_fmac_f32_e32 v6, v34, v22
	v_cndmask_b32_e64 v14, v8, v14, s[2:3]
	;; [unrolled: 4-line block ×3, first 2 shown]
	v_fmac_f32_e32 v7, v14, v17
	s_waitcnt vmcnt(4)
	v_fmac_f32_e32 v6, v36, v14
	v_ldexp_f32 v4, v4, v41
	v_cmp_ngt_f32_e64 s[10:11], s23, v24
	v_cndmask_b32_e64 v18, v8, v18, s[6:7]
	v_fmac_f32_e32 v7, v16, v19
	s_waitcnt vmcnt(2)
	v_fmac_f32_e32 v6, v42, v16
	v_cndmask_b32_e64 v4, 0, v4, s[10:11]
	v_cmp_nlt_f32_e64 s[10:11], s24, v24
	v_cndmask_b32_e64 v20, v8, v20, s[8:9]
	v_fmac_f32_e32 v7, v18, v21
	s_waitcnt vmcnt(1)
	v_fmac_f32_e32 v6, v26, v18
	s_add_i32 s25, s25, 8
	s_add_i32 s21, s21, 64
	v_cndmask_b32_e64 v4, v8, v4, s[10:11]
	v_fmac_f32_e32 v7, v20, v23
	s_waitcnt vmcnt(0)
	v_fmac_f32_e32 v6, v30, v20
	s_cmp_eq_u32 s20, s25
	v_add_u32_e32 v2, 0x200, v2
	v_fmac_f32_e32 v7, v4, v25
	v_fmac_f32_e32 v6, v28, v4
	s_cbranch_scc0 .LBB8_24
; %bb.25:
	s_and_b32 s0, s17, 7
	s_cmp_eq_u32 s0, 0
	s_cbranch_scc0 .LBB8_28
	s_branch .LBB8_30
.LBB8_26:
	s_waitcnt lgkmcnt(0)
	v_mov_b32_e32 v1, 0x7fc00000
	s_branch .LBB8_31
.LBB8_27:
	s_mov_b32 s20, 0
	v_mov_b32_e32 v7, 0
	s_and_b32 s0, s17, 7
	s_cmp_eq_u32 s0, 0
	s_cbranch_scc1 .LBB8_30
.LBB8_28:
	s_lshl_b32 s1, s20, 3
	v_lshl_or_b32 v2, s20, 6, v0
	s_add_i32 s1, s1, 0
	s_mov_b32 s2, 0x3fb8aa3b
	s_mov_b32 s3, 0xc2ce8ed0
	;; [unrolled: 1-line block ×3, first 2 shown]
	v_mov_b32_e32 v4, 0x7f800000
	v_mov_b32_e32 v3, 0
	;; [unrolled: 1-line block ×3, first 2 shown]
.LBB8_29:                               ; =>This Inner Loop Header: Depth=1
	v_lshlrev_b64 v[8:9], 2, v[2:3]
	v_add_co_u32_e32 v8, vcc, s18, v8
	v_addc_co_u32_e32 v9, vcc, v5, v9, vcc
	global_load_dword v10, v[8:9], off
	v_mov_b32_e32 v8, s1
	ds_read_b64 v[8:9], v8
	s_add_i32 s1, s1, 8
	s_add_i32 s0, s0, -1
	v_add_u32_e32 v2, 64, v2
	s_cmp_lg_u32 s0, 0
	s_waitcnt lgkmcnt(0)
	v_sub_f32_e32 v8, v8, v1
	v_mul_f32_e32 v11, 0x3fb8aa3b, v8
	v_fma_f32 v12, v8, s2, -v11
	v_rndne_f32_e32 v13, v11
	v_fmac_f32_e32 v12, 0x32a5705f, v8
	v_sub_f32_e32 v11, v11, v13
	v_add_f32_e32 v11, v11, v12
	v_cvt_i32_f32_e32 v13, v13
	v_exp_f32_e32 v11, v11
	v_cmp_ngt_f32_e32 vcc, s3, v8
	v_ldexp_f32 v11, v11, v13
	v_cndmask_b32_e32 v11, 0, v11, vcc
	v_cmp_nlt_f32_e32 vcc, s4, v8
	v_cndmask_b32_e32 v8, v4, v11, vcc
	v_fmac_f32_e32 v7, v8, v9
	s_waitcnt vmcnt(0)
	v_fmac_f32_e32 v6, v10, v8
	s_cbranch_scc1 .LBB8_29
.LBB8_30:
	s_waitcnt lgkmcnt(0)
	v_div_scale_f32 v1, s[0:1], v7, v7, v6
	v_rcp_f32_e32 v2, v1
	v_div_scale_f32 v3, vcc, v6, v7, v6
	v_fma_f32 v4, -v1, v2, 1.0
	v_fmac_f32_e32 v2, v4, v2
	v_mul_f32_e32 v4, v3, v2
	v_fma_f32 v5, -v1, v4, v3
	v_fmac_f32_e32 v4, v5, v2
	v_fma_f32 v1, -v1, v4, v3
	v_div_fmas_f32 v1, v1, v2, v4
	v_div_fixup_f32 v1, v1, v7, v6
.LBB8_31:
	s_lshl_b32 s0, s16, 6
	s_ashr_i32 s1, s0, 31
	s_lshl_b64 s[0:1], s[0:1], 2
	s_add_u32 s0, s14, s0
	s_addc_u32 s1, s15, s1
	v_lshlrev_b32_e32 v0, 2, v0
	global_store_dword v0, v1, s[0:1]
	s_endpgm
	.section	.rodata,"a",@progbits
	.p2align	6, 0x0
	.amdhsa_kernel _ZL26flash_attn_combine_resultsILi64EEvPKfPK15HIP_vector_typeIfLj2EEPfi
		.amdhsa_group_segment_fixed_size 0
		.amdhsa_private_segment_fixed_size 0
		.amdhsa_kernarg_size 288
		.amdhsa_user_sgpr_count 6
		.amdhsa_user_sgpr_private_segment_buffer 1
		.amdhsa_user_sgpr_dispatch_ptr 0
		.amdhsa_user_sgpr_queue_ptr 0
		.amdhsa_user_sgpr_kernarg_segment_ptr 1
		.amdhsa_user_sgpr_dispatch_id 0
		.amdhsa_user_sgpr_flat_scratch_init 0
		.amdhsa_user_sgpr_kernarg_preload_length 0
		.amdhsa_user_sgpr_kernarg_preload_offset 0
		.amdhsa_user_sgpr_private_segment_size 0
		.amdhsa_uses_dynamic_stack 0
		.amdhsa_system_sgpr_private_segment_wavefront_offset 0
		.amdhsa_system_sgpr_workgroup_id_x 1
		.amdhsa_system_sgpr_workgroup_id_y 1
		.amdhsa_system_sgpr_workgroup_id_z 1
		.amdhsa_system_sgpr_workgroup_info 0
		.amdhsa_system_vgpr_workitem_id 0
		.amdhsa_next_free_vgpr 51
		.amdhsa_next_free_sgpr 26
		.amdhsa_accum_offset 52
		.amdhsa_reserve_vcc 1
		.amdhsa_reserve_flat_scratch 0
		.amdhsa_float_round_mode_32 0
		.amdhsa_float_round_mode_16_64 0
		.amdhsa_float_denorm_mode_32 3
		.amdhsa_float_denorm_mode_16_64 3
		.amdhsa_dx10_clamp 1
		.amdhsa_ieee_mode 1
		.amdhsa_fp16_overflow 0
		.amdhsa_tg_split 0
		.amdhsa_exception_fp_ieee_invalid_op 0
		.amdhsa_exception_fp_denorm_src 0
		.amdhsa_exception_fp_ieee_div_zero 0
		.amdhsa_exception_fp_ieee_overflow 0
		.amdhsa_exception_fp_ieee_underflow 0
		.amdhsa_exception_fp_ieee_inexact 0
		.amdhsa_exception_int_div_zero 0
	.end_amdhsa_kernel
	.section	.text._ZL26flash_attn_combine_resultsILi64EEvPKfPK15HIP_vector_typeIfLj2EEPfi,"axG",@progbits,_ZL26flash_attn_combine_resultsILi64EEvPKfPK15HIP_vector_typeIfLj2EEPfi,comdat
.Lfunc_end8:
	.size	_ZL26flash_attn_combine_resultsILi64EEvPKfPK15HIP_vector_typeIfLj2EEPfi, .Lfunc_end8-_ZL26flash_attn_combine_resultsILi64EEvPKfPK15HIP_vector_typeIfLj2EEPfi
                                        ; -- End function
	.section	.AMDGPU.csdata,"",@progbits
; Kernel info:
; codeLenInByte = 3028
; NumSgprs: 30
; NumVgprs: 51
; NumAgprs: 0
; TotalNumVgprs: 51
; ScratchSize: 0
; MemoryBound: 0
; FloatMode: 240
; IeeeMode: 1
; LDSByteSize: 0 bytes/workgroup (compile time only)
; SGPRBlocks: 3
; VGPRBlocks: 6
; NumSGPRsForWavesPerEU: 30
; NumVGPRsForWavesPerEU: 51
; AccumOffset: 52
; Occupancy: 8
; WaveLimiterHint : 0
; COMPUTE_PGM_RSRC2:SCRATCH_EN: 0
; COMPUTE_PGM_RSRC2:USER_SGPR: 6
; COMPUTE_PGM_RSRC2:TRAP_HANDLER: 0
; COMPUTE_PGM_RSRC2:TGID_X_EN: 1
; COMPUTE_PGM_RSRC2:TGID_Y_EN: 1
; COMPUTE_PGM_RSRC2:TGID_Z_EN: 1
; COMPUTE_PGM_RSRC2:TIDIG_COMP_CNT: 0
; COMPUTE_PGM_RSRC3_GFX90A:ACCUM_OFFSET: 12
; COMPUTE_PGM_RSRC3_GFX90A:TG_SPLIT: 0
	.section	.text._ZL18flash_attn_ext_f16ILi80ELi80ELi64ELi1ELb0ELb0EEvPKcS1_S1_S1_S1_PKiPfP15HIP_vector_typeIfLj2EEffffjfiS5_IjLj3EEiiiiiiiiiiiliiliiiiil,"axG",@progbits,_ZL18flash_attn_ext_f16ILi80ELi80ELi64ELi1ELb0ELb0EEvPKcS1_S1_S1_S1_PKiPfP15HIP_vector_typeIfLj2EEffffjfiS5_IjLj3EEiiiiiiiiiiiliiliiiiil,comdat
	.globl	_ZL18flash_attn_ext_f16ILi80ELi80ELi64ELi1ELb0ELb0EEvPKcS1_S1_S1_S1_PKiPfP15HIP_vector_typeIfLj2EEffffjfiS5_IjLj3EEiiiiiiiiiiiliiliiiiil ; -- Begin function _ZL18flash_attn_ext_f16ILi80ELi80ELi64ELi1ELb0ELb0EEvPKcS1_S1_S1_S1_PKiPfP15HIP_vector_typeIfLj2EEffffjfiS5_IjLj3EEiiiiiiiiiiiliiliiiiil
	.p2align	8
	.type	_ZL18flash_attn_ext_f16ILi80ELi80ELi64ELi1ELb0ELb0EEvPKcS1_S1_S1_S1_PKiPfP15HIP_vector_typeIfLj2EEffffjfiS5_IjLj3EEiiiiiiiiiiiliiliiiiil,@function
_ZL18flash_attn_ext_f16ILi80ELi80ELi64ELi1ELb0ELb0EEvPKcS1_S1_S1_S1_PKiPfP15HIP_vector_typeIfLj2EEffffjfiS5_IjLj3EEiiiiiiiiiiiliiliiiiil: ; @_ZL18flash_attn_ext_f16ILi80ELi80ELi64ELi1ELb0ELb0EEvPKcS1_S1_S1_S1_PKiPfP15HIP_vector_typeIfLj2EEffffjfiS5_IjLj3EEiiiiiiiiiiiliiliiiiil
; %bb.0:
	s_load_dwordx2 s[14:15], s[4:5], 0x80
	s_load_dwordx4 s[28:31], s[4:5], 0x64
	s_add_u32 flat_scratch_lo, s6, s9
	s_addc_u32 flat_scratch_hi, s7, 0
	s_add_u32 s0, s0, s9
	s_addc_u32 s1, s1, 0
	s_waitcnt lgkmcnt(0)
	s_abs_i32 s7, s15
	v_cvt_f32_u32_e32 v1, s7
	s_sub_i32 s10, 0, s7
	s_abs_i32 s9, s29
	s_mov_b32 s23, s8
	v_rcp_iflag_f32_e32 v1, v1
	s_xor_b32 s8, s29, s15
	s_ashr_i32 s8, s8, 31
                                        ; implicit-def: $vgpr253 : SGPR spill to VGPR lane
	s_load_dword s24, s[4:5], 0xd0
	v_mul_f32_e32 v1, 0x4f7ffffe, v1
	v_cvt_u32_f32_e32 v1, v1
	s_mov_b32 s6, 0
	v_cvt_f32_ubyte0_e32 v3, 0
	v_readfirstlane_b32 s11, v1
	s_mul_i32 s10, s10, s11
	s_mul_hi_u32 s10, s11, s10
	s_add_i32 s11, s11, s10
	s_mul_hi_u32 s10, s9, s11
	s_mul_i32 s11, s10, s7
	s_sub_i32 s9, s9, s11
	s_add_i32 s12, s10, 1
	s_sub_i32 s11, s9, s7
	s_cmp_ge_u32 s9, s7
	s_cselect_b32 s10, s12, s10
	s_cselect_b32 s9, s11, s9
	s_add_i32 s11, s10, 1
	s_cmp_ge_u32 s9, s7
	s_cselect_b32 s7, s11, s10
	s_add_i32 s9, s14, 63
	s_xor_b32 s7, s7, s8
	s_ashr_i32 s10, s9, 31
	s_sub_i32 s8, s7, s8
	s_lshr_b32 s7, s10, 26
	s_add_i32 s9, s9, s7
	s_add_i32 s7, s28, 63
	s_lshr_b32 s7, s7, 6
	s_ashr_i32 s9, s9, 6
	v_writelane_b32 v253, s7, 0
	v_writelane_b32 v253, s9, 1
	s_mul_i32 s7, s7, s9
	v_writelane_b32 v253, s8, 2
	v_writelane_b32 v253, s7, 3
	s_mul_i32 s7, s7, s8
	s_mov_b32 s8, s14
	v_writelane_b32 v253, s8, 4
	v_writelane_b32 v253, s9, 5
	;; [unrolled: 1-line block ×3, first 2 shown]
	s_mul_i32 s7, s7, s15
	s_mul_i32 s10, s7, s30
	s_ashr_i32 s11, s10, 31
	v_writelane_b32 v253, s7, 7
	s_mul_i32 s7, s11, s23
	s_mul_hi_u32 s8, s10, s23
	s_add_i32 s7, s8, s7
	s_add_u32 s8, s4, 0xd0
	s_waitcnt lgkmcnt(0)
	v_cvt_f32_u32_e32 v1, s24
	s_addc_u32 s9, s5, 0
	v_writelane_b32 v253, s8, 8
	s_mul_i32 s12, s10, s23
	v_writelane_b32 v253, s9, 9
	s_cmp_lg_u64 s[6:7], 0
	s_cbranch_scc0 .LBB9_2
; %bb.1:
	v_madmk_f32 v2, v3, 0x4f800000, v1
	v_rcp_f32_e32 v2, v2
	s_sub_u32 s6, 0, s24
	s_subb_u32 s13, 0, 0
	s_mov_b64 s[8:9], 0
	v_mul_f32_e32 v2, 0x5f7ffffc, v2
	v_mul_f32_e32 v4, 0x2f800000, v2
	v_trunc_f32_e32 v4, v4
	v_madmk_f32 v2, v4, 0xcf800000, v2
	v_cvt_u32_f32_e32 v4, v4
	v_cvt_u32_f32_e32 v2, v2
	v_readfirstlane_b32 s14, v4
	v_readfirstlane_b32 s15, v2
	s_mul_hi_u32 s17, s6, s15
	s_mul_i32 s18, s6, s14
	s_mul_i32 s16, s13, s15
	s_add_i32 s17, s17, s18
	s_add_i32 s17, s17, s16
	s_mul_i32 s19, s6, s15
	s_mul_hi_u32 s16, s15, s17
	s_mul_i32 s18, s15, s17
	s_mul_hi_u32 s15, s15, s19
	s_add_u32 s15, s15, s18
	s_addc_u32 s16, 0, s16
	s_mul_hi_u32 s20, s14, s19
	s_mul_i32 s19, s14, s19
	s_add_u32 s15, s15, s19
	s_mul_hi_u32 s18, s14, s17
	s_addc_u32 s15, s16, s20
	s_addc_u32 s16, s18, 0
	s_mul_i32 s17, s14, s17
	s_add_u32 s15, s15, s17
	s_addc_u32 s16, 0, s16
	v_add_co_u32_e32 v2, vcc, s15, v2
	s_cmp_lg_u64 vcc, 0
	s_addc_u32 s14, s14, s16
	v_readfirstlane_b32 s16, v2
	s_mul_i32 s15, s6, s14
	s_mul_hi_u32 s17, s6, s16
	s_add_i32 s15, s17, s15
	s_mul_i32 s13, s13, s16
	s_add_i32 s15, s15, s13
	s_mul_i32 s6, s6, s16
	s_mul_hi_u32 s17, s14, s6
	s_mul_i32 s18, s14, s6
	s_mul_i32 s20, s16, s15
	s_mul_hi_u32 s6, s16, s6
	s_mul_hi_u32 s19, s16, s15
	s_add_u32 s6, s6, s20
	s_addc_u32 s16, 0, s19
	s_add_u32 s6, s6, s18
	s_mul_hi_u32 s13, s14, s15
	s_addc_u32 s6, s16, s17
	s_addc_u32 s13, s13, 0
	s_mul_i32 s15, s14, s15
	s_add_u32 s6, s6, s15
	s_addc_u32 s13, 0, s13
	v_add_co_u32_e32 v2, vcc, s6, v2
	s_cmp_lg_u64 vcc, 0
	s_addc_u32 s13, s14, s13
	s_ashr_i32 s14, s7, 31
	s_add_u32 s6, s12, s14
	s_mov_b32 s15, s14
	s_addc_u32 s7, s7, s14
	s_xor_b64 s[6:7], s[6:7], s[14:15]
	v_readfirstlane_b32 s18, v2
	s_mul_i32 s17, s6, s13
	s_mul_hi_u32 s19, s6, s18
	s_mul_hi_u32 s16, s6, s13
	s_add_u32 s17, s19, s17
	s_addc_u32 s16, 0, s16
	s_mul_hi_u32 s20, s7, s18
	s_mul_i32 s18, s7, s18
	s_add_u32 s17, s17, s18
	s_mul_hi_u32 s19, s7, s13
	s_addc_u32 s16, s16, s20
	s_addc_u32 s17, s19, 0
	s_mul_i32 s13, s7, s13
	s_add_u32 s13, s16, s13
	s_addc_u32 s16, 0, s17
	s_add_u32 s17, s13, 1
	s_addc_u32 s18, s16, 0
	s_add_u32 s19, s13, 2
	s_mul_i32 s21, s24, s16
	s_mul_hi_u32 s22, s24, s13
	s_addc_u32 s20, s16, 0
	s_add_i32 s22, s22, s21
	s_mul_i32 s21, s24, s13
	v_mov_b32_e32 v2, s21
	v_sub_co_u32_e32 v2, vcc, s6, v2
	s_cmp_lg_u64 vcc, 0
	s_subb_u32 s6, s7, s22
	v_subrev_co_u32_e32 v4, vcc, s24, v2
	s_cmp_lg_u64 vcc, 0
	s_subb_u32 s7, s6, 0
	v_readfirstlane_b32 s21, v4
	s_cmp_ge_u32 s21, s24
	s_cselect_b32 s21, -1, 0
	s_cmp_eq_u32 s7, 0
	s_cselect_b32 s7, s21, -1
	s_cmp_lg_u32 s7, 0
	s_cselect_b32 s7, s20, s18
	v_readfirstlane_b32 s18, v2
	s_cselect_b32 s17, s19, s17
	s_cmp_ge_u32 s18, s24
	s_cselect_b32 s18, -1, 0
	s_cmp_eq_u32 s6, 0
	s_cselect_b32 s6, s18, -1
	s_cmp_lg_u32 s6, 0
	s_cselect_b32 s7, s7, s16
	s_cselect_b32 s6, s17, s13
	s_xor_b64 s[6:7], s[6:7], s[14:15]
	s_sub_u32 s6, s6, s14
	v_writelane_b32 v253, s6, 12
	v_writelane_b32 v253, s7, 13
	s_branch .LBB9_3
.LBB9_2:
	s_mov_b64 s[8:9], -1
                                        ; implicit-def: $sgpr6_sgpr7
                                        ; kill: killed $sgpr6_sgpr7
.LBB9_3:
	s_load_dwordx2 s[6:7], s[4:5], 0x74
	v_cvt_f32_u32_e32 v2, s24
	s_andn2_b64 vcc, exec, s[8:9]
	s_waitcnt lgkmcnt(0)
	v_writelane_b32 v253, s6, 10
	v_writelane_b32 v253, s7, 11
	s_cbranch_vccnz .LBB9_5
; %bb.4:
	v_rcp_iflag_f32_e32 v4, v2
	s_sub_i32 s6, 0, s24
	v_mul_f32_e32 v4, 0x4f7ffffe, v4
	v_cvt_u32_f32_e32 v4, v4
	v_readfirstlane_b32 s7, v4
	s_mul_i32 s6, s6, s7
	s_mul_hi_u32 s6, s7, s6
	s_add_i32 s7, s7, s6
	s_mul_hi_u32 s6, s12, s7
	s_mul_i32 s8, s6, s24
	s_sub_i32 s8, s12, s8
	s_add_i32 s7, s6, 1
	s_sub_i32 s9, s8, s24
	s_cmp_ge_u32 s8, s24
	s_cselect_b32 s6, s7, s6
	s_cselect_b32 s8, s9, s8
	s_add_i32 s7, s6, 1
	s_cmp_ge_u32 s8, s24
	s_cselect_b32 s6, s7, s6
	v_writelane_b32 v253, s6, 12
	v_writelane_b32 v253, s7, 13
.LBB9_5:
	s_add_i32 s6, s23, 1
	s_mul_i32 s7, s11, s6
	s_mul_hi_u32 s8, s10, s6
	s_add_i32 s9, s8, s7
	s_mov_b32 s8, 0
	s_cmp_lg_u64 s[8:9], 0
	s_mul_i32 s8, s10, s6
	s_cbranch_scc0 .LBB9_7
; %bb.6:
	v_madmk_f32 v1, v3, 0x4f800000, v1
	v_rcp_f32_e32 v1, v1
	s_sub_u32 s10, 0, s24
	s_subb_u32 s11, 0, 0
	s_mov_b64 s[6:7], 0
	v_mul_f32_e32 v1, 0x5f7ffffc, v1
	v_mul_f32_e32 v3, 0x2f800000, v1
	v_trunc_f32_e32 v3, v3
	v_madmk_f32 v1, v3, 0xcf800000, v1
	v_cvt_u32_f32_e32 v3, v3
	v_cvt_u32_f32_e32 v1, v1
	v_readfirstlane_b32 s12, v3
	v_readfirstlane_b32 s13, v1
	s_mul_hi_u32 s15, s10, s13
	s_mul_i32 s16, s10, s12
	s_mul_i32 s14, s11, s13
	s_add_i32 s15, s15, s16
	s_add_i32 s15, s15, s14
	s_mul_i32 s17, s10, s13
	s_mul_hi_u32 s14, s13, s15
	s_mul_i32 s16, s13, s15
	s_mul_hi_u32 s13, s13, s17
	s_add_u32 s13, s13, s16
	s_addc_u32 s14, 0, s14
	s_mul_hi_u32 s18, s12, s17
	s_mul_i32 s17, s12, s17
	s_add_u32 s13, s13, s17
	s_mul_hi_u32 s16, s12, s15
	s_addc_u32 s13, s14, s18
	s_addc_u32 s14, s16, 0
	s_mul_i32 s15, s12, s15
	s_add_u32 s13, s13, s15
	s_addc_u32 s14, 0, s14
	v_add_co_u32_e32 v1, vcc, s13, v1
	s_cmp_lg_u64 vcc, 0
	s_addc_u32 s12, s12, s14
	v_readfirstlane_b32 s14, v1
	s_mul_i32 s13, s10, s12
	s_mul_hi_u32 s15, s10, s14
	s_add_i32 s13, s15, s13
	s_mul_i32 s11, s11, s14
	s_add_i32 s13, s13, s11
	s_mul_i32 s10, s10, s14
	s_mul_hi_u32 s15, s12, s10
	s_mul_i32 s16, s12, s10
	s_mul_i32 s18, s14, s13
	s_mul_hi_u32 s10, s14, s10
	s_mul_hi_u32 s17, s14, s13
	s_add_u32 s10, s10, s18
	s_addc_u32 s14, 0, s17
	s_add_u32 s10, s10, s16
	s_mul_hi_u32 s11, s12, s13
	s_addc_u32 s10, s14, s15
	s_addc_u32 s11, s11, 0
	s_mul_i32 s13, s12, s13
	s_add_u32 s10, s10, s13
	s_addc_u32 s11, 0, s11
	v_add_co_u32_e32 v1, vcc, s10, v1
	s_cmp_lg_u64 vcc, 0
	s_addc_u32 s14, s12, s11
	s_ashr_i32 s10, s9, 31
	s_add_u32 s12, s8, s10
	s_mov_b32 s11, s10
	s_addc_u32 s13, s9, s10
	s_xor_b64 s[12:13], s[12:13], s[10:11]
	v_readfirstlane_b32 s16, v1
	s_mul_i32 s15, s12, s14
	s_mul_hi_u32 s17, s12, s16
	s_mul_hi_u32 s9, s12, s14
	s_add_u32 s15, s17, s15
	s_addc_u32 s9, 0, s9
	s_mul_hi_u32 s18, s13, s16
	s_mul_i32 s16, s13, s16
	s_add_u32 s15, s15, s16
	s_mul_hi_u32 s17, s13, s14
	s_addc_u32 s9, s9, s18
	s_addc_u32 s15, s17, 0
	s_mul_i32 s14, s13, s14
	s_add_u32 s9, s9, s14
	s_addc_u32 s14, 0, s15
	s_add_u32 s15, s9, 1
	s_addc_u32 s16, s14, 0
	s_add_u32 s17, s9, 2
	s_mul_i32 s19, s24, s14
	s_mul_hi_u32 s20, s24, s9
	s_addc_u32 s18, s14, 0
	s_add_i32 s20, s20, s19
	s_mul_i32 s19, s24, s9
	v_mov_b32_e32 v1, s19
	v_sub_co_u32_e32 v1, vcc, s12, v1
	s_cmp_lg_u64 vcc, 0
	s_subb_u32 s12, s13, s20
	v_subrev_co_u32_e32 v3, vcc, s24, v1
	s_cmp_lg_u64 vcc, 0
	s_subb_u32 s13, s12, 0
	v_readfirstlane_b32 s19, v3
	s_cmp_ge_u32 s19, s24
	s_cselect_b32 s19, -1, 0
	s_cmp_eq_u32 s13, 0
	s_cselect_b32 s13, s19, -1
	s_cmp_lg_u32 s13, 0
	s_cselect_b32 s13, s18, s16
	v_readfirstlane_b32 s16, v1
	s_cselect_b32 s15, s17, s15
	s_cmp_ge_u32 s16, s24
	s_cselect_b32 s16, -1, 0
	s_cmp_eq_u32 s12, 0
	s_cselect_b32 s12, s16, -1
	s_cmp_lg_u32 s12, 0
	s_cselect_b32 s13, s13, s14
	s_cselect_b32 s12, s15, s9
	s_xor_b64 s[12:13], s[12:13], s[10:11]
	s_sub_u32 s10, s12, s10
	v_writelane_b32 v253, s10, 17
	v_writelane_b32 v253, s11, 18
	s_branch .LBB9_8
.LBB9_7:
	s_mov_b64 s[6:7], -1
                                        ; implicit-def: $sgpr10_sgpr11
                                        ; kill: killed $sgpr10_sgpr11
.LBB9_8:
	s_load_dwordx2 s[10:11], s[4:5], 0x5c
	v_writelane_b32 v253, s23, 14
	s_andn2_b64 vcc, exec, s[6:7]
	s_waitcnt lgkmcnt(0)
	v_writelane_b32 v253, s10, 15
	v_writelane_b32 v253, s11, 16
	s_cbranch_vccnz .LBB9_10
; %bb.9:
	v_rcp_iflag_f32_e32 v1, v2
	s_sub_i32 s6, 0, s24
	v_mul_f32_e32 v1, 0x4f7ffffe, v1
	v_cvt_u32_f32_e32 v1, v1
	v_readfirstlane_b32 s7, v1
	s_mul_i32 s6, s6, s7
	s_mul_hi_u32 s6, s7, s6
	s_add_i32 s7, s7, s6
	s_mul_hi_u32 s6, s8, s7
	s_mul_i32 s9, s6, s24
	s_sub_i32 s8, s8, s9
	s_add_i32 s7, s6, 1
	s_sub_i32 s9, s8, s24
	s_cmp_ge_u32 s8, s24
	s_cselect_b32 s6, s7, s6
	s_cselect_b32 s8, s9, s8
	s_add_i32 s7, s6, 1
	s_cmp_ge_u32 s8, s24
	s_cselect_b32 s6, s7, s6
	v_writelane_b32 v253, s6, 17
	v_writelane_b32 v253, s7, 18
.LBB9_10:
	s_load_dwordx16 s[72:87], s[4:5], 0x0
	s_load_dwordx4 s[16:19], s[4:5], 0x40
	s_load_dword s6, s[4:5], 0x50
	v_writelane_b32 v253, s24, 19
	s_mov_b32 s53, 0
	v_bfe_u32 v35, v0, 10, 10
	v_mbcnt_lo_u32_b32 v106, -1, 0
	s_waitcnt lgkmcnt(0)
	v_writelane_b32 v253, s6, 20
	s_load_dwordx2 s[6:7], s[4:5], 0x8c
	s_load_dwordx4 s[8:11], s[4:5], 0x98
	s_load_dwordx2 s[12:13], s[4:5], 0xa8
	s_load_dwordx2 s[26:27], s[4:5], 0xb8
	s_nop 0
	s_load_dwordx2 s[4:5], s[4:5], 0xc8
	s_waitcnt lgkmcnt(0)
	s_ashr_i32 s50, s6, 2
	v_writelane_b32 v253, s12, 21
	v_writelane_b32 v253, s13, 22
	;; [unrolled: 1-line block ×4, first 2 shown]
	v_readlane_b32 s13, v253, 1
	s_abs_i32 s12, s13
	v_cvt_f32_u32_e32 v1, s12
	s_ashr_i32 s4, s31, 3
	v_writelane_b32 v253, s4, 25
	s_mov_b32 s5, s7
	v_rcp_iflag_f32_e32 v1, v1
	v_writelane_b32 v253, s4, 26
	v_writelane_b32 v253, s5, 27
	s_mov_b64 s[4:5], s[8:9]
	s_mov_b32 s7, s11
	v_mul_f32_e32 v1, 0x4f7ffffe, v1
	v_writelane_b32 v253, s4, 28
	v_cvt_u32_f32_e32 v1, v1
	v_writelane_b32 v253, s5, 29
	v_writelane_b32 v253, s6, 30
	;; [unrolled: 1-line block ×3, first 2 shown]
	v_readlane_b32 s4, v253, 12
	s_sub_i32 s6, 0, s12
	v_readfirstlane_b32 s7, v1
	v_readlane_b32 s5, v253, 13
	s_mul_i32 s6, s6, s7
	s_ashr_i32 s8, s10, 2
	s_mov_b32 s10, s4
	s_ashr_i32 s5, s13, 31
	s_mul_hi_u32 s6, s7, s6
	v_writelane_b32 v253, s5, 32
	s_abs_i32 s5, s10
	s_add_i32 s6, s7, s6
	v_writelane_b32 v253, s6, 33
	s_mul_hi_u32 s6, s5, s6
	s_mul_i32 s6, s6, s12
	s_sub_i32 s5, s5, s6
	s_ashr_i32 s44, s27, 1
	s_ashr_i32 s4, s4, 31
	s_sub_i32 s6, s5, s12
	s_cmp_ge_u32 s5, s12
	s_cselect_b32 s5, s6, s5
	s_sub_i32 s6, s5, s12
	s_cmp_ge_u32 s5, s12
	s_cselect_b32 s5, s6, s5
	v_writelane_b32 v253, s12, 34
	s_xor_b32 s5, s5, s4
	s_sub_i32 s68, s5, s4
	v_readlane_b32 s4, v253, 17
	v_readlane_b32 s5, v253, 18
	v_writelane_b32 v253, s72, 35
	v_writelane_b32 v253, s73, 36
	;; [unrolled: 1-line block ×7, first 2 shown]
	s_mov_b32 s12, s4
	s_sub_i32 s4, s4, s10
	v_writelane_b32 v253, s79, 42
	s_add_i32 s6, s4, s68
	v_writelane_b32 v253, s80, 43
	s_min_i32 s33, s13, s6
	v_writelane_b32 v253, s81, 44
	s_cmp_gt_i32 s12, s10
	v_writelane_b32 v253, s82, 45
	s_cselect_b64 s[42:43], -1, 0
	s_cmp_le_i32 s12, s10
	v_writelane_b32 v253, s83, 46
	s_cselect_b64 s[4:5], -1, 0
	s_cmp_gt_i32 s13, s6
	v_writelane_b32 v253, s84, 47
	s_cselect_b64 s[6:7], -1, 0
	v_writelane_b32 v253, s85, 48
	s_or_b64 s[4:5], s[6:7], s[4:5]
	v_writelane_b32 v253, s86, 49
	s_and_b64 vcc, exec, s[4:5]
	v_writelane_b32 v253, s87, 50
	s_mov_b64 s[4:5], s[28:29]
	v_writelane_b32 v253, s4, 51
	v_writelane_b32 v253, s5, 52
	;; [unrolled: 1-line block ×4, first 2 shown]
	s_mov_b64 s[6:7], s[18:19]
	s_mov_b32 s5, s17
	v_writelane_b32 v253, s4, 55
	v_cvt_f16_f32_e32 v1, s16
	v_writelane_b32 v253, s5, 56
	v_writelane_b32 v253, s6, 57
	;; [unrolled: 1-line block ×4, first 2 shown]
	v_pack_b32_f16 v33, v1, v1
	v_writelane_b32 v253, s27, 60
	s_cbranch_vccnz .LBB9_299
; %bb.11:
	s_cmp_lg_u64 s[78:79], 0
	s_cselect_b64 s[4:5], -1, 0
                                        ; implicit-def: $vgpr254 : SGPR spill to VGPR lane
	s_cmp_eq_u64 s[80:81], 0
	v_writelane_b32 v254, s4, 0
	v_writelane_b32 v254, s5, 1
	s_mul_i32 s4, s28, s29
	v_writelane_b32 v254, s4, 2
	s_cselect_b64 s[4:5], -1, 0
	v_writelane_b32 v254, s4, 3
	v_writelane_b32 v254, s5, 4
	v_cmp_nle_f32_e64 s[4:5], s17, 0
	v_writelane_b32 v254, s4, 5
	s_cmp_lg_u64 s[82:83], 0
	v_and_b32_e32 v26, 0x3ff, v0
	v_writelane_b32 v254, s5, 6
	s_cselect_b64 s[4:5], -1, 0
	v_lshrrev_b32_e32 v1, 5, v26
	v_writelane_b32 v254, s4, 7
	v_lshl_add_u32 v43, v35, 1, v1
	v_lshrrev_b32_e32 v1, 3, v26
	v_lshrrev_b32_e32 v13, 2, v26
	v_writelane_b32 v254, s5, 8
	v_lshl_add_u32 v53, v35, 3, v1
	s_movk_i32 s4, 0xb00
	v_and_b32_e32 v5, 15, v26
	v_lshlrev_b32_e32 v1, 2, v1
	v_and_b32_e32 v112, 60, v13
	v_mad_u32_u24 v2, v35, s4, 0
	v_mul_u32_u24_e32 v8, 0xb0, v5
	v_and_b32_e32 v9, 0x78, v1
	v_lshlrev_b32_e32 v14, 4, v35
	v_mul_u32_u24_e32 v16, 0x58, v112
	v_add3_u32 v107, v2, v8, v9
	v_add3_u32 v111, 0, v8, v9
	v_or_b32_e32 v8, v14, v5
	s_movk_i32 s12, 0x90
	v_or_b32_e32 v16, v16, v5
	v_mad_u32_u24 v15, v8, s12, 0
	v_lshlrev_b32_e32 v16, 1, v16
	s_add_i32 s12, 0, 0xb00
	v_add_u32_e32 v120, s12, v16
	s_add_i32 s12, 0, 0x1600
	v_add_u32_e32 v121, s12, v16
	;; [unrolled: 2-line block ×4, first 2 shown]
	s_add_i32 s12, 0, 0x1620
	v_writelane_b32 v253, s33, 63
	v_add_u32_e32 v124, s12, v16
	s_add_i32 s12, 0, 0x2120
	v_add_u32_e32 v125, s12, v16
	v_readlane_b32 s12, v253, 14
	s_lshl_b32 s52, s12, 6
	s_movk_i32 s10, 0xb0
	s_ashr_i32 s45, s44, 31
	s_ashr_i32 s51, s50, 31
	;; [unrolled: 1-line block ×3, first 2 shown]
	v_lshlrev_b32_e32 v10, 2, v26
	v_or_b32_e32 v117, 3, v13
	s_add_i32 s14, 0, 0xb40
	s_add_i32 s15, 0, 0x1640
	;; [unrolled: 1-line block ×11, first 2 shown]
	s_lshl_b64 s[12:13], s[52:53], 3
	v_mad_u32_u24 v11, v53, s10, 0
	v_mul_u32_u24_e32 v13, 0xb0, v117
	v_mul_u32_u24_e32 v17, 0xb0, v112
	v_lshlrev_b32_e32 v5, 1, v5
	v_and_b32_e32 v34, 28, v10
	s_add_u32 s12, s86, s12
	v_readlane_b32 s31, v253, 7
	v_add_u32_e32 v12, 0x1600, v11
	v_add3_u32 v118, 0, v17, v5
	v_add3_u32 v119, 0, v13, v5
	v_lshlrev_b32_e32 v5, 2, v34
	s_addc_u32 s13, s87, s13
	s_abs_i32 s34, s31
	v_add_u32_e32 v126, v11, v5
	v_add_u32_e32 v127, v12, v5
	v_cvt_f32_u32_e32 v5, s34
	v_mul_i32_i24_e32 v3, 0xfffff590, v35
	v_lshlrev_b32_e32 v30, 1, v26
	v_add3_u32 v108, v2, v3, v30
	v_lshrrev_b32_e32 v2, 1, v26
	v_and_b32_e32 v32, 4, v10
	v_or_b32_e32 v10, v14, v26
	v_and_b32_e32 v28, 7, v26
	v_lshl_add_u32 v109, v35, 5, v2
	v_lshlrev_b32_e32 v10, 3, v10
	v_rcp_iflag_f32_e32 v5, v5
	v_mul_lo_u32 v8, s8, v109
	v_add_co_u32_e32 v36, vcc, s12, v10
	v_lshlrev_b32_e32 v10, 2, v28
	v_ashrrev_i32_e32 v9, 31, v8
	v_mov_b32_e32 v13, s13
	v_add_u32_e32 v128, v11, v10
	v_and_b32_e32 v11, 1, v26
	v_addc_co_u32_e32 v37, vcc, 0, v13, vcc
	v_lshlrev_b32_e32 v11, 4, v11
	v_lshlrev_b64 v[38:39], 2, v[8:9]
	v_mul_f32_e32 v5, 0x4f7ffffe, v5
	v_add_co_u32_e32 v8, vcc, v11, v38
	v_mul_lo_u32 v6, s50, v109
	v_cvt_u32_f32_e32 v5, v5
	v_addc_co_u32_e32 v9, vcc, 0, v39, vcc
	v_ashrrev_i32_e32 v7, 31, v6
	v_add_u32_e32 v129, v12, v10
	v_readlane_b32 s28, v253, 3
	v_mov_b32_e32 v12, s77
	v_add_co_u32_e32 v13, vcc, s76, v8
	v_readlane_b32 s30, v253, 6
	s_abs_i32 s36, s28
	v_addc_co_u32_e32 v12, vcc, v9, v12, vcc
	v_lshlrev_b64 v[40:41], 2, v[6:7]
	s_abs_i32 s35, s30
	v_cvt_f32_u32_e32 v10, s36
	v_add_co_u32_e32 v6, vcc, v11, v40
	v_readfirstlane_b32 s25, v5
	v_cvt_f32_u32_e32 v5, s35
	v_addc_co_u32_e32 v7, vcc, 0, v41, vcc
	s_abs_i32 s12, s26
	v_add_co_u32_e32 v11, vcc, s74, v6
	v_cvt_f32_u32_e32 v6, s12
	v_mov_b32_e32 v8, s75
	v_and_b32_e32 v42, 31, v26
	v_addc_co_u32_e32 v17, vcc, v7, v8, vcc
	v_rcp_iflag_f32_e32 v7, v10
	v_writelane_b32 v254, s12, 9
	v_add_u32_e32 v142, s16, v16
	s_mul_i32 s16, s29, 40
	v_mad_u32_u24 v10, v43, 44, v42
	v_rcp_iflag_f32_e32 v5, v5
	v_or_b32_e32 v1, 4, v1
	v_writelane_b32 v254, s16, 10
	v_lshl_add_u32 v150, v10, 2, 0
	s_movk_i32 s16, 0x7f0
	v_add_u32_e32 v151, 16, v43
	v_and_b32_e32 v10, 15, v43
	v_add_u32_e32 v114, 16, v112
	v_add_u32_e32 v116, 32, v112
	v_rcp_iflag_f32_e32 v6, v6
	v_add_u32_e32 v133, 48, v112
	v_add_u32_e32 v135, v15, v1
	;; [unrolled: 1-line block ×3, first 2 shown]
	v_and_or_b32 v14, v151, s16, v10
	v_lshl_add_u32 v113, v112, 1, v15
	v_lshl_add_u32 v115, v114, 1, v15
	v_lshl_add_u32 v131, v116, 1, v15
	v_lshl_add_u32 v136, v133, 1, v15
	v_mul_u32_u24_e32 v15, 44, v14
	v_mad_u32_u24 v14, v14, 44, v42
	v_add_u32_e32 v153, 32, v43
	v_add_u32_e32 v155, 48, v43
	v_lshl_add_u32 v152, v14, 2, 0
	v_and_or_b32 v14, v153, s16, v10
	v_and_or_b32 v10, v155, s16, v10
	s_ashr_i32 s16, s31, 31
	v_mul_f32_e32 v5, 0x4f7ffffe, v5
	v_writelane_b32 v254, s16, 11
	s_sub_i32 s16, 0, s34
	v_cvt_u32_f32_e32 v5, v5
	v_mul_f32_e32 v6, 0x4f7ffffe, v6
	s_mul_i32 s16, s16, s25
	v_cvt_u32_f32_e32 v6, v6
	s_mul_hi_u32 s16, s25, s16
	v_writelane_b32 v254, s34, 12
	s_add_i32 s16, s25, s16
	v_mul_f32_e32 v7, 0x4f7ffffe, v7
	v_writelane_b32 v254, s16, 13
	s_ashr_i32 s16, s30, 31
	v_cvt_u32_f32_e32 v7, v7
	v_readfirstlane_b32 s26, v5
	s_sub_i32 s12, 0, s12
	v_writelane_b32 v254, s16, 14
	s_sub_i32 s16, 0, s35
	s_movk_i32 s33, 0x80
	v_mul_lo_u32 v5, s12, v6
	v_mul_lo_u32 v8, s8, v53
	s_mul_i32 s16, s16, s26
	v_mul_hi_u32 v5, v6, v5
	v_add_u32_e32 v137, 32, v53
	v_ashrrev_i32_e32 v9, 31, v8
	s_mul_hi_u32 s16, s26, s16
	v_add_co_u32_e32 v162, vcc, s33, v13
	v_add_u32_e32 v132, v6, v5
	v_mul_lo_u32 v6, s8, v137
	v_writelane_b32 v254, s35, 15
	s_add_i32 s16, s26, s16
	v_addc_co_u32_e32 v163, vcc, 0, v12, vcc
	v_lshlrev_b64 v[44:45], 2, v[8:9]
	v_readfirstlane_b32 s27, v7
	v_ashrrev_i32_e32 v7, 31, v6
	v_writelane_b32 v254, s16, 16
	s_ashr_i32 s16, s28, 31
	v_mov_b32_e32 v8, s77
	v_add_co_u32_e32 v164, vcc, s76, v44
	v_writelane_b32 v254, s16, 17
	s_sub_i32 s16, 0, s36
	v_addc_co_u32_e32 v165, vcc, v8, v45, vcc
	v_lshlrev_b64 v[46:47], 2, v[6:7]
	v_mad_u32_u24 v2, v109, s10, 0
	v_lshlrev_b32_e32 v3, 2, v32
	v_add_u32_e32 v130, s14, v16
	v_add_u32_e32 v134, s15, v16
	;; [unrolled: 1-line block ×3, first 2 shown]
	v_add3_u32 v139, 0, 32, v16
	v_add3_u32 v140, 0, 64, v16
	v_add_u32_e32 v141, s22, v16
	v_add_u32_e32 v143, s17, v16
	;; [unrolled: 1-line block ×8, first 2 shown]
	v_mul_u32_u24_e32 v16, 44, v14
	v_mad_u32_u24 v14, v14, 44, v42
	s_mul_i32 s16, s16, s27
	v_mov_b32_e32 v6, s77
	v_add_co_u32_e32 v166, vcc, s76, v46
	v_add3_u32 v110, v2, v3, s33
	v_mul_lo_u32 v2, s50, v53
	v_lshl_add_u32 v154, v14, 2, 0
	v_mul_u32_u24_e32 v14, 44, v10
	v_mad_u32_u24 v10, v10, 44, v42
	s_mul_hi_u32 s16, s27, s16
	v_addc_co_u32_e32 v167, vcc, v6, v47, vcc
	v_ashrrev_i32_e32 v3, 31, v2
	v_lshl_add_u32 v10, v10, 2, 0
	v_writelane_b32 v254, s36, 18
	s_add_i32 s16, s27, s16
	v_add_co_u32_e32 v168, vcc, s33, v11
	v_lshl_add_u32 v4, s50, 5, v2
	buffer_store_dword v10, off, s[0:3], 0 offset:20 ; 4-byte Folded Spill
	v_mul_u32_u24_e32 v10, 44, v43
	v_writelane_b32 v254, s16, 19
	v_addc_co_u32_e32 v169, vcc, 0, v17, vcc
	v_lshlrev_b64 v[48:49], 2, v[2:3]
	v_cmp_gt_u32_e64 s[40:41], 16, v26
	s_mov_b32 s42, s44
	v_ashrrev_i32_e32 v5, 31, v4
	v_lshl_add_u32 v157, v10, 2, 0
	v_lshl_add_u32 v10, v16, 2, 0
	v_mov_b32_e32 v2, s75
	v_add_co_u32_e32 v170, vcc, s74, v48
	v_writelane_b32 v254, s40, 20
	v_writelane_b32 v253, s42, 61
	buffer_store_dword v10, off, s[0:3], 0 offset:16 ; 4-byte Folded Spill
	v_lshl_add_u32 v10, v14, 2, 0
	v_addc_co_u32_e32 v171, vcc, v2, v49, vcc
	v_lshlrev_b64 v[50:51], 2, v[4:5]
	v_writelane_b32 v254, s41, 21
	v_writelane_b32 v253, s43, 62
	s_lshl_b64 s[42:43], s[44:45], 1
	s_mov_b64 s[54:55], src_private_base
	s_movk_i32 s12, 0x100
	s_movk_i32 s14, 0xc0
	v_mul_u32_u24_e32 v1, 0xb0, v1
	buffer_store_dword v10, off, s[0:3], 0 offset:24 ; 4-byte Folded Spill
	v_mul_u32_u24_e32 v10, 44, v53
	v_add_co_u32_e32 v172, vcc, s74, v50
	v_writelane_b32 v254, s42, 22
	v_cmp_gt_u32_e64 s[4:5], 64, v26
	v_cmp_lt_u32_e64 s[6:7], 63, v26
	s_mov_b32 s54, 0
	v_cmp_gt_u32_e64 s[98:99], 64, v109
	v_cmp_gt_u32_e64 s[10:11], 64, v53
	;; [unrolled: 1-line block ×4, first 2 shown]
	v_lshl_add_u32 v158, v15, 2, 0
	v_lshl_add_u32 v161, v10, 2, 0
	v_addc_co_u32_e32 v173, vcc, v2, v51, vcc
	s_mov_b32 s49, 0x42b17218
	s_mov_b32 s58, 0x3fb8aa3b
	;; [unrolled: 1-line block ×4, first 2 shown]
	v_add_u32_e32 v174, 0, v1
	v_mov_b32_e32 v175, 0
	v_add_u32_e32 v176, 4, v35
	v_add_u32_e32 v177, 0x240, v108
	;; [unrolled: 1-line block ×33, first 2 shown]
	v_or_b32_e32 v209, 1, v112
	v_or_b32_e32 v210, 2, v112
	v_add_u32_e32 v211, 17, v112
	v_add_u32_e32 v212, 19, v112
	;; [unrolled: 1-line block ×10, first 2 shown]
	v_mov_b32_e32 v221, 0x3ecccdef
	v_mov_b32_e32 v222, 0x37000000
	;; [unrolled: 1-line block ×4, first 2 shown]
	v_mbcnt_hi_u32_b32 v225, -1, v106
	v_lshlrev_b32_e32 v52, 4, v28
	s_mov_b32 s56, 0x5040100
	v_cmp_gt_u32_e64 s[16:17], 32, v53
	v_cmp_gt_u32_e64 s[18:19], 47, v112
	;; [unrolled: 1-line block ×11, first 2 shown]
	s_lshl_b64 s[60:61], s[8:9], 8
	s_lshl_b64 s[40:41], s[50:51], 8
	v_writelane_b32 v254, s43, 23
	s_branch .LBB9_13
.LBB9_12:                               ;   in Loop: Header=BB9_13 Depth=1
	s_or_b64 exec, exec, s[42:43]
	v_readlane_b32 s47, v253, 1
	v_readlane_b32 s42, v253, 12
	s_add_i32 s42, s42, s47
	s_abs_i32 s44, s42
	v_readlane_b32 s45, v253, 33
	s_mul_hi_u32 s45, s44, s45
	v_readlane_b32 s46, v253, 34
	s_mul_i32 s45, s45, s46
	v_readlane_b32 s43, v253, 13
	s_sub_i32 s44, s44, s45
	s_ashr_i32 s43, s42, 31
	s_sub_i32 s45, s44, s46
	s_cmp_ge_u32 s44, s46
	s_cselect_b32 s44, s45, s44
	s_sub_i32 s45, s44, s46
	s_cmp_ge_u32 s44, s46
	s_cselect_b32 s44, s45, s44
	s_xor_b32 s44, s44, s43
	s_sub_i32 s43, s43, s44
	s_add_i32 s46, s42, s43
	v_readlane_b32 s42, v253, 17
	s_sub_i32 s44, s42, s46
	s_mov_b32 s48, s42
	s_min_i32 s42, s47, s44
	v_readlane_b32 s43, v253, 18
	v_writelane_b32 v253, s42, 63
	s_mov_b32 s42, s46
	v_writelane_b32 v253, s42, 12
	s_cmp_gt_i32 s48, s46
	v_writelane_b32 v253, s43, 13
	s_cselect_b64 s[42:43], -1, 0
	s_cmp_le_i32 s47, s44
	s_cselect_b64 s[44:45], -1, 0
	s_and_b64 s[44:45], s[44:45], s[42:43]
	s_mov_b32 s68, 0
	s_and_b64 vcc, exec, s[44:45]
	s_cbranch_vccz .LBB9_301
.LBB9_13:                               ; =>This Loop Header: Depth=1
                                        ;     Child Loop BB9_64 Depth 2
                                        ;     Child Loop BB9_213 Depth 2
	v_readlane_b32 s42, v253, 12
	v_readlane_b32 s43, v253, 13
	s_mov_b32 s44, s42
	s_ashr_i32 s42, s42, 31
	v_readlane_b32 s43, v254, 11
	s_xor_b32 s42, s42, s43
	s_abs_i32 s43, s44
	v_readlane_b32 s44, v254, 13
	s_mul_hi_u32 s44, s43, s44
	v_readlane_b32 s47, v254, 12
	s_mul_i32 s45, s44, s47
	s_sub_i32 s43, s43, s45
	s_add_i32 s45, s44, 1
	s_sub_i32 s46, s43, s47
	s_cmp_ge_u32 s43, s47
	s_cselect_b32 s44, s45, s44
	s_cselect_b32 s43, s46, s43
	s_add_i32 s45, s44, 1
	s_cmp_ge_u32 s43, s47
	s_cselect_b32 s43, s45, s44
	s_xor_b32 s43, s43, s42
	s_sub_i32 s48, s43, s42
	v_readlane_b32 s42, v254, 0
	v_readlane_b32 s43, v254, 1
	s_andn2_b64 vcc, exec, s[42:43]
	s_ashr_i32 s64, s48, 31
	s_cbranch_vccnz .LBB9_15
; %bb.14:                               ;   in Loop: Header=BB9_13 Depth=1
	s_abs_i32 s42, s48
	v_mul_hi_u32 v1, s42, v132
	v_readlane_b32 s43, v254, 9
	v_mul_lo_u32 v1, v1, s43
	v_sub_u32_e32 v1, s42, v1
	v_subrev_u32_e32 v2, s43, v1
	v_cmp_le_u32_e32 vcc, s43, v1
	v_cndmask_b32_e32 v1, v1, v2, vcc
	v_subrev_u32_e32 v2, s43, v1
	v_cmp_le_u32_e32 vcc, s43, v1
	v_cndmask_b32_e32 v1, v1, v2, vcc
	v_xor_b32_e32 v1, s64, v1
	v_readlane_b32 s42, v253, 23
	v_subrev_u32_e32 v1, s64, v1
	v_readlane_b32 s43, v253, 24
	v_ashrrev_i32_e32 v2, 31, v1
	v_mul_lo_u32 v3, v1, s43
	v_mul_hi_u32 v4, v1, s42
	v_readlane_b32 s72, v253, 35
	v_add_u32_e32 v3, v4, v3
	v_mul_lo_u32 v2, v2, s42
	v_mul_lo_u32 v1, v1, s42
	v_readlane_b32 s78, v253, 41
	v_readlane_b32 s79, v253, 42
	v_add_u32_e32 v2, v3, v2
	v_mov_b32_e32 v3, s79
	v_add_co_u32_e32 v56, vcc, s78, v1
	v_addc_co_u32_e32 v57, vcc, v3, v2, vcc
	v_readlane_b32 s73, v253, 36
	v_readlane_b32 s74, v253, 37
	;; [unrolled: 1-line block ×13, first 2 shown]
	s_branch .LBB9_16
.LBB9_15:                               ;   in Loop: Header=BB9_13 Depth=1
	v_pk_mov_b32 v[56:57], 0, 0
.LBB9_16:                               ;   in Loop: Header=BB9_13 Depth=1
	v_readlane_b32 s42, v253, 7
	s_mul_i32 s42, s48, s42
	v_readlane_b32 s44, v253, 12
	s_sub_i32 s42, s44, s42
	v_readlane_b32 s45, v253, 13
	s_ashr_i32 s43, s42, 31
	v_readlane_b32 s44, v254, 14
	s_xor_b32 s43, s43, s44
	s_abs_i32 s44, s42
	v_readlane_b32 s45, v254, 16
	s_mul_hi_u32 s45, s44, s45
	v_readlane_b32 s52, v254, 15
	s_mul_i32 s46, s45, s52
	s_sub_i32 s44, s44, s46
	s_add_i32 s46, s45, 1
	s_sub_i32 s47, s44, s52
	s_cmp_ge_u32 s44, s52
	s_cselect_b32 s45, s46, s45
	s_cselect_b32 s44, s47, s44
	s_add_i32 s46, s45, 1
	s_cmp_ge_u32 s44, s52
	s_cselect_b32 s44, s46, s45
	s_xor_b32 s44, s44, s43
	s_sub_i32 s65, s44, s43
	v_readlane_b32 s43, v253, 6
	s_mul_i32 s43, s65, s43
	s_sub_i32 s52, s42, s43
	s_ashr_i32 s42, s52, 31
	v_readlane_b32 s43, v254, 17
	s_xor_b32 s42, s42, s43
	s_abs_i32 s43, s52
	v_readlane_b32 s44, v254, 19
	s_mul_hi_u32 s44, s43, s44
	v_readlane_b32 s47, v254, 18
	s_mul_i32 s45, s44, s47
	s_sub_i32 s43, s43, s45
	s_add_i32 s45, s44, 1
	s_sub_i32 s46, s43, s47
	s_cmp_ge_u32 s43, s47
	s_cselect_b32 s44, s45, s44
	s_cselect_b32 s43, s46, s43
	s_add_i32 s45, s44, 1
	s_cmp_ge_u32 s43, s47
	s_cselect_b32 s43, s45, s44
	s_xor_b32 s43, s43, s42
	s_sub_i32 s57, s43, s42
	v_readlane_b32 s42, v253, 2
	s_mul_i32 s42, s65, s42
	s_add_i32 s62, s42, s57
	v_readlane_b32 s42, v254, 5
	v_readlane_b32 s43, v254, 6
	s_andn2_b64 vcc, exec, s[42:43]
	v_mov_b32_e32 v54, 1.0
	s_cbranch_vccnz .LBB9_18
; %bb.17:                               ;   in Loop: Header=BB9_13 Depth=1
	v_readlane_b32 s43, v253, 20
	s_sub_i32 s42, s62, s43
	s_lshl_b32 s42, s42, 1
	s_add_i32 s44, s62, 1
	s_or_b32 s45, s42, 1
	s_cmp_lt_u32 s62, s43
	v_readlane_b32 s72, v253, 55
	v_readlane_b32 s74, v253, 57
	;; [unrolled: 1-line block ×3, first 2 shown]
	s_cselect_b64 vcc, -1, 0
	s_mov_b64 s[70:71], s[74:75]
	s_and_b64 s[42:43], vcc, exec
	v_mov_b32_e32 v1, s71
	v_mov_b32_e32 v2, s70
	s_cselect_b32 s42, s44, s45
	v_cndmask_b32_e32 v18, v1, v2, vcc
	v_cvt_f32_i32_e32 v1, s42
	v_cmp_neq_f32_e32 vcc, 1.0, v18
	s_mov_b32 s42, 0x3f2aaaab
	s_movk_i32 s44, 0x204
	v_cndmask_b32_e32 v19, 1.0, v1, vcc
	v_cmp_eq_f32_e32 vcc, 0, v19
	v_cndmask_b32_e64 v20, |v18|, 1.0, vcc
	v_frexp_mant_f32_e32 v1, v20
	v_cmp_gt_f32_e64 s[42:43], s42, v1
	v_cndmask_b32_e64 v2, 1.0, 2.0, s[42:43]
	v_mul_f32_e32 v1, v1, v2
	v_add_f32_e32 v2, 1.0, v1
	v_rcp_f32_e32 v10, v2
	v_add_f32_e32 v3, -1.0, v2
	v_sub_f32_e32 v5, v1, v3
	v_add_f32_e32 v3, -1.0, v1
	v_mul_f32_e32 v1, v3, v10
	v_mul_f32_e32 v4, v2, v1
	v_fma_f32 v6, v1, v2, -v4
	v_fmac_f32_e32 v6, v1, v5
	v_add_f32_e32 v2, v4, v6
	v_sub_f32_e32 v5, v3, v2
	v_pk_add_f32 v[8:9], v[2:3], v[4:5] neg_lo:[0,1] neg_hi:[0,1]
	v_mov_b32_e32 v7, v2
	v_pk_add_f32 v[2:3], v[8:9], v[6:7] neg_lo:[0,1] neg_hi:[0,1]
	v_add_f32_e32 v2, v2, v3
	v_add_f32_e32 v2, v5, v2
	v_mul_f32_e32 v3, v10, v2
	v_add_f32_e32 v2, v1, v3
	v_sub_f32_e32 v1, v2, v1
	v_sub_f32_e32 v1, v3, v1
	v_mul_f32_e32 v3, v2, v2
	v_fma_f32 v5, v2, v2, -v3
	v_add_f32_e32 v4, v1, v1
	v_fmac_f32_e32 v5, v2, v4
	v_add_f32_e32 v4, v3, v5
	v_mov_b32_e32 v6, 0x3e91f4c4
	v_fmac_f32_e32 v6, 0x3e76c4e1, v4
	v_fma_f32 v6, v4, v6, v221
	v_sub_f32_e32 v3, v4, v3
	v_sub_f32_e32 v12, v5, v3
	v_mul_f32_e32 v3, v4, v6
	v_fma_f32 v5, v4, v6, -v3
	v_fmac_f32_e32 v5, v12, v6
	v_add_f32_e32 v6, v3, v5
	v_add_f32_e32 v7, 0x3f2aaaaa, v6
	v_sub_f32_e32 v3, v6, v3
	v_sub_f32_e32 v3, v5, v3
	v_add_f32_e32 v5, 0xbf2aaaaa, v7
	v_add_f32_e32 v3, 0x31739010, v3
	v_sub_f32_e32 v5, v6, v5
	v_pk_mul_f32 v[8:9], v[2:3], v[4:5]
	v_fma_f32 v6, v4, v2, -v8
	v_pk_add_f32 v[10:11], v[2:3], v[4:5]
	v_fmac_f32_e32 v6, v4, v1
	v_mov_b32_e32 v9, v11
	v_fmac_f32_e32 v6, v12, v2
	v_pk_add_f32 v[4:5], v[8:9], v[6:7]
	v_sub_f32_e32 v3, v4, v8
	v_sub_f32_e32 v3, v6, v3
	;; [unrolled: 1-line block ×3, first 2 shown]
	v_add_f32_e32 v10, v11, v6
	v_mov_b32_e32 v6, v5
	v_pk_mul_f32 v[6:7], v[4:5], v[6:7]
	v_cvt_f64_f32_e32 v[8:9], v20
	v_frexp_exp_i32_f64_e32 v7, v[8:9]
	v_subbrev_co_u32_e64 v7, s[42:43], 0, v7, s[42:43]
	v_cvt_f32_i32_e32 v7, v7
	v_fma_f32 v8, v4, v5, -v6
	v_fmac_f32_e32 v8, v4, v10
	s_mov_b32 s42, 0x3f317218
	v_mul_f32_e32 v4, 0x3f317218, v7
	v_fmac_f32_e32 v8, v3, v5
	v_fma_f32 v10, v7, s42, -v4
	v_fmac_f32_e32 v10, 0xb102e308, v7
	v_ldexp_f32 v11, v2, 1
	v_add_f32_e32 v5, v6, v8
	v_pk_add_f32 v[2:3], v[4:5], v[10:11]
	v_mov_b32_e32 v12, v5
	v_mov_b32_e32 v13, v3
	;; [unrolled: 1-line block ×3, first 2 shown]
	v_pk_add_f32 v[6:7], v[12:13], v[6:7] neg_lo:[0,1] neg_hi:[0,1]
	v_mov_b32_e32 v9, v5
	v_ldexp_f32 v1, v1, 1
	v_pk_add_f32 v[6:7], v[8:9], v[6:7] neg_lo:[0,1] neg_hi:[0,1]
	v_add_f32_e32 v1, v1, v6
	v_add_f32_e32 v5, v1, v7
	v_pk_add_f32 v[6:7], v[2:3], v[4:5] neg_lo:[0,1] neg_hi:[0,1]
	v_pk_add_f32 v[8:9], v[2:3], v[4:5]
	v_mov_b32_e32 v12, v6
	v_mov_b32_e32 v13, v9
	;; [unrolled: 1-line block ×3, first 2 shown]
	v_pk_add_f32 v[12:13], v[10:11], v[12:13]
	v_mov_b32_e32 v4, v13
	v_pk_add_f32 v[14:15], v[4:5], v[2:3] neg_lo:[0,1] neg_hi:[0,1]
	v_mov_b32_e32 v1, v14
	v_mov_b32_e32 v12, v9
	v_mov_b32_e32 v2, v3
	v_mov_b32_e32 v3, v14
	v_pk_add_f32 v[6:7], v[10:11], v[6:7] neg_lo:[0,1] neg_hi:[0,1]
	v_pk_add_f32 v[16:17], v[8:9], v[0:1] neg_lo:[0,1] neg_hi:[0,1]
	;; [unrolled: 1-line block ×3, first 2 shown]
	v_mov_b32_e32 v10, v5
	v_pk_add_f32 v[2:3], v[10:11], v[2:3] neg_lo:[0,1] neg_hi:[0,1]
	v_mov_b32_e32 v16, v6
	v_pk_add_f32 v[8:9], v[16:17], v[2:3]
	v_mov_b32_e32 v10, v9
	v_pk_add_f32 v[10:11], v[8:9], v[10:11]
	v_pk_add_f32 v[4:5], v[4:5], v[10:11]
	v_mov_b32_e32 v7, v13
	v_mov_b32_e32 v9, v4
	v_pk_add_f32 v[12:13], v[8:9], v[6:7] neg_lo:[0,1] neg_hi:[0,1]
	v_mov_b32_e32 v3, v10
	v_sub_f32_e32 v1, v8, v12
	v_pk_add_f32 v[2:3], v[2:3], v[12:13] neg_lo:[0,1] neg_hi:[0,1]
	v_sub_f32_e32 v1, v6, v1
	v_add_f32_e32 v1, v2, v1
	v_add_f32_e32 v1, v1, v3
	;; [unrolled: 1-line block ×3, first 2 shown]
	v_sub_f32_e32 v3, v2, v4
	v_sub_f32_e32 v1, v1, v3
	v_mul_f32_e32 v3, v19, v2
	v_fma_f32 v2, v19, v2, -v3
	v_fmac_f32_e32 v2, v19, v1
	v_add_f32_e32 v1, v3, v2
	v_cmp_class_f32_e64 s[42:43], v3, s44
	v_sub_f32_e32 v4, v1, v3
	v_cndmask_b32_e64 v1, v1, v3, s[42:43]
	v_cmp_eq_f32_e64 s[42:43], s49, v1
	v_cndmask_b32_e64 v3, 0, v222, s[42:43]
	v_sub_f32_e32 v2, v2, v4
	v_sub_f32_e32 v4, v1, v3
	v_mul_f32_e32 v5, 0x3fb8aa3b, v4
	v_fma_f32 v6, v4, s58, -v5
	v_rndne_f32_e32 v7, v5
	v_fmac_f32_e32 v6, 0x32a5705f, v4
	v_sub_f32_e32 v5, v5, v7
	v_add_f32_e32 v5, v5, v6
	v_exp_f32_e32 v5, v5
	v_cvt_i32_f32_e32 v6, v7
	s_mov_b32 s45, 0x7f800000
	v_cmp_neq_f32_e64 s[42:43], |v1|, s45
	v_cndmask_b32_e64 v1, 0, v2, s[42:43]
	v_ldexp_f32 v2, v5, v6
	v_cmp_ngt_f32_e64 s[42:43], s59, v4
	v_cndmask_b32_e64 v2, 0, v2, s[42:43]
	v_cmp_nlt_f32_e64 s[42:43], s49, v4
	v_add_f32_e32 v1, v3, v1
	v_cndmask_b32_e64 v2, v223, v2, s[42:43]
	v_fma_f32 v1, v2, v1, v2
	v_cmp_class_f32_e64 s[42:43], v2, s44
	v_trunc_f32_e32 v3, v19
	v_cndmask_b32_e64 v1, v1, v2, s[42:43]
	v_cndmask_b32_e64 v2, v18, 1.0, vcc
	v_cmp_eq_f32_e32 vcc, v3, v19
	v_mul_f32_e32 v3, 0.5, v19
	v_trunc_f32_e32 v4, v3
	v_cmp_neq_f32_e64 s[42:43], v4, v3
	s_and_b64 s[42:43], vcc, s[42:43]
	v_cndmask_b32_e64 v3, 1.0, v2, s[42:43]
	s_brev_b32 s63, -2
	v_bfi_b32 v1, s63, v1, v3
	v_cndmask_b32_e32 v3, v224, v1, vcc
	v_cmp_gt_f32_e32 vcc, 0, v2
	v_cndmask_b32_e32 v1, v1, v3, vcc
	v_cmp_eq_f32_e32 vcc, s45, v20
	v_cmp_eq_f32_e64 s[44:45], 0, v2
	v_cmp_gt_f32_e64 s[46:47], 0, v19
	s_xor_b64 s[46:47], s[46:47], s[44:45]
	v_cndmask_b32_e64 v3, v223, 0, s[46:47]
	v_cndmask_b32_e64 v4, 0, v2, s[42:43]
	v_bfi_b32 v3, s63, v3, v4
	s_or_b64 vcc, vcc, s[44:45]
	v_cndmask_b32_e32 v1, v1, v3, vcc
	v_cmp_o_f32_e32 vcc, v2, v2
	v_cndmask_b32_e32 v54, v224, v1, vcc
	v_readlane_b32 s73, v253, 56
.LBB9_18:                               ;   in Loop: Header=BB9_13 Depth=1
	v_readlane_b32 s42, v253, 3
	s_mul_i32 s57, s57, s42
	s_sub_i32 s42, s52, s57
	s_ashr_i32 s43, s42, 31
	v_readlane_b32 s44, v253, 32
	s_xor_b32 s43, s43, s44
	s_abs_i32 s42, s42
	v_readlane_b32 s44, v253, 33
	s_mul_hi_u32 s44, s42, s44
	v_readlane_b32 s47, v253, 34
	s_mul_i32 s45, s44, s47
	s_sub_i32 s42, s42, s45
	s_add_i32 s45, s44, 1
	s_sub_i32 s46, s42, s47
	s_cmp_ge_u32 s42, s47
	s_cselect_b32 s44, s45, s44
	s_cselect_b32 s42, s46, s42
	s_add_i32 s45, s44, 1
	s_cmp_ge_u32 s42, s47
	s_cselect_b32 s42, s45, s44
	v_readlane_b32 s44, v254, 7
	s_xor_b32 s42, s42, s43
	v_readlane_b32 s45, v254, 8
	s_andn2_b64 vcc, exec, s[44:45]
	s_sub_i32 s66, s42, s43
	s_cbranch_vccnz .LBB9_20
; %bb.19:                               ;   in Loop: Header=BB9_13 Depth=1
	v_readlane_b32 s42, v253, 0
	s_mul_i32 s42, s48, s42
	s_add_i32 s42, s66, s42
	s_ashr_i32 s43, s42, 31
	v_readlane_b32 s72, v253, 35
	s_lshl_b64 s[42:43], s[42:43], 2
	v_readlane_b32 s82, v253, 45
	v_readlane_b32 s83, v253, 46
	s_add_u32 s42, s82, s42
	s_addc_u32 s43, s83, s43
	global_load_dword v1, v175, s[42:43]
	v_readlane_b32 s73, v253, 36
	v_readlane_b32 s74, v253, 37
	;; [unrolled: 1-line block ×13, first 2 shown]
	s_waitcnt vmcnt(0)
	v_readfirstlane_b32 s42, v1
	s_ashr_i32 s43, s42, 31
	s_lshr_b32 s43, s43, 26
	s_add_i32 s42, s42, s43
	s_ashr_i32 s42, s42, 6
	v_readlane_b32 s43, v253, 63
	s_min_i32 s43, s43, s42
	v_writelane_b32 v253, s43, 63
	s_branch .LBB9_21
.LBB9_20:                               ;   in Loop: Header=BB9_13 Depth=1
	v_readlane_b32 s72, v253, 35
	v_readlane_b32 s73, v253, 36
	v_readlane_b32 s74, v253, 37
	v_readlane_b32 s75, v253, 38
	v_readlane_b32 s76, v253, 39
	v_readlane_b32 s77, v253, 40
	v_readlane_b32 s78, v253, 41
	v_readlane_b32 s79, v253, 42
	v_readlane_b32 s80, v253, 43
	v_readlane_b32 s81, v253, 44
	v_readlane_b32 s82, v253, 45
	v_readlane_b32 s83, v253, 46
	v_readlane_b32 s84, v253, 47
	v_readlane_b32 s85, v253, 48
	v_readlane_b32 s86, v253, 49
	v_readlane_b32 s87, v253, 50
.LBB9_21:                               ;   in Loop: Header=BB9_13 Depth=1
	v_readlane_b32 s42, v254, 2
	s_mul_i32 s42, s42, s48
	s_add_i32 s42, s62, s42
	s_mul_i32 s52, s42, 40
	s_lshl_b64 s[42:43], s[52:53], 3
	s_add_u32 s52, s84, s42
	v_readlane_b32 s44, v253, 21
	s_addc_u32 s42, s85, s43
	v_readlane_b32 s45, v253, 22
	v_writelane_b32 v254, s42, 24
	s_mul_i32 s42, s48, s45
	s_mul_hi_u32 s43, s48, s44
	s_add_i32 s42, s43, s42
	s_mul_i32 s43, s64, s44
	s_add_i32 s43, s42, s43
	s_mul_i32 s42, s48, s44
	v_readlane_b32 s44, v253, 28
	v_writelane_b32 v254, s42, 25
	s_add_u32 s42, s76, s42
	v_readlane_b32 s45, v253, 29
	v_readlane_b32 s47, v253, 31
	v_writelane_b32 v254, s43, 26
	s_addc_u32 s43, s77, s43
	s_mov_b64 s[76:77], s[44:45]
	s_mul_i32 s44, s65, s47
	s_ashr_i32 s45, s44, 31
	s_add_u32 s57, s42, s44
	v_writelane_b32 v254, s44, 27
	s_addc_u32 s44, s43, s45
	s_ashr_i32 s63, s62, 31
	s_lshl_b64 s[42:43], s[62:63], 2
	v_readlane_b32 s46, v253, 30
	v_writelane_b32 v254, s45, 28
	s_add_u32 s45, s80, s42
	s_addc_u32 s46, s81, s43
	v_readlane_b32 s42, v254, 3
	v_readlane_b32 s43, v254, 4
	s_and_b64 s[42:43], s[42:43], exec
	s_cselect_b32 s79, 0, s46
	v_readlane_b32 s46, v253, 10
	v_readlane_b32 s47, v253, 11
	s_mul_i32 s42, s48, s47
	s_cselect_b32 s78, 0, s45
	s_ashr_i32 s43, s42, 31
	s_add_u32 s42, s72, s42
	s_mul_i32 s45, s62, s46
	s_addc_u32 s43, s73, s43
	s_ashr_i32 s46, s45, 31
	s_add_u32 s42, s42, s45
	v_writelane_b32 v254, s42, 29
	s_addc_u32 s42, s43, s46
	v_writelane_b32 v254, s42, 30
	s_mul_i32 s42, s48, s77
	s_mul_hi_u32 s43, s48, s76
	s_add_i32 s42, s43, s42
	s_mul_i32 s64, s64, s76
	s_add_i32 s43, s42, s64
	s_mul_i32 s42, s48, s76
	v_readlane_b32 s46, v253, 26
	v_writelane_b32 v254, s42, 31
	v_readlane_b32 s47, v253, 27
	s_add_u32 s42, s74, s42
	v_writelane_b32 v254, s43, 32
	s_mul_i32 s45, s65, s47
	s_addc_u32 s43, s75, s43
	s_ashr_i32 s46, s45, 31
	v_writelane_b32 v254, s45, 33
	v_writelane_b32 v254, s46, 34
	;; [unrolled: 1-line block ×3, first 2 shown]
	s_add_u32 s45, s42, s45
	v_writelane_b32 v254, s78, 36
	s_addc_u32 s48, s43, s46
	v_writelane_b32 v254, s79, 37
	s_cmp_lg_u32 s68, 0
	v_writelane_b32 v254, s66, 38
	s_cbranch_scc0 .LBB9_82
; %bb.22:                               ;   in Loop: Header=BB9_13 Depth=1
	s_lshl_b32 s69, s66, 6
	v_readlane_b32 s64, v253, 51
	v_add_u32_e32 v98, s69, v43
	s_mov_b32 s52, s64
	v_cmp_gt_i32_e64 s[42:43], s52, v98
	v_writelane_b32 v254, s42, 61
	v_writelane_b32 v254, s43, 62
	v_cmp_le_i32_e32 vcc, s52, v98
	v_readlane_b32 s65, v253, 52
	v_readlane_b32 s66, v253, 53
	;; [unrolled: 1-line block ×3, first 2 shown]
	s_and_saveexec_b64 s[42:43], vcc
	s_xor_b64 s[46:47], exec, s[42:43]
	s_cbranch_execz .LBB9_24
; %bb.23:                               ;   in Loop: Header=BB9_13 Depth=1
	ds_write_b32 v150, v175
.LBB9_24:                               ;   in Loop: Header=BB9_13 Depth=1
	s_andn2_saveexec_b64 s[46:47], s[46:47]
	s_cbranch_execz .LBB9_26
; %bb.25:                               ;   in Loop: Header=BB9_13 Depth=1
	v_readlane_b32 s42, v253, 25
	v_mad_u64_u32 v[2:3], s[42:43], v98, s42, v[42:43]
	v_ashrrev_i32_e32 v3, 31, v2
	v_readlane_b32 s42, v254, 30
	v_lshlrev_b64 v[2:3], 3, v[2:3]
	v_mov_b32_e32 v1, s42
	v_readlane_b32 s42, v254, 29
	v_add_co_u32_e32 v2, vcc, s42, v2
	v_addc_co_u32_e32 v3, vcc, v1, v3, vcc
	global_load_dwordx2 v[2:3], v[2:3], off
	s_waitcnt vmcnt(0)
	v_cvt_f16_f32_e32 v1, v2
	v_cvt_f16_f32_e32 v2, v3
	v_pack_b32_f16 v1, v1, v2
	v_pk_mul_f16 v1, v33, v1
	ds_write_b32 v150, v1
.LBB9_26:                               ;   in Loop: Header=BB9_13 Depth=1
	s_or_b64 exec, exec, s[46:47]
	v_readlane_b32 s64, v253, 51
	v_add_u32_e32 v97, s69, v217
	s_mov_b32 s52, s64
	v_cmp_gt_i32_e64 s[42:43], s52, v97
                                        ; implicit-def: $vgpr255 : SGPR spill to VGPR lane
	v_writelane_b32 v254, s42, 63
	v_writelane_b32 v255, s43, 0
	v_cmp_le_i32_e32 vcc, s52, v97
	v_readlane_b32 s65, v253, 52
	v_readlane_b32 s66, v253, 53
	v_readlane_b32 s67, v253, 54
	s_and_saveexec_b64 s[42:43], vcc
	s_xor_b64 s[46:47], exec, s[42:43]
	s_cbranch_execz .LBB9_28
; %bb.27:                               ;   in Loop: Header=BB9_13 Depth=1
	ds_write_b32 v150, v175 offset:1408
.LBB9_28:                               ;   in Loop: Header=BB9_13 Depth=1
	s_andn2_saveexec_b64 s[46:47], s[46:47]
	s_cbranch_execz .LBB9_30
; %bb.29:                               ;   in Loop: Header=BB9_13 Depth=1
	v_readlane_b32 s42, v253, 25
	v_mad_u64_u32 v[2:3], s[42:43], v97, s42, v[42:43]
	v_ashrrev_i32_e32 v3, 31, v2
	v_readlane_b32 s42, v254, 30
	v_lshlrev_b64 v[2:3], 3, v[2:3]
	v_mov_b32_e32 v1, s42
	v_readlane_b32 s42, v254, 29
	v_add_co_u32_e32 v2, vcc, s42, v2
	v_addc_co_u32_e32 v3, vcc, v1, v3, vcc
	global_load_dwordx2 v[2:3], v[2:3], off
	s_waitcnt vmcnt(0)
	v_cvt_f16_f32_e32 v1, v2
	v_cvt_f16_f32_e32 v2, v3
	v_pack_b32_f16 v1, v1, v2
	v_pk_mul_f16 v1, v33, v1
	ds_write_b32 v150, v1 offset:1408
.LBB9_30:                               ;   in Loop: Header=BB9_13 Depth=1
	s_or_b64 exec, exec, s[46:47]
	v_readlane_b32 s64, v253, 51
	v_add_u32_e32 v96, s69, v151
	s_mov_b32 s52, s64
	v_cmp_gt_i32_e64 s[42:43], s52, v96
	v_writelane_b32 v255, s42, 1
	v_writelane_b32 v255, s43, 2
	v_cmp_le_i32_e32 vcc, s52, v96
	v_readlane_b32 s65, v253, 52
	v_readlane_b32 s66, v253, 53
	v_readlane_b32 s67, v253, 54
	s_and_saveexec_b64 s[42:43], vcc
	s_xor_b64 s[46:47], exec, s[42:43]
	s_cbranch_execz .LBB9_32
; %bb.31:                               ;   in Loop: Header=BB9_13 Depth=1
	ds_write_b32 v150, v175 offset:2816
.LBB9_32:                               ;   in Loop: Header=BB9_13 Depth=1
	s_andn2_saveexec_b64 s[46:47], s[46:47]
	s_cbranch_execz .LBB9_34
; %bb.33:                               ;   in Loop: Header=BB9_13 Depth=1
	v_readlane_b32 s42, v253, 25
	v_mad_u64_u32 v[2:3], s[42:43], v96, s42, v[42:43]
	v_ashrrev_i32_e32 v3, 31, v2
	v_readlane_b32 s42, v254, 30
	v_lshlrev_b64 v[2:3], 3, v[2:3]
	v_mov_b32_e32 v1, s42
	v_readlane_b32 s42, v254, 29
	v_add_co_u32_e32 v2, vcc, s42, v2
	v_addc_co_u32_e32 v3, vcc, v1, v3, vcc
	global_load_dwordx2 v[2:3], v[2:3], off
	s_waitcnt vmcnt(0)
	v_cvt_f16_f32_e32 v1, v2
	v_cvt_f16_f32_e32 v2, v3
	v_pack_b32_f16 v1, v1, v2
	v_pk_mul_f16 v1, v33, v1
	ds_write_b32 v150, v1 offset:2816
.LBB9_34:                               ;   in Loop: Header=BB9_13 Depth=1
	s_or_b64 exec, exec, s[46:47]
	v_readlane_b32 s64, v253, 51
	v_add_u32_e32 v95, s69, v218
	s_mov_b32 s52, s64
	v_cmp_gt_i32_e64 s[42:43], s52, v95
	;; [unrolled: 37-line block ×7, first 2 shown]
	v_writelane_b32 v255, s42, 13
	v_writelane_b32 v255, s43, 14
	v_cmp_le_i32_e32 vcc, s52, v29
	v_readlane_b32 s65, v253, 52
	v_readlane_b32 s66, v253, 53
	;; [unrolled: 1-line block ×3, first 2 shown]
	s_and_saveexec_b64 s[42:43], vcc
	s_xor_b64 s[46:47], exec, s[42:43]
	s_cbranch_execz .LBB9_56
; %bb.55:                               ;   in Loop: Header=BB9_13 Depth=1
	ds_write_b32 v128, v175 offset:128
.LBB9_56:                               ;   in Loop: Header=BB9_13 Depth=1
	s_andn2_saveexec_b64 s[46:47], s[46:47]
	s_cbranch_execz .LBB9_58
; %bb.57:                               ;   in Loop: Header=BB9_13 Depth=1
	v_readlane_b32 s42, v253, 25
	v_mul_lo_u32 v2, v29, s42
	v_ashrrev_i32_e32 v3, 31, v2
	v_add_co_u32_e32 v2, vcc, v2, v28
	v_addc_co_u32_e32 v3, vcc, 0, v3, vcc
	v_readlane_b32 s42, v254, 30
	v_lshlrev_b64 v[2:3], 3, v[2:3]
	v_mov_b32_e32 v4, s42
	v_readlane_b32 s42, v254, 29
	v_add_co_u32_e32 v2, vcc, s42, v2
	v_addc_co_u32_e32 v3, vcc, v4, v3, vcc
	global_load_dwordx2 v[2:3], v[2:3], off offset:256
	s_waitcnt vmcnt(0)
	v_cvt_f16_f32_e32 v2, v2
	v_cvt_f16_f32_e32 v3, v3
	v_pack_b32_f16 v2, v2, v3
	v_pk_mul_f16 v2, v33, v2
	ds_write_b32 v128, v2 offset:128
.LBB9_58:                               ;   in Loop: Header=BB9_13 Depth=1
	s_or_b64 exec, exec, s[46:47]
	v_readlane_b32 s64, v253, 51
	v_add_u32_e32 v226, s69, v137
	s_mov_b32 s52, s64
	v_cmp_gt_i32_e64 s[42:43], s52, v226
	v_writelane_b32 v255, s42, 15
	v_writelane_b32 v255, s43, 16
	v_cmp_le_i32_e32 vcc, s52, v226
	v_readlane_b32 s65, v253, 52
	v_readlane_b32 s66, v253, 53
	;; [unrolled: 1-line block ×3, first 2 shown]
	s_and_saveexec_b64 s[42:43], vcc
	s_xor_b64 s[46:47], exec, s[42:43]
	s_cbranch_execz .LBB9_60
; %bb.59:                               ;   in Loop: Header=BB9_13 Depth=1
	ds_write_b32 v129, v175 offset:128
.LBB9_60:                               ;   in Loop: Header=BB9_13 Depth=1
	s_andn2_saveexec_b64 s[46:47], s[46:47]
	s_cbranch_execz .LBB9_62
; %bb.61:                               ;   in Loop: Header=BB9_13 Depth=1
	v_readlane_b32 s42, v253, 25
	v_mul_lo_u32 v2, v226, s42
	v_ashrrev_i32_e32 v3, 31, v2
	v_add_co_u32_e32 v2, vcc, v2, v28
	v_addc_co_u32_e32 v3, vcc, 0, v3, vcc
	v_readlane_b32 s42, v254, 30
	v_lshlrev_b64 v[2:3], 3, v[2:3]
	v_mov_b32_e32 v4, s42
	v_readlane_b32 s42, v254, 29
	v_add_co_u32_e32 v2, vcc, s42, v2
	v_addc_co_u32_e32 v3, vcc, v4, v3, vcc
	global_load_dwordx2 v[2:3], v[2:3], off offset:256
	s_waitcnt vmcnt(0)
	v_cvt_f16_f32_e32 v2, v2
	v_cvt_f16_f32_e32 v3, v3
	v_pack_b32_f16 v2, v2, v3
	v_pk_mul_f16 v2, v33, v2
	ds_write_b32 v129, v2 offset:128
.LBB9_62:                               ;   in Loop: Header=BB9_13 Depth=1
	s_or_b64 exec, exec, s[46:47]
	s_waitcnt lgkmcnt(0)
	s_barrier
	ds_read2_b64 v[6:9], v107 offset1:4
	ds_read2_b64 v[2:5], v107 offset0:8 offset1:12
	ds_read_b64 v[58:59], v107 offset:128
	v_readlane_b32 s42, v253, 63
	s_add_i32 s70, s42, -1
	s_cmp_le_i32 s70, s68
	v_mov_b32_e32 v232, 0
	s_waitcnt lgkmcnt(0)
	s_barrier
	s_cbranch_scc1 .LBB9_84
; %bb.63:                               ;   in Loop: Header=BB9_13 Depth=1
	v_readlane_b32 s46, v253, 15
	v_add_u32_e32 v55, s69, v190
	v_mul_hi_u32 v60, s46, v55
	v_readlane_b32 s47, v253, 16
	v_readlane_b32 s64, v253, 51
	v_add_u32_e32 v60, v55, v60
	s_mov_b32 s52, s64
	v_lshrrev_b32_e32 v60, s47, v60
	v_readlane_b32 s65, v253, 52
	v_mul_lo_u32 v60, v60, s52
	v_readlane_b32 s64, v253, 61
	v_sub_u32_e32 v55, v55, v60
	v_mad_i64_i32 v[78:79], s[42:43], v55, s64, 0
	v_add_u32_e32 v55, s69, v192
	v_mul_hi_u32 v60, s46, v55
	v_add_u32_e32 v60, v55, v60
	v_lshrrev_b32_e32 v60, s47, v60
	v_mul_lo_u32 v60, v60, s52
	v_sub_u32_e32 v55, v55, v60
	v_mad_i64_i32 v[80:81], s[42:43], v55, s64, 0
	v_add_u32_e32 v55, s69, v194
	v_mul_hi_u32 v60, s46, v55
	v_add_u32_e32 v60, v55, v60
	v_lshrrev_b32_e32 v60, s47, v60
	v_mul_lo_u32 v60, v60, s52
	;; [unrolled: 7-line block ×7, first 2 shown]
	v_lshlrev_b32_e32 v10, 1, v26
	v_sub_u32_e32 v55, v55, v60
	v_add_co_u32_e32 v102, vcc, v56, v10
	v_add_u32_e32 v10, s69, v35
	v_add_u32_e32 v12, s69, v176
	;; [unrolled: 1-line block ×8, first 2 shown]
	v_mad_i64_i32 v[92:93], s[42:43], v55, s64, 0
	v_and_b32_e32 v55, 64, v225
	v_addc_co_u32_e32 v103, vcc, 0, v57, vcc
	v_mul_hi_u32 v11, s46, v10
	v_mul_hi_u32 v13, s46, v12
	v_mul_hi_u32 v15, s46, v14
	v_mul_hi_u32 v17, s46, v16
	v_mul_hi_u32 v19, s46, v18
	v_mul_hi_u32 v21, s46, v20
	v_mul_hi_u32 v23, s46, v22
	v_mul_hi_u32 v25, s46, v24
	v_add_u32_e32 v55, 64, v55
	v_xor_b32_e32 v60, 32, v225
	v_add_u32_e32 v11, v10, v11
	v_add_u32_e32 v13, v12, v13
	;; [unrolled: 1-line block ×8, first 2 shown]
	v_cmp_lt_i32_e32 vcc, v60, v55
	v_lshrrev_b32_e32 v11, s47, v11
	v_lshrrev_b32_e32 v13, s47, v13
	;; [unrolled: 1-line block ×8, first 2 shown]
	v_cndmask_b32_e32 v60, v225, v60, vcc
	v_mul_lo_u32 v11, v11, s52
	v_mul_lo_u32 v13, v13, s52
	;; [unrolled: 1-line block ×8, first 2 shown]
	v_lshlrev_b32_e32 v105, 2, v60
	v_xor_b32_e32 v60, 16, v225
	v_sub_u32_e32 v10, v10, v11
	v_sub_u32_e32 v12, v12, v13
	;; [unrolled: 1-line block ×8, first 2 shown]
	v_cmp_lt_i32_e32 vcc, v60, v55
	v_readlane_b32 s66, v253, 53
	v_mad_i64_i32 v[10:11], s[42:43], v10, s64, 0
	v_mad_i64_i32 v[12:13], s[42:43], v12, s64, 0
	;; [unrolled: 1-line block ×8, first 2 shown]
	v_cndmask_b32_e32 v55, v225, v60, vcc
	v_cmp_ne_u64_e64 s[62:63], 0, v[56:57]
	v_mov_b32_e32 v101, 0
	v_lshlrev_b32_e32 v227, 2, v55
	v_mov_b32_e32 v60, v54
	v_mov_b32_e32 v61, v54
	s_lshl_b32 s66, s68, 6
	v_mov_b32_e32 v235, 0
	v_mov_b32_e32 v236, 0xfeffffff
	v_lshlrev_b64 v[62:63], 1, v[10:11]
	v_lshlrev_b64 v[64:65], 1, v[12:13]
	v_lshlrev_b64 v[66:67], 1, v[14:15]
	v_lshlrev_b64 v[68:69], 1, v[16:17]
	v_lshlrev_b64 v[70:71], 1, v[18:19]
	v_lshlrev_b64 v[72:73], 1, v[20:21]
	v_lshlrev_b64 v[74:75], 1, v[22:23]
	v_lshlrev_b64 v[76:77], 1, v[24:25]
	v_lshlrev_b64 v[78:79], 1, v[78:79]
	v_lshlrev_b64 v[80:81], 1, v[80:81]
	v_lshlrev_b64 v[82:83], 1, v[82:83]
	v_lshlrev_b64 v[84:85], 1, v[84:85]
	v_lshlrev_b64 v[86:87], 1, v[86:87]
	v_lshlrev_b64 v[88:89], 1, v[88:89]
	v_lshlrev_b64 v[90:91], 1, v[90:91]
	v_lshlrev_b64 v[92:93], 1, v[92:93]
	v_mov_b32_e32 v104, 0
	v_mov_b32_e32 v100, 0
	;; [unrolled: 1-line block ×9, first 2 shown]
	v_readlane_b32 s67, v253, 54
	v_readlane_b32 s65, v253, 62
.LBB9_64:                               ;   Parent Loop BB9_13 Depth=1
                                        ; =>  This Inner Loop Header: Depth=2
	s_nop 0
	v_cndmask_b32_e64 v10, 0, 1, s[62:63]
	v_cmp_ne_u32_e64 s[64:65], 1, v10
	s_andn2_b64 vcc, exec, s[62:63]
	s_ashr_i32 s67, s66, 31
	s_cbranch_vccnz .LBB9_74
; %bb.65:                               ;   in Loop: Header=BB9_64 Depth=2
                                        ; implicit-def: $sgpr42
	s_and_saveexec_b64 s[46:47], s[6:7]
	s_xor_b64 s[46:47], exec, s[46:47]
	s_cbranch_execz .LBB9_67
; %bb.66:                               ;   in Loop: Header=BB9_64 Depth=2
	ds_write_b16 v108, v175 offset:11264
	ds_write_b16 v177, v175 offset:11264
	;; [unrolled: 1-line block ×4, first 2 shown]
	s_mov_b32 s42, 0
.LBB9_67:                               ;   in Loop: Header=BB9_64 Depth=2
	s_or_saveexec_b64 s[46:47], s[46:47]
	s_lshl_b64 s[72:73], s[66:67], 1
	v_mov_b32_e32 v11, s73
	v_add_co_u32_e32 v10, vcc, s72, v102
	v_addc_co_u32_e32 v11, vcc, v103, v11, vcc
	v_mov_b32_e32 v12, s42
	v_mov_b32_e32 v13, s42
	;; [unrolled: 1-line block ×4, first 2 shown]
	s_xor_b64 exec, exec, s[46:47]
	s_cbranch_execz .LBB9_69
; %bb.68:                               ;   in Loop: Header=BB9_64 Depth=2
	v_add_co_u32_e32 v12, vcc, v10, v62
	v_addc_co_u32_e32 v13, vcc, v11, v63, vcc
	flat_load_ushort v14, v[12:13]
	v_add_co_u32_e32 v12, vcc, v10, v64
	v_addc_co_u32_e32 v13, vcc, v11, v65, vcc
	flat_load_ushort v15, v[12:13]
	;; [unrolled: 3-line block ×4, first 2 shown]
	s_waitcnt vmcnt(0) lgkmcnt(0)
	ds_write_b16 v108, v14 offset:11264
	ds_write_b16 v177, v15 offset:11264
	;; [unrolled: 1-line block ×4, first 2 shown]
	v_add_co_u32_e32 v12, vcc, v10, v70
	v_addc_co_u32_e32 v13, vcc, v11, v71, vcc
	v_add_co_u32_e32 v14, vcc, v10, v72
	v_addc_co_u32_e32 v15, vcc, v11, v73, vcc
	flat_load_ushort v12, v[12:13]
	s_nop 0
	flat_load_ushort v13, v[14:15]
	v_add_co_u32_e32 v14, vcc, v10, v74
	v_addc_co_u32_e32 v15, vcc, v11, v75, vcc
	v_add_co_u32_e32 v16, vcc, v10, v76
	v_addc_co_u32_e32 v17, vcc, v11, v77, vcc
	flat_load_ushort v14, v[14:15]
	s_nop 0
	flat_load_ushort v15, v[16:17]
.LBB9_69:                               ;   in Loop: Header=BB9_64 Depth=2
	s_or_b64 exec, exec, s[46:47]
	s_waitcnt vmcnt(0) lgkmcnt(0)
	ds_write_b16 v183, v12 offset:11264
	ds_write_b16 v185, v13 offset:11264
	;; [unrolled: 1-line block ×4, first 2 shown]
                                        ; implicit-def: $sgpr42
	s_and_saveexec_b64 s[46:47], s[6:7]
	s_xor_b64 s[46:47], exec, s[46:47]
	s_cbranch_execz .LBB9_71
; %bb.70:                               ;   in Loop: Header=BB9_64 Depth=2
	ds_write_b16 v191, v175 offset:11264
	ds_write_b16 v193, v175 offset:11264
	;; [unrolled: 1-line block ×4, first 2 shown]
	s_mov_b32 s42, 0
                                        ; implicit-def: $vgpr10
                                        ; implicit-def: $vgpr11
.LBB9_71:                               ;   in Loop: Header=BB9_64 Depth=2
	s_or_saveexec_b64 s[46:47], s[46:47]
	v_mov_b32_e32 v12, s42
	v_mov_b32_e32 v13, s42
	;; [unrolled: 1-line block ×4, first 2 shown]
	s_xor_b64 exec, exec, s[46:47]
	s_cbranch_execz .LBB9_73
; %bb.72:                               ;   in Loop: Header=BB9_64 Depth=2
	v_add_co_u32_e32 v12, vcc, v10, v78
	v_addc_co_u32_e32 v13, vcc, v11, v79, vcc
	flat_load_ushort v14, v[12:13]
	v_add_co_u32_e32 v12, vcc, v10, v80
	v_addc_co_u32_e32 v13, vcc, v11, v81, vcc
	flat_load_ushort v15, v[12:13]
	;; [unrolled: 3-line block ×4, first 2 shown]
	s_waitcnt vmcnt(0) lgkmcnt(0)
	ds_write_b16 v191, v14 offset:11264
	ds_write_b16 v193, v15 offset:11264
	;; [unrolled: 1-line block ×4, first 2 shown]
	v_add_co_u32_e32 v12, vcc, v10, v86
	v_addc_co_u32_e32 v13, vcc, v11, v87, vcc
	v_add_co_u32_e32 v14, vcc, v10, v88
	v_addc_co_u32_e32 v15, vcc, v11, v89, vcc
	flat_load_ushort v12, v[12:13]
	s_nop 0
	flat_load_ushort v13, v[14:15]
	v_add_co_u32_e32 v14, vcc, v10, v90
	v_addc_co_u32_e32 v15, vcc, v11, v91, vcc
	v_add_co_u32_e32 v10, vcc, v10, v92
	v_addc_co_u32_e32 v11, vcc, v11, v93, vcc
	flat_load_ushort v14, v[14:15]
	s_nop 0
	flat_load_ushort v15, v[10:11]
.LBB9_73:                               ;   in Loop: Header=BB9_64 Depth=2
	s_or_b64 exec, exec, s[46:47]
	s_waitcnt vmcnt(0) lgkmcnt(0)
	ds_write_b16 v199, v12 offset:11264
	ds_write_b16 v201, v13 offset:11264
	;; [unrolled: 1-line block ×4, first 2 shown]
.LBB9_74:                               ;   in Loop: Header=BB9_64 Depth=2
	s_mul_hi_i32 s43, s66, s50
	s_mul_i32 s42, s66, s50
	s_lshl_b64 s[46:47], s[42:43], 2
	s_add_u32 s43, s45, s46
	s_addc_u32 s42, s48, s47
	buffer_store_dword v175, off, s[0:3], 0
	buffer_store_dword v175, off, s[0:3], 0 offset:4
	buffer_store_dword v175, off, s[0:3], 0 offset:8
	;; [unrolled: 1-line block ×3, first 2 shown]
	s_and_saveexec_b64 s[46:47], s[98:99]
	s_cbranch_execz .LBB9_76
; %bb.75:                               ;   in Loop: Header=BB9_64 Depth=2
	v_mov_b32_e32 v10, s42
	v_add_co_u32_e32 v11, vcc, s43, v40
	v_addc_co_u32_e32 v12, vcc, v10, v41, vcc
	v_lshlrev_b32_e32 v10, 2, v32
	v_add_co_u32_e32 v10, vcc, v11, v10
	v_addc_co_u32_e32 v11, vcc, 0, v12, vcc
	global_load_dwordx4 v[10:13], v[10:11], off offset:128
	s_waitcnt vmcnt(0)
	ds_write_b128 v110, v[10:13]
.LBB9_76:                               ;   in Loop: Header=BB9_64 Depth=2
	s_or_b64 exec, exec, s[46:47]
	v_add_co_u32_e32 v10, vcc, s43, v48
	v_mov_b32_e32 v11, s42
	v_addc_co_u32_e32 v11, vcc, v11, v49, vcc
	v_lshlrev_b32_e32 v234, 2, v34
	v_add_co_u32_e32 v10, vcc, v10, v234
	v_addc_co_u32_e32 v11, vcc, 0, v11, vcc
	v_mov_b32_e32 v14, s55
	v_mov_b32_e32 v15, s54
	v_cndmask_b32_e64 v11, v14, v11, s[10:11]
	v_cndmask_b32_e64 v10, v15, v10, s[10:11]
	flat_load_dwordx4 v[10:13], v[10:11]
	v_add_u32_e32 v18, 0x800, v111
	v_add_u32_e32 v55, 0x1000, v111
	s_waitcnt vmcnt(0) lgkmcnt(0)
	ds_write_b128 v126, v[10:13]
	v_add_co_u32_e32 v10, vcc, s43, v50
	v_mov_b32_e32 v11, s42
	v_addc_co_u32_e32 v11, vcc, v11, v51, vcc
	v_add_co_u32_e32 v10, vcc, v10, v234
	v_addc_co_u32_e32 v11, vcc, 0, v11, vcc
	v_cndmask_b32_e64 v11, v14, v11, s[16:17]
	v_cndmask_b32_e64 v10, v15, v10, s[16:17]
	flat_load_dwordx4 v[10:13], v[10:11]
	s_and_b64 vcc, exec, s[64:65]
	s_waitcnt vmcnt(0) lgkmcnt(0)
	ds_write_b128 v127, v[10:13]
	s_waitcnt lgkmcnt(0)
	s_barrier
	ds_read2_b64 v[10:13], v111 offset1:4
	s_waitcnt lgkmcnt(0)
	v_mfma_f32_16x16x16f16 v[14:17], v[10:11], v[6:7], 0
	v_mfma_f32_16x16x16f16 v[10:13], v[12:13], v[8:9], v[14:17]
	s_nop 7
	s_nop 1
	ds_read2_b64 v[14:17], v111 offset0:8 offset1:12
	s_waitcnt lgkmcnt(0)
	v_mfma_f32_16x16x16f16 v[10:13], v[14:15], v[2:3], v[10:13]
	ds_read_b64 v[14:15], v111 offset:128
	v_mfma_f32_16x16x16f16 v[10:13], v[16:17], v[4:5], v[10:13]
	s_waitcnt lgkmcnt(0)
	v_mfma_f32_16x16x16f16 v[22:25], v[14:15], v[58:59], v[10:13]
	s_nop 7
	s_nop 0
	ds_read2_b64 v[10:13], v18 offset0:96 offset1:100
	s_waitcnt lgkmcnt(0)
	v_mfma_f32_16x16x16f16 v[14:17], v[10:11], v[6:7], 0
	v_mfma_f32_16x16x16f16 v[10:13], v[12:13], v[8:9], v[14:17]
	s_nop 7
	s_nop 1
	ds_read2_b64 v[14:17], v18 offset0:104 offset1:108
	s_waitcnt lgkmcnt(0)
	v_mfma_f32_16x16x16f16 v[10:13], v[14:15], v[2:3], v[10:13]
	ds_read_b64 v[14:15], v111 offset:2944
	v_mfma_f32_16x16x16f16 v[10:13], v[16:17], v[4:5], v[10:13]
	s_waitcnt lgkmcnt(0)
	v_mfma_f32_16x16x16f16 v[18:21], v[14:15], v[58:59], v[10:13]
	s_nop 7
	s_nop 0
	ds_read2_b64 v[10:13], v55 offset0:192 offset1:196
	s_waitcnt lgkmcnt(0)
	v_mfma_f32_16x16x16f16 v[14:17], v[10:11], v[6:7], 0
	v_mfma_f32_16x16x16f16 v[10:13], v[12:13], v[8:9], v[14:17]
	s_nop 7
	s_nop 1
	ds_read2_b64 v[14:17], v55 offset0:200 offset1:204
	s_waitcnt lgkmcnt(0)
	v_mfma_f32_16x16x16f16 v[10:13], v[14:15], v[2:3], v[10:13]
	ds_read_b64 v[14:15], v111 offset:5760
	v_add_u32_e32 v55, 0x2000, v111
	v_mfma_f32_16x16x16f16 v[10:13], v[16:17], v[4:5], v[10:13]
	s_waitcnt lgkmcnt(0)
	v_mfma_f32_16x16x16f16 v[10:13], v[14:15], v[58:59], v[10:13]
	ds_read2_b64 v[14:17], v55 offset0:32 offset1:36
	s_waitcnt lgkmcnt(0)
	v_mfma_f32_16x16x16f16 v[238:241], v[14:15], v[6:7], 0
	v_mfma_f32_16x16x16f16 v[14:17], v[16:17], v[8:9], v[238:241]
	s_nop 7
	s_nop 1
	ds_read2_b64 v[238:241], v55 offset0:40 offset1:44
	s_waitcnt lgkmcnt(0)
	v_mfma_f32_16x16x16f16 v[14:17], v[238:239], v[2:3], v[14:17]
	ds_read_b64 v[238:239], v111 offset:8576
	s_waitcnt lgkmcnt(0)
	s_barrier
	v_mfma_f32_16x16x16f16 v[14:17], v[240:241], v[4:5], v[14:17]
	v_mfma_f32_16x16x16f16 v[14:17], v[238:239], v[58:59], v[14:17]
	s_cbranch_vccnz .LBB9_78
; %bb.77:                               ;   in Loop: Header=BB9_64 Depth=2
	ds_read_b32 v55, v113 offset:11264
	v_add_u32_e32 v156, 0x2c00, v115
	s_waitcnt lgkmcnt(0)
	v_cvt_f32_f16_sdwa v239, v55 dst_sel:DWORD dst_unused:UNUSED_PAD src0_sel:WORD_1
	v_cvt_f32_f16_e32 v238, v55
	ds_read_b32 v55, v135 offset:11264
	v_pk_fma_f32 v[22:23], v[60:61], v[238:239], v[22:23]
	ds_read2_b32 v[238:239], v156 offset1:1
	s_waitcnt lgkmcnt(1)
	v_cvt_f32_f16_sdwa v241, v55 dst_sel:DWORD dst_unused:UNUSED_PAD src0_sel:WORD_1
	v_cvt_f32_f16_e32 v240, v55
	v_mov_b32_e32 v55, v54
	v_add_u32_e32 v156, 0x2c00, v131
	v_pk_fma_f32 v[24:25], v[54:55], v[240:241], v[24:25]
	s_waitcnt lgkmcnt(0)
	v_cvt_f32_f16_e32 v240, v238
	v_cvt_f32_f16_sdwa v241, v238 dst_sel:DWORD dst_unused:UNUSED_PAD src0_sel:WORD_1
	v_cvt_f32_f16_e32 v238, v239
	v_cvt_f32_f16_sdwa v239, v239 dst_sel:DWORD dst_unused:UNUSED_PAD src0_sel:WORD_1
	v_pk_fma_f32 v[18:19], v[60:61], v[240:241], v[18:19]
	v_pk_fma_f32 v[20:21], v[54:55], v[238:239], v[20:21]
	ds_read2_b32 v[238:239], v156 offset1:1
	v_add_u32_e32 v156, 0x2c00, v136
	s_waitcnt lgkmcnt(0)
	v_cvt_f32_f16_e32 v240, v238
	v_cvt_f32_f16_sdwa v241, v238 dst_sel:DWORD dst_unused:UNUSED_PAD src0_sel:WORD_1
	v_cvt_f32_f16_e32 v238, v239
	v_cvt_f32_f16_sdwa v239, v239 dst_sel:DWORD dst_unused:UNUSED_PAD src0_sel:WORD_1
	v_pk_fma_f32 v[10:11], v[60:61], v[240:241], v[10:11]
	v_pk_fma_f32 v[12:13], v[54:55], v[238:239], v[12:13]
	ds_read2_b32 v[238:239], v156 offset1:1
	s_waitcnt lgkmcnt(0)
	v_cvt_f32_f16_e32 v240, v238
	v_cvt_f32_f16_sdwa v241, v238 dst_sel:DWORD dst_unused:UNUSED_PAD src0_sel:WORD_1
	v_cvt_f32_f16_e32 v238, v239
	v_cvt_f32_f16_sdwa v239, v239 dst_sel:DWORD dst_unused:UNUSED_PAD src0_sel:WORD_1
	v_pk_fma_f32 v[14:15], v[60:61], v[240:241], v[14:15]
	v_pk_fma_f32 v[16:17], v[54:55], v[238:239], v[16:17]
.LBB9_78:                               ;   in Loop: Header=BB9_64 Depth=2
	v_add_f32_e32 v55, 0x40051340, v22
	v_max_f32_e32 v156, v236, v236
	v_max_f32_e32 v55, v156, v55
	v_cndmask_b32_e64 v55, v236, v55, s[12:13]
	v_add_f32_e32 v156, 0x40051340, v23
	v_max_f32_e32 v55, v55, v55
	v_max_f32_e32 v55, v55, v156
	v_cndmask_b32_e64 v55, v236, v55, s[12:13]
	;; [unrolled: 4-line block ×16, first 2 shown]
	ds_bpermute_b32 v156, v105, v55
	v_max_f32_e32 v55, v55, v55
	s_mul_hi_i32 s43, s66, s8
	s_mul_i32 s42, s66, s8
	s_lshl_b64 s[46:47], s[42:43], 2
	s_waitcnt lgkmcnt(0)
	v_max_f32_e32 v156, v156, v156
	v_max_f32_e32 v55, v55, v156
	ds_bpermute_b32 v237, v227, v55
	s_add_u32 s43, s57, s46
	s_addc_u32 s42, s44, s47
	buffer_store_dword v175, off, s[0:3], 0
	buffer_store_dword v175, off, s[0:3], 0 offset:4
	buffer_store_dword v175, off, s[0:3], 0 offset:8
	;; [unrolled: 1-line block ×3, first 2 shown]
	s_and_saveexec_b64 s[46:47], s[98:99]
	s_cbranch_execz .LBB9_80
; %bb.79:                               ;   in Loop: Header=BB9_64 Depth=2
	v_mov_b32_e32 v156, s42
	v_add_co_u32_e32 v159, vcc, s43, v38
	v_addc_co_u32_e32 v156, vcc, v156, v39, vcc
	v_lshlrev_b32_e32 v160, 2, v32
	v_add_co_u32_e32 v238, vcc, v159, v160
	v_addc_co_u32_e32 v239, vcc, 0, v156, vcc
	global_load_dwordx4 v[238:241], v[238:239], off offset:128
	s_waitcnt vmcnt(0)
	ds_write_b128 v110, v[238:241]
.LBB9_80:                               ;   in Loop: Header=BB9_64 Depth=2
	s_or_b64 exec, exec, s[46:47]
	s_waitcnt lgkmcnt(0)
	v_max_f32_e32 v156, v237, v237
	v_max_f32_e32 v55, v55, v55
	;; [unrolled: 1-line block ×3, first 2 shown]
	v_sub_f32_e32 v22, v22, v55
	v_mul_f32_e32 v156, 0x3fb8aa3b, v22
	v_fma_f32 v159, v22, s58, -v156
	v_rndne_f32_e32 v160, v156
	v_fmac_f32_e32 v159, 0x32a5705f, v22
	v_sub_f32_e32 v156, v156, v160
	v_add_f32_e32 v156, v156, v159
	v_exp_f32_e32 v156, v156
	v_cvt_i32_f32_e32 v159, v160
	v_sub_f32_e32 v23, v23, v55
	v_cmp_ngt_f32_e32 vcc, s59, v22
	v_cndmask_b32_e64 v24, v24, v24, s[12:13]
	v_ldexp_f32 v156, v156, v159
	v_mul_f32_e32 v159, 0x3fb8aa3b, v23
	v_fma_f32 v160, v23, s58, -v159
	v_rndne_f32_e32 v237, v159
	v_fmac_f32_e32 v160, 0x32a5705f, v23
	v_sub_f32_e32 v159, v159, v237
	v_add_f32_e32 v159, v159, v160
	v_exp_f32_e32 v159, v159
	v_cvt_i32_f32_e32 v160, v237
	v_cndmask_b32_e32 v156, 0, v156, vcc
	v_cmp_nlt_f32_e32 vcc, s49, v22
	v_cndmask_b32_e32 v156, v223, v156, vcc
	v_ldexp_f32 v159, v159, v160
	v_cmp_ngt_f32_e32 vcc, s59, v23
	v_cndmask_b32_e32 v159, 0, v159, vcc
	v_cmp_nlt_f32_e32 vcc, s49, v23
	v_cndmask_b32_e32 v159, v223, v159, vcc
	v_mov_b32_e32 v23, s53
	v_cndmask_b32_e64 v22, 0, v156, s[12:13]
	v_add_f32_e32 v156, v156, v159
	v_cndmask_b32_e64 v159, v23, v159, s[12:13]
	v_sub_f32_e32 v23, v24, v55
	v_mul_f32_e32 v24, 0x3fb8aa3b, v23
	v_fma_f32 v160, v23, s58, -v24
	v_rndne_f32_e32 v237, v24
	v_fmac_f32_e32 v160, 0x32a5705f, v23
	v_sub_f32_e32 v24, v24, v237
	v_add_f32_e32 v24, v24, v160
	v_exp_f32_e32 v24, v24
	v_cvt_i32_f32_e32 v160, v237
	v_cmp_ngt_f32_e32 vcc, s59, v23
	v_cndmask_b32_e64 v25, v25, v25, s[12:13]
	v_sub_f32_e32 v18, v18, v55
	v_ldexp_f32 v24, v24, v160
	v_cndmask_b32_e32 v24, 0, v24, vcc
	v_cmp_nlt_f32_e32 vcc, s49, v23
	v_cndmask_b32_e32 v23, v223, v24, vcc
	v_mov_b32_e32 v24, s53
	v_add_f32_e32 v156, v156, v23
	v_cndmask_b32_e64 v160, v24, v23, s[12:13]
	v_sub_f32_e32 v23, v25, v55
	v_mul_f32_e32 v24, 0x3fb8aa3b, v23
	v_fma_f32 v25, v23, s58, -v24
	v_rndne_f32_e32 v237, v24
	v_fmac_f32_e32 v25, 0x32a5705f, v23
	v_sub_f32_e32 v24, v24, v237
	v_add_f32_e32 v24, v24, v25
	v_exp_f32_e32 v24, v24
	v_cvt_i32_f32_e32 v25, v237
	v_cmp_ngt_f32_e32 vcc, s59, v23
	v_cndmask_b32_e64 v19, v19, v19, s[14:15]
	v_sub_f32_e32 v19, v19, v55
	v_ldexp_f32 v24, v24, v25
	v_cndmask_b32_e32 v24, 0, v24, vcc
	v_cmp_nlt_f32_e32 vcc, s49, v23
	v_cndmask_b32_e32 v237, v223, v24, vcc
	v_mul_f32_e32 v24, 0x3fb8aa3b, v18
	v_add_f32_e32 v23, v156, v237
	v_fma_f32 v25, v18, s58, -v24
	v_rndne_f32_e32 v156, v24
	v_fmac_f32_e32 v25, 0x32a5705f, v18
	v_sub_f32_e32 v24, v24, v156
	v_add_f32_e32 v24, v24, v25
	v_exp_f32_e32 v24, v24
	v_cvt_i32_f32_e32 v25, v156
	v_cmp_ngt_f32_e32 vcc, s59, v18
	v_cndmask_b32_e64 v23, 0, v23, s[12:13]
	v_cndmask_b32_e64 v20, v20, v20, s[14:15]
	v_ldexp_f32 v24, v24, v25
	v_cndmask_b32_e32 v24, 0, v24, vcc
	v_cmp_nlt_f32_e32 vcc, s49, v18
	v_cndmask_b32_e32 v24, v223, v24, vcc
	v_add_f32_e32 v25, v24, v23
	v_mov_b32_e32 v18, s53
	v_cndmask_b32_e64 v156, v18, v24, s[14:15]
	v_cndmask_b32_e64 v18, v23, v25, s[14:15]
	v_mul_f32_e32 v23, 0x3fb8aa3b, v19
	v_fma_f32 v24, v19, s58, -v23
	v_rndne_f32_e32 v25, v23
	v_fmac_f32_e32 v24, 0x32a5705f, v19
	v_sub_f32_e32 v23, v23, v25
	v_add_f32_e32 v23, v23, v24
	v_exp_f32_e32 v23, v23
	v_cvt_i32_f32_e32 v24, v25
	v_cmp_ngt_f32_e32 vcc, s59, v19
	v_cndmask_b32_e64 v21, v21, v21, s[14:15]
	v_sub_f32_e32 v10, v10, v55
	v_ldexp_f32 v23, v23, v24
	v_cndmask_b32_e32 v23, 0, v23, vcc
	v_cmp_nlt_f32_e32 vcc, s49, v19
	v_cndmask_b32_e32 v23, v223, v23, vcc
	v_add_f32_e32 v24, v23, v18
	v_mov_b32_e32 v19, s53
	v_cndmask_b32_e64 v238, v19, v23, s[18:19]
	v_cndmask_b32_e64 v19, v18, v24, s[18:19]
	v_sub_f32_e32 v18, v20, v55
	v_mul_f32_e32 v20, 0x3fb8aa3b, v18
	v_fma_f32 v23, v18, s58, -v20
	v_rndne_f32_e32 v24, v20
	v_fmac_f32_e32 v23, 0x32a5705f, v18
	v_sub_f32_e32 v20, v20, v24
	v_add_f32_e32 v20, v20, v23
	v_exp_f32_e32 v20, v20
	v_cvt_i32_f32_e32 v23, v24
	v_cmp_ngt_f32_e32 vcc, s59, v18
	v_cndmask_b32_e64 v11, v11, v11, s[24:25]
	v_sub_f32_e32 v11, v11, v55
	v_ldexp_f32 v20, v20, v23
	v_cndmask_b32_e32 v20, 0, v20, vcc
	v_cmp_nlt_f32_e32 vcc, s49, v18
	v_cndmask_b32_e32 v20, v223, v20, vcc
	v_add_f32_e32 v23, v20, v19
	v_mov_b32_e32 v18, s53
	v_cndmask_b32_e64 v239, v18, v20, s[20:21]
	v_cndmask_b32_e64 v18, v19, v23, s[20:21]
	v_sub_f32_e32 v19, v21, v55
	v_mul_f32_e32 v20, 0x3fb8aa3b, v19
	v_fma_f32 v21, v19, s58, -v20
	v_rndne_f32_e32 v23, v20
	v_fmac_f32_e32 v21, 0x32a5705f, v19
	v_sub_f32_e32 v20, v20, v23
	v_add_f32_e32 v20, v20, v21
	v_exp_f32_e32 v20, v20
	v_cvt_i32_f32_e32 v21, v23
	v_cmp_ngt_f32_e32 vcc, s59, v19
	v_cndmask_b32_e64 v12, v12, v12, s[24:25]
	v_cndmask_b32_e64 v13, v13, v13, s[24:25]
	v_ldexp_f32 v20, v20, v21
	v_cndmask_b32_e32 v20, 0, v20, vcc
	v_cmp_nlt_f32_e32 vcc, s49, v19
	v_cndmask_b32_e32 v240, v223, v20, vcc
	v_add_f32_e32 v19, v240, v18
	v_cndmask_b32_e64 v18, v18, v19, s[22:23]
	v_mul_f32_e32 v19, 0x3fb8aa3b, v10
	v_fma_f32 v20, v10, s58, -v19
	v_rndne_f32_e32 v21, v19
	v_fmac_f32_e32 v20, 0x32a5705f, v10
	v_sub_f32_e32 v19, v19, v21
	v_add_f32_e32 v19, v19, v20
	v_exp_f32_e32 v19, v19
	v_cvt_i32_f32_e32 v20, v21
	v_cmp_ngt_f32_e32 vcc, s59, v10
	v_cndmask_b32_e64 v15, v15, v15, s[4:5]
	v_cndmask_b32_e64 v16, v16, v16, s[4:5]
	v_ldexp_f32 v19, v19, v20
	v_cndmask_b32_e32 v19, 0, v19, vcc
	v_cmp_nlt_f32_e32 vcc, s49, v10
	v_cndmask_b32_e32 v19, v223, v19, vcc
	v_add_f32_e32 v20, v19, v18
	v_mov_b32_e32 v10, s53
	v_cndmask_b32_e64 v241, v10, v19, s[24:25]
	v_cndmask_b32_e64 v10, v18, v20, s[24:25]
	v_mul_f32_e32 v18, 0x3fb8aa3b, v11
	v_fma_f32 v19, v11, s58, -v18
	v_rndne_f32_e32 v20, v18
	v_fmac_f32_e32 v19, 0x32a5705f, v11
	v_sub_f32_e32 v18, v18, v20
	v_add_f32_e32 v18, v18, v19
	v_exp_f32_e32 v18, v18
	v_cvt_i32_f32_e32 v19, v20
	v_cmp_ngt_f32_e32 vcc, s59, v11
	v_cndmask_b32_e64 v17, v17, v17, s[4:5]
	s_add_i32 s68, s68, 1
	v_ldexp_f32 v18, v18, v19
	v_cndmask_b32_e32 v18, 0, v18, vcc
	v_cmp_nlt_f32_e32 vcc, s49, v11
	v_cndmask_b32_e32 v18, v223, v18, vcc
	v_add_f32_e32 v19, v18, v10
	v_mov_b32_e32 v11, s53
	v_cndmask_b32_e64 v242, v11, v18, s[26:27]
	v_cndmask_b32_e64 v11, v10, v19, s[26:27]
	v_sub_f32_e32 v10, v12, v55
	v_mul_f32_e32 v12, 0x3fb8aa3b, v10
	v_fma_f32 v18, v10, s58, -v12
	v_rndne_f32_e32 v19, v12
	v_fmac_f32_e32 v18, 0x32a5705f, v10
	v_sub_f32_e32 v12, v12, v19
	v_add_f32_e32 v12, v12, v18
	v_exp_f32_e32 v12, v12
	v_cvt_i32_f32_e32 v18, v19
	v_cmp_ngt_f32_e32 vcc, s59, v10
	s_add_i32 s66, s66, 64
	s_cmp_lt_i32 s68, s70
	v_ldexp_f32 v12, v12, v18
	v_cndmask_b32_e32 v12, 0, v12, vcc
	v_cmp_nlt_f32_e32 vcc, s49, v10
	v_cndmask_b32_e32 v12, v223, v12, vcc
	v_add_f32_e32 v18, v12, v11
	v_mov_b32_e32 v10, s53
	v_cndmask_b32_e64 v243, v10, v12, s[28:29]
	v_cndmask_b32_e64 v10, v11, v18, s[28:29]
	v_sub_f32_e32 v11, v13, v55
	v_mul_f32_e32 v12, 0x3fb8aa3b, v11
	v_fma_f32 v13, v11, s58, -v12
	v_rndne_f32_e32 v18, v12
	v_fmac_f32_e32 v13, 0x32a5705f, v11
	v_sub_f32_e32 v12, v12, v18
	v_add_f32_e32 v12, v12, v13
	v_exp_f32_e32 v12, v12
	v_cvt_i32_f32_e32 v13, v18
	v_cmp_ngt_f32_e32 vcc, s59, v11
	v_ldexp_f32 v12, v12, v13
	v_cndmask_b32_e32 v12, 0, v12, vcc
	v_cmp_nlt_f32_e32 vcc, s49, v11
	v_cndmask_b32_e32 v12, v223, v12, vcc
	v_add_f32_e32 v11, v12, v10
	v_cndmask_b32_e64 v11, v10, v11, s[30:31]
	v_sub_f32_e32 v10, v14, v55
	v_mul_f32_e32 v13, 0x3fb8aa3b, v10
	v_fma_f32 v14, v10, s58, -v13
	v_rndne_f32_e32 v18, v13
	v_fmac_f32_e32 v14, 0x32a5705f, v10
	v_sub_f32_e32 v13, v13, v18
	v_add_f32_e32 v13, v13, v14
	v_exp_f32_e32 v13, v13
	v_cvt_i32_f32_e32 v14, v18
	v_cmp_ngt_f32_e32 vcc, s59, v10
	v_ldexp_f32 v13, v13, v14
	v_cndmask_b32_e32 v13, 0, v13, vcc
	v_cmp_nlt_f32_e32 vcc, s49, v10
	v_cndmask_b32_e32 v13, v223, v13, vcc
	v_add_f32_e32 v14, v13, v11
	v_mov_b32_e32 v10, s53
	v_cndmask_b32_e64 v13, v10, v13, s[4:5]
	v_cndmask_b32_e64 v10, v11, v14, s[4:5]
	v_sub_f32_e32 v11, v15, v55
	v_mul_f32_e32 v14, 0x3fb8aa3b, v11
	v_fma_f32 v15, v11, s58, -v14
	v_rndne_f32_e32 v18, v14
	v_fmac_f32_e32 v15, 0x32a5705f, v11
	v_sub_f32_e32 v14, v14, v18
	v_add_f32_e32 v14, v14, v15
	v_exp_f32_e32 v14, v14
	v_cvt_i32_f32_e32 v15, v18
	v_cmp_ngt_f32_e32 vcc, s59, v11
	v_ldexp_f32 v14, v14, v15
	v_cndmask_b32_e32 v14, 0, v14, vcc
	v_cmp_nlt_f32_e32 vcc, s49, v11
	v_cndmask_b32_e32 v14, v223, v14, vcc
	v_add_f32_e32 v15, v14, v10
	v_mov_b32_e32 v11, s53
	v_cndmask_b32_e64 v14, v11, v14, s[34:35]
	;; [unrolled: 18-line block ×3, first 2 shown]
	v_cndmask_b32_e64 v10, v11, v16, s[36:37]
	v_sub_f32_e32 v11, v17, v55
	v_mul_f32_e32 v16, 0x3fb8aa3b, v11
	v_fma_f32 v17, v11, s58, -v16
	v_rndne_f32_e32 v18, v16
	v_fmac_f32_e32 v17, 0x32a5705f, v11
	v_sub_f32_e32 v16, v16, v18
	v_add_f32_e32 v16, v16, v17
	v_exp_f32_e32 v16, v16
	v_cvt_i32_f32_e32 v17, v18
	v_cmp_ngt_f32_e32 vcc, s59, v11
	v_ldexp_f32 v16, v16, v17
	v_cndmask_b32_e32 v16, 0, v16, vcc
	v_cmp_nlt_f32_e32 vcc, s49, v11
	v_cndmask_b32_e32 v16, v223, v16, vcc
	v_add_f32_e32 v11, v16, v10
	v_cndmask_b32_e64 v19, v10, v11, s[38:39]
	v_sub_f32_e32 v10, v236, v55
	v_mul_f32_e32 v11, 0x3fb8aa3b, v10
	v_fma_f32 v17, v10, s58, -v11
	v_rndne_f32_e32 v18, v11
	v_fmac_f32_e32 v17, 0x32a5705f, v10
	v_sub_f32_e32 v11, v11, v18
	v_add_f32_e32 v11, v11, v17
	v_exp_f32_e32 v11, v11
	v_cvt_i32_f32_e32 v17, v18
	v_cmp_ngt_f32_e32 vcc, s59, v10
	v_ldexp_f32 v11, v11, v17
	v_cndmask_b32_e32 v11, 0, v11, vcc
	v_cmp_nlt_f32_e32 vcc, s49, v10
	v_cndmask_b32_e32 v11, v223, v11, vcc
	v_cmp_le_f32_e32 vcc, s88, v10
	v_cndmask_b32_e32 v10, 0, v11, vcc
	v_fmac_f32_e32 v19, v235, v10
	v_cvt_f16_f32_e32 v10, v10
	v_mov_b32_e32 v11, s53
	v_cndmask_b32_e64 v16, v11, v16, s[38:39]
	v_cndmask_b32_e64 v17, v11, v12, s[30:31]
	v_pk_mul_f16 v100, v10, v100 op_sel_hi:[0,1]
	v_pk_mul_f16 v99, v10, v99 op_sel_hi:[0,1]
	;; [unrolled: 1-line block ×10, first 2 shown]
	v_cndmask_b32_e64 v104, v11, v240, s[22:23]
	v_cndmask_b32_e64 v228, v11, v237, s[12:13]
	v_cvt_f16_f32_e32 v10, v13
	v_cvt_f16_f32_e32 v11, v14
	v_cvt_f16_f32_e32 v12, v16
	v_cvt_f16_f32_e32 v13, v242
	v_cvt_f16_f32_e32 v14, v17
	v_pack_b32_f16 v10, v10, v11
	v_cvt_f16_f32_e32 v11, v15
	v_cvt_f16_f32_e32 v15, v238
	;; [unrolled: 1-line block ×4, first 2 shown]
	v_pack_b32_f16 v11, v11, v12
	v_cvt_f16_f32_e32 v12, v241
	v_mov_b32_e32 v104, s42
	v_mov_b32_e32 v159, s42
	v_pack_b32_f16 v12, v12, v13
	v_cvt_f16_f32_e32 v13, v243
	v_pack_b32_f16 v13, v13, v14
	v_cvt_f16_f32_e32 v14, v156
	v_mov_b32_e32 v156, s55
	v_pack_b32_f16 v14, v14, v15
	v_cvt_f16_f32_e32 v15, v239
	v_pack_b32_f16 v15, v15, v16
	v_cvt_f16_f32_e32 v16, v22
	v_cvt_f16_f32_e32 v22, v228
	v_pack_b32_f16 v16, v16, v17
	v_cvt_f16_f32_e32 v17, v160
	v_pack_b32_f16 v17, v17, v22
	v_add_co_u32_e32 v22, vcc, s43, v44
	v_addc_co_u32_e32 v104, vcc, v104, v45, vcc
	v_add_co_u32_e32 v22, vcc, v22, v234
	v_addc_co_u32_e32 v104, vcc, 0, v104, vcc
	v_cndmask_b32_e64 v229, v156, v104, s[10:11]
	v_mov_b32_e32 v104, s54
	v_cndmask_b32_e64 v228, v104, v22, s[10:11]
	flat_load_dwordx4 v[228:231], v[228:229]
	v_add_co_u32_e32 v22, vcc, s43, v46
	v_addc_co_u32_e32 v159, vcc, v159, v47, vcc
	v_add_co_u32_e32 v22, vcc, v22, v234
	v_addc_co_u32_e32 v159, vcc, 0, v159, vcc
	s_waitcnt vmcnt(0) lgkmcnt(0)
	ds_write_b128 v126, v[228:231]
	v_cndmask_b32_e64 v229, v156, v159, s[16:17]
	v_cndmask_b32_e64 v228, v104, v22, s[16:17]
	flat_load_dwordx4 v[228:231], v[228:229]
	s_waitcnt vmcnt(0) lgkmcnt(0)
	ds_write_b128 v127, v[228:231]
	s_waitcnt lgkmcnt(0)
	s_barrier
	ds_read_u16 v22, v118 offset:352
	v_cvt_f32_f16_e32 v230, v99
	v_cvt_f32_f16_sdwa v231, v99 dst_sel:DWORD dst_unused:UNUSED_PAD src0_sel:WORD_1
	ds_read_u16 v99, v119
	ds_read_u16 v104, v119 offset:32
	v_cvt_f32_f16_e32 v228, v100
	v_cvt_f32_f16_sdwa v229, v100 dst_sel:DWORD dst_unused:UNUSED_PAD src0_sel:WORD_1
	s_waitcnt lgkmcnt(1)
	v_perm_b32 v233, v99, v22, s56
	ds_read_u16 v22, v138
	ds_read_u16 v156, v138 offset:32
	ds_read_u16 v99, v118 offset:176
	;; [unrolled: 1-line block ×3, first 2 shown]
	s_waitcnt lgkmcnt(1)
	v_perm_b32 v232, v99, v22, s56
	s_nop 1
	v_mfma_f32_16x16x16f16 v[228:231], v[232:233], v[16:17], v[228:231]
	ds_read_u16 v232, v138 offset:2816
	ds_read_u16 v234, v118 offset:2992
	ds_read_u16 v233, v120 offset:352
	ds_read_u16 v236, v119 offset:2816
	s_waitcnt lgkmcnt(2)
	v_perm_b32 v232, v234, v232, s56
	s_waitcnt lgkmcnt(0)
	v_perm_b32 v233, v236, v233, s56
	s_nop 2
	v_cvt_f16_f32_e32 v22, v228
	v_cvt_f16_f32_e32 v99, v229
	v_cvt_f16_f32_e32 v100, v230
	v_cvt_f16_f32_e32 v160, v231
	v_cvt_f32_f16_e32 v228, v22
	v_cvt_f32_f16_e32 v229, v99
	v_cvt_f32_f16_e32 v230, v100
	v_cvt_f32_f16_e32 v231, v160
	s_nop 1
	v_mfma_f32_16x16x16f16 v[228:231], v[232:233], v[14:15], v[228:231]
	ds_read_u16 v232, v138 offset:5632
	ds_read_u16 v234, v118 offset:5808
	ds_read_u16 v233, v121 offset:352
	ds_read_u16 v236, v119 offset:5632
	s_waitcnt lgkmcnt(2)
	v_perm_b32 v232, v234, v232, s56
	s_waitcnt lgkmcnt(0)
	v_perm_b32 v233, v236, v233, s56
	s_nop 2
	v_cvt_f16_f32_e32 v22, v228
	v_cvt_f16_f32_e32 v99, v229
	v_cvt_f16_f32_e32 v100, v230
	v_cvt_f16_f32_e32 v160, v231
	v_cvt_f32_f16_e32 v228, v22
	v_cvt_f32_f16_e32 v229, v99
	v_cvt_f32_f16_e32 v230, v100
	v_cvt_f32_f16_e32 v231, v160
	;; [unrolled: 19-line block ×3, first 2 shown]
	s_nop 1
	v_mfma_f32_16x16x16f16 v[228:231], v[232:233], v[10:11], v[228:231]
	v_perm_b32 v232, v159, v156, s56
	s_nop 7
	s_nop 1
	v_cvt_f16_f32_e32 v22, v228
	v_cvt_f16_f32_e32 v99, v229
	;; [unrolled: 1-line block ×4, first 2 shown]
	v_cvt_f32_f16_sdwa v229, v235 dst_sel:DWORD dst_unused:UNUSED_PAD src0_sel:WORD_1
	v_pack_b32_f16 v100, v22, v99
	ds_read_u16 v22, v139 offset:352
	v_pack_b32_f16 v99, v160, v228
	v_cvt_f32_f16_e32 v228, v235
	v_cvt_f32_f16_e32 v230, v101
	v_cvt_f32_f16_sdwa v231, v101 dst_sel:DWORD dst_unused:UNUSED_PAD src0_sel:WORD_1
	s_waitcnt lgkmcnt(0)
	v_perm_b32 v233, v104, v22, s56
	s_nop 1
	v_mfma_f32_16x16x16f16 v[228:231], v[232:233], v[16:17], v[228:231]
	ds_read_u16 v159, v138 offset:2848
	ds_read_u16 v160, v118 offset:3024
	ds_read_u16 v232, v123 offset:352
	ds_read_u16 v233, v119 offset:2848
	s_waitcnt lgkmcnt(0)
	v_perm_b32 v233, v233, v232, s56
	v_perm_b32 v232, v160, v159, s56
	s_nop 3
	v_cvt_f16_f32_e32 v22, v228
	v_cvt_f16_f32_e32 v101, v229
	v_cvt_f16_f32_e32 v104, v230
	v_cvt_f16_f32_e32 v156, v231
	v_cvt_f32_f16_e32 v228, v22
	v_cvt_f32_f16_e32 v229, v101
	v_cvt_f32_f16_e32 v230, v104
	v_cvt_f32_f16_e32 v231, v156
	s_nop 1
	v_mfma_f32_16x16x16f16 v[228:231], v[232:233], v[14:15], v[228:231]
	ds_read_u16 v159, v138 offset:5664
	ds_read_u16 v160, v118 offset:5840
	ds_read_u16 v232, v124 offset:352
	ds_read_u16 v233, v119 offset:5664
	s_waitcnt lgkmcnt(0)
	v_perm_b32 v233, v233, v232, s56
	v_perm_b32 v232, v160, v159, s56
	s_nop 3
	v_cvt_f16_f32_e32 v22, v228
	v_cvt_f16_f32_e32 v101, v229
	v_cvt_f16_f32_e32 v104, v230
	v_cvt_f16_f32_e32 v156, v231
	v_cvt_f32_f16_e32 v228, v22
	v_cvt_f32_f16_e32 v229, v101
	v_cvt_f32_f16_e32 v230, v104
	v_cvt_f32_f16_e32 v231, v156
	;; [unrolled: 18-line block ×3, first 2 shown]
	s_nop 1
	v_mfma_f32_16x16x16f16 v[228:231], v[232:233], v[10:11], v[228:231]
	s_nop 7
	s_nop 2
	v_cvt_f16_f32_e32 v22, v228
	v_cvt_f16_f32_e32 v101, v229
	;; [unrolled: 1-line block ×4, first 2 shown]
	v_cvt_f32_f16_e32 v228, v25
	v_pack_b32_f16 v101, v22, v101
	v_cvt_f32_f16_sdwa v229, v25 dst_sel:DWORD dst_unused:UNUSED_PAD src0_sel:WORD_1
	v_pack_b32_f16 v104, v104, v156
	ds_read_u16 v22, v138 offset:64
	ds_read_u16 v156, v118 offset:240
	;; [unrolled: 1-line block ×4, first 2 shown]
	v_cvt_f32_f16_e32 v230, v24
	v_cvt_f32_f16_sdwa v231, v24 dst_sel:DWORD dst_unused:UNUSED_PAD src0_sel:WORD_1
	s_waitcnt lgkmcnt(2)
	v_perm_b32 v24, v156, v22, s56
	s_waitcnt lgkmcnt(0)
	v_perm_b32 v25, v160, v159, s56
	ds_read_u16 v159, v138 offset:2880
	ds_read_u16 v160, v118 offset:3056
	ds_read_u16 v232, v130 offset:352
	ds_read_u16 v233, v119 offset:2880
	v_mfma_f32_16x16x16f16 v[228:231], v[24:25], v[16:17], v[228:231]
	s_nop 7
	s_nop 2
	v_cvt_f16_f32_e32 v24, v229
	v_cvt_f16_f32_e32 v25, v230
	v_cvt_f16_f32_e32 v22, v228
	v_cvt_f16_f32_e32 v156, v231
	v_cvt_f32_f16_e32 v229, v24
	v_cvt_f32_f16_e32 v230, v25
	s_waitcnt lgkmcnt(0)
	v_perm_b32 v25, v233, v232, s56
	v_perm_b32 v24, v160, v159, s56
	v_cvt_f32_f16_e32 v228, v22
	v_cvt_f32_f16_e32 v231, v156
	ds_read_u16 v159, v138 offset:5696
	ds_read_u16 v160, v118 offset:5872
	ds_read_u16 v232, v134 offset:352
	ds_read_u16 v233, v119 offset:5696
	v_mfma_f32_16x16x16f16 v[228:231], v[24:25], v[14:15], v[228:231]
	s_nop 7
	s_nop 2
	v_cvt_f16_f32_e32 v24, v229
	v_cvt_f16_f32_e32 v25, v230
	v_cvt_f16_f32_e32 v22, v228
	v_cvt_f16_f32_e32 v156, v231
	v_cvt_f32_f16_e32 v229, v24
	v_cvt_f32_f16_e32 v230, v25
	s_waitcnt lgkmcnt(0)
	v_perm_b32 v25, v233, v232, s56
	v_perm_b32 v24, v160, v159, s56
	v_cvt_f32_f16_e32 v228, v22
	v_cvt_f32_f16_e32 v231, v156
	;; [unrolled: 18-line block ×3, first 2 shown]
	s_nop 1
	v_mfma_f32_16x16x16f16 v[228:231], v[24:25], v[10:11], v[228:231]
	s_nop 7
	s_nop 2
	v_cvt_f16_f32_e32 v25, v230
	v_cvt_f16_f32_e32 v156, v231
	;; [unrolled: 1-line block ×4, first 2 shown]
	v_pack_b32_f16 v228, v25, v156
	ds_read_u16 v156, v138 offset:96
	ds_read_u16 v159, v118 offset:272
	;; [unrolled: 1-line block ×4, first 2 shown]
	v_pack_b32_f16 v229, v22, v24
	v_cvt_f32_f16_e32 v22, v23
	v_cvt_f32_f16_sdwa v23, v23 dst_sel:DWORD dst_unused:UNUSED_PAD src0_sel:WORD_1
	v_cvt_f32_f16_e32 v24, v21
	s_waitcnt lgkmcnt(0)
	v_perm_b32 v231, v230, v160, s56
	v_perm_b32 v230, v159, v156, s56
	v_cvt_f32_f16_sdwa v25, v21 dst_sel:DWORD dst_unused:UNUSED_PAD src0_sel:WORD_1
	s_nop 1
	v_mfma_f32_16x16x16f16 v[22:25], v[230:231], v[16:17], v[22:25]
	ds_read_u16 v156, v138 offset:2912
	ds_read_u16 v159, v118 offset:3088
	ds_read_u16 v160, v143 offset:352
	ds_read_u16 v230, v119 offset:2912
	s_waitcnt lgkmcnt(0)
	v_perm_b32 v231, v230, v160, s56
	v_perm_b32 v230, v159, v156, s56
	s_nop 3
	v_cvt_f16_f32_e32 v21, v22
	v_cvt_f16_f32_e32 v23, v23
	v_cvt_f16_f32_e32 v24, v24
	v_cvt_f16_f32_e32 v25, v25
	v_cvt_f32_f16_e32 v22, v21
	v_cvt_f32_f16_e32 v23, v23
	v_cvt_f32_f16_e32 v24, v24
	v_cvt_f32_f16_e32 v25, v25
	s_nop 1
	v_mfma_f32_16x16x16f16 v[22:25], v[230:231], v[14:15], v[22:25]
	ds_read_u16 v156, v138 offset:5728
	ds_read_u16 v159, v118 offset:5904
	ds_read_u16 v160, v144 offset:352
	ds_read_u16 v230, v119 offset:5728
	s_waitcnt lgkmcnt(0)
	v_perm_b32 v231, v230, v160, s56
	v_perm_b32 v230, v159, v156, s56
	s_nop 3
	v_cvt_f16_f32_e32 v21, v22
	v_cvt_f16_f32_e32 v23, v23
	v_cvt_f16_f32_e32 v24, v24
	v_cvt_f16_f32_e32 v25, v25
	v_cvt_f32_f16_e32 v22, v21
	v_cvt_f32_f16_e32 v23, v23
	v_cvt_f32_f16_e32 v24, v24
	v_cvt_f32_f16_e32 v25, v25
	;; [unrolled: 18-line block ×3, first 2 shown]
	s_nop 1
	v_mfma_f32_16x16x16f16 v[22:25], v[230:231], v[10:11], v[22:25]
	s_nop 7
	s_nop 2
	v_cvt_f16_f32_e32 v21, v22
	v_cvt_f16_f32_e32 v22, v23
	;; [unrolled: 1-line block ×4, first 2 shown]
	v_cvt_f32_f16_sdwa v25, v18 dst_sel:DWORD dst_unused:UNUSED_PAD src0_sel:WORD_1
	v_pack_b32_f16 v231, v21, v22
	ds_read_u16 v156, v138 offset:128
	ds_read_u16 v159, v118 offset:304
	;; [unrolled: 1-line block ×4, first 2 shown]
	v_pack_b32_f16 v230, v23, v24
	v_cvt_f32_f16_e32 v22, v20
	v_cvt_f32_f16_sdwa v23, v20 dst_sel:DWORD dst_unused:UNUSED_PAD src0_sel:WORD_1
	s_waitcnt lgkmcnt(2)
	v_perm_b32 v20, v159, v156, s56
	s_waitcnt lgkmcnt(0)
	v_perm_b32 v21, v160, v21, s56
	v_cvt_f32_f16_e32 v24, v18
	s_nop 1
	v_mfma_f32_16x16x16f16 v[20:23], v[20:21], v[16:17], v[22:25]
	s_nop 6
	ds_read_u16 v24, v138 offset:2944
	ds_read_u16 v25, v118 offset:3120
	ds_read_u16 v156, v147 offset:352
	ds_read_u16 v159, v119 offset:2944
	v_cvt_f16_f32_e32 v16, v20
	v_cvt_f16_f32_e32 v17, v21
	;; [unrolled: 1-line block ×4, first 2 shown]
	v_cvt_f32_f16_e32 v20, v16
	v_cvt_f32_f16_e32 v21, v17
	s_waitcnt lgkmcnt(0)
	v_perm_b32 v17, v159, v156, s56
	v_perm_b32 v16, v25, v24, s56
	v_cvt_f32_f16_e32 v22, v18
	v_cvt_f32_f16_e32 v23, v23
	s_nop 1
	v_mfma_f32_16x16x16f16 v[14:17], v[16:17], v[14:15], v[20:23]
	ds_read_u16 v18, v138 offset:5760
	s_nop 5
	ds_read_u16 v20, v118 offset:5936
	ds_read_u16 v21, v148 offset:352
	;; [unrolled: 1-line block ×3, first 2 shown]
	s_waitcnt lgkmcnt(2)
	v_perm_b32 v20, v20, v18, s56
	s_waitcnt lgkmcnt(0)
	v_perm_b32 v21, v22, v21, s56
	v_cvt_f16_f32_e32 v14, v14
	v_cvt_f16_f32_e32 v15, v15
	;; [unrolled: 1-line block ×4, first 2 shown]
	v_cvt_f32_f16_e32 v14, v14
	v_cvt_f32_f16_e32 v15, v15
	;; [unrolled: 1-line block ×4, first 2 shown]
	s_nop 1
	v_mfma_f32_16x16x16f16 v[14:17], v[20:21], v[12:13], v[14:17]
	s_nop 7
	s_nop 2
	v_cvt_f16_f32_e32 v13, v14
	v_cvt_f16_f32_e32 v14, v15
	;; [unrolled: 1-line block ×4, first 2 shown]
	ds_read_u16 v12, v138 offset:8576
	ds_read_u16 v17, v118 offset:8752
	;; [unrolled: 1-line block ×4, first 2 shown]
	v_cvt_f32_f16_e32 v22, v13
	v_cvt_f32_f16_e32 v23, v14
	s_waitcnt lgkmcnt(2)
	v_perm_b32 v12, v17, v12, s56
	v_cvt_f32_f16_e32 v24, v15
	s_waitcnt lgkmcnt(0)
	v_perm_b32 v13, v20, v18, s56
	v_cvt_f32_f16_e32 v25, v16
	s_barrier
	s_nop 0
	v_mfma_f32_16x16x16f16 v[10:13], v[12:13], v[10:11], v[22:25]
	s_nop 7
	s_nop 2
	v_cvt_f16_f32_e32 v10, v10
	v_cvt_f16_f32_e32 v11, v11
	;; [unrolled: 1-line block ×4, first 2 shown]
	v_pack_b32_f16 v233, v10, v11
	v_pack_b32_f16 v232, v12, v13
	s_cbranch_scc0 .LBB9_85
; %bb.81:                               ;   in Loop: Header=BB9_64 Depth=2
	v_mov_b32_e32 v235, v19
	v_mov_b32_e32 v236, v55
	s_branch .LBB9_64
.LBB9_82:                               ;   in Loop: Header=BB9_13 Depth=1
	s_mov_b64 s[46:47], 0
	v_writelane_b32 v254, s46, 39
	v_writelane_b32 v254, s47, 40
                                        ; implicit-def: $vgpr2_vgpr3
                                        ; implicit-def: $vgpr226
	s_cbranch_execnz .LBB9_162
.LBB9_83:                               ;   in Loop: Header=BB9_13 Depth=1
	v_readlane_b32 s64, v254, 39
	v_readlane_b32 s65, v254, 40
	s_and_saveexec_b64 s[42:43], s[64:65]
	s_cbranch_execz .LBB9_12
	s_branch .LBB9_297
.LBB9_84:                               ;   in Loop: Header=BB9_13 Depth=1
	v_mov_b32_e32 v19, 0
	v_mov_b32_e32 v55, 0xfeffffff
	;; [unrolled: 1-line block ×11, first 2 shown]
.LBB9_85:                               ;   in Loop: Header=BB9_13 Depth=1
	s_lshl_b32 s46, s68, 6
	v_readlane_b32 s42, v253, 4
	v_cmp_eq_u64_e32 vcc, 0, v[56:57]
	s_sub_i32 s52, s42, s46
	v_cmp_ne_u64_e64 s[66:67], 0, v[56:57]
	s_ashr_i32 s47, s46, 31
	v_readlane_b32 s43, v253, 5
	s_cbranch_vccnz .LBB9_103
; %bb.86:                               ;   in Loop: Header=BB9_13 Depth=1
	v_cmp_le_i32_e32 vcc, s52, v26
                                        ; implicit-def: $sgpr42
	s_and_saveexec_b64 s[62:63], vcc
	s_xor_b64 s[62:63], exec, s[62:63]
	s_cbranch_execz .LBB9_88
; %bb.87:                               ;   in Loop: Header=BB9_13 Depth=1
	ds_write_b16 v108, v175 offset:11264
	ds_write_b16 v177, v175 offset:11264
	s_mov_b32 s42, 0
.LBB9_88:                               ;   in Loop: Header=BB9_13 Depth=1
	s_or_saveexec_b64 s[64:65], s[62:63]
	s_lshl_b64 s[62:63], s[46:47], 1
	v_mov_b32_e32 v10, s63
	v_add_co_u32_e64 v11, s[62:63], s62, v56
	v_addc_co_u32_e64 v12, s[62:63], v57, v10, s[62:63]
	v_lshlrev_b32_e32 v10, 1, v26
	v_add_co_u32_e64 v10, s[62:63], v11, v10
	v_addc_co_u32_e64 v11, s[62:63], 0, v12, s[62:63]
	v_mov_b32_e32 v12, s42
	v_mov_b32_e32 v13, s42
	s_xor_b64 exec, exec, s[64:65]
	s_cbranch_execz .LBB9_90
; %bb.89:                               ;   in Loop: Header=BB9_13 Depth=1
	v_add_u32_e32 v12, s69, v35
	v_readlane_b32 s70, v253, 15
	v_mul_hi_u32 v13, s70, v12
	v_readlane_b32 s71, v253, 16
	v_add_u32_e32 v13, v12, v13
	v_readlane_b32 s72, v253, 51
	v_lshrrev_b32_e32 v13, s71, v13
	s_mov_b32 s68, s72
	v_readlane_b32 s73, v253, 52
	v_mul_lo_u32 v13, v13, s68
	v_sub_u32_e32 v12, v12, v13
	v_readlane_b32 s72, v253, 61
	v_mad_i64_i32 v[12:13], s[42:43], v12, s72, 0
	v_lshlrev_b64 v[12:13], 1, v[12:13]
	v_add_co_u32_e64 v12, s[62:63], v10, v12
	v_addc_co_u32_e64 v13, s[62:63], v11, v13, s[62:63]
	flat_load_ushort v14, v[12:13]
	v_add_u32_e32 v12, s69, v176
	v_mul_hi_u32 v13, s70, v12
	v_add_u32_e32 v13, v12, v13
	v_lshrrev_b32_e32 v13, s71, v13
	v_mul_lo_u32 v13, v13, s68
	v_sub_u32_e32 v12, v12, v13
	v_mad_i64_i32 v[12:13], s[42:43], v12, s72, 0
	v_lshlrev_b64 v[12:13], 1, v[12:13]
	v_add_co_u32_e64 v12, s[62:63], v10, v12
	v_addc_co_u32_e64 v13, s[62:63], v11, v13, s[62:63]
	flat_load_ushort v12, v[12:13]
	v_readlane_b32 s74, v253, 53
	v_readlane_b32 s75, v253, 54
	v_readlane_b32 s73, v253, 62
	s_waitcnt vmcnt(0) lgkmcnt(0)
	ds_write_b16 v108, v14 offset:11264
	ds_write_b16 v177, v12 offset:11264
	v_add_u32_e32 v12, s69, v178
	v_mul_hi_u32 v13, s70, v12
	v_add_u32_e32 v13, v12, v13
	v_lshrrev_b32_e32 v13, s71, v13
	v_mul_lo_u32 v13, v13, s68
	v_sub_u32_e32 v12, v12, v13
	v_mad_i64_i32 v[12:13], s[42:43], v12, s72, 0
	v_lshlrev_b64 v[12:13], 1, v[12:13]
	v_add_co_u32_e64 v12, s[62:63], v10, v12
	v_addc_co_u32_e64 v13, s[62:63], v11, v13, s[62:63]
	flat_load_ushort v12, v[12:13]
	v_add_u32_e32 v13, s69, v180
	v_mul_hi_u32 v14, s70, v13
	v_add_u32_e32 v14, v13, v14
	v_lshrrev_b32_e32 v14, s71, v14
	v_mul_lo_u32 v14, v14, s68
	v_sub_u32_e32 v13, v13, v14
	v_mad_i64_i32 v[14:15], s[42:43], v13, s72, 0
	v_lshlrev_b64 v[14:15], 1, v[14:15]
	v_add_co_u32_e64 v14, s[62:63], v10, v14
	v_addc_co_u32_e64 v15, s[62:63], v11, v15, s[62:63]
	flat_load_ushort v13, v[14:15]
.LBB9_90:                               ;   in Loop: Header=BB9_13 Depth=1
	s_or_b64 exec, exec, s[64:65]
	s_waitcnt vmcnt(0) lgkmcnt(0)
	ds_write_b16 v179, v12 offset:11264
	ds_write_b16 v181, v13 offset:11264
                                        ; implicit-def: $sgpr42
	s_and_saveexec_b64 s[62:63], vcc
	s_xor_b64 s[62:63], exec, s[62:63]
	s_cbranch_execz .LBB9_92
; %bb.91:                               ;   in Loop: Header=BB9_13 Depth=1
	ds_write_b16 v183, v175 offset:11264
	ds_write_b16 v185, v175 offset:11264
	s_mov_b32 s42, 0
.LBB9_92:                               ;   in Loop: Header=BB9_13 Depth=1
	s_or_saveexec_b64 s[64:65], s[62:63]
	v_mov_b32_e32 v12, s42
	v_mov_b32_e32 v13, s42
	s_xor_b64 exec, exec, s[64:65]
	s_cbranch_execz .LBB9_94
; %bb.93:                               ;   in Loop: Header=BB9_13 Depth=1
	v_add_u32_e32 v12, s69, v182
	v_readlane_b32 s70, v253, 15
	v_mul_hi_u32 v13, s70, v12
	v_readlane_b32 s71, v253, 16
	v_add_u32_e32 v13, v12, v13
	v_readlane_b32 s72, v253, 51
	v_lshrrev_b32_e32 v13, s71, v13
	s_mov_b32 s68, s72
	v_mul_lo_u32 v13, v13, s68
	v_readlane_b32 s42, v253, 61
	v_sub_u32_e32 v12, v12, v13
	v_readlane_b32 s43, v253, 62
	s_mov_b32 s72, s42
	v_mad_i64_i32 v[12:13], s[42:43], v12, s72, 0
	v_lshlrev_b64 v[12:13], 1, v[12:13]
	v_add_co_u32_e64 v12, s[62:63], v10, v12
	v_addc_co_u32_e64 v13, s[62:63], v11, v13, s[62:63]
	flat_load_ushort v14, v[12:13]
	v_add_u32_e32 v12, s69, v184
	v_mul_hi_u32 v13, s70, v12
	v_add_u32_e32 v13, v12, v13
	v_lshrrev_b32_e32 v13, s71, v13
	v_mul_lo_u32 v13, v13, s68
	v_sub_u32_e32 v12, v12, v13
	v_mad_i64_i32 v[12:13], s[42:43], v12, s72, 0
	v_lshlrev_b64 v[12:13], 1, v[12:13]
	v_add_co_u32_e64 v12, s[62:63], v10, v12
	v_addc_co_u32_e64 v13, s[62:63], v11, v13, s[62:63]
	flat_load_ushort v12, v[12:13]
	v_readlane_b32 s73, v253, 52
	v_readlane_b32 s74, v253, 53
	;; [unrolled: 1-line block ×3, first 2 shown]
	s_waitcnt vmcnt(0) lgkmcnt(0)
	ds_write_b16 v183, v14 offset:11264
	ds_write_b16 v185, v12 offset:11264
	v_add_u32_e32 v12, s69, v186
	v_mul_hi_u32 v13, s70, v12
	v_add_u32_e32 v13, v12, v13
	v_lshrrev_b32_e32 v13, s71, v13
	v_mul_lo_u32 v13, v13, s68
	v_sub_u32_e32 v12, v12, v13
	v_mad_i64_i32 v[12:13], s[42:43], v12, s72, 0
	v_lshlrev_b64 v[12:13], 1, v[12:13]
	v_add_co_u32_e64 v12, s[62:63], v10, v12
	v_addc_co_u32_e64 v13, s[62:63], v11, v13, s[62:63]
	flat_load_ushort v12, v[12:13]
	v_add_u32_e32 v13, s69, v188
	v_mul_hi_u32 v14, s70, v13
	v_add_u32_e32 v14, v13, v14
	v_lshrrev_b32_e32 v14, s71, v14
	v_mul_lo_u32 v14, v14, s68
	v_sub_u32_e32 v13, v13, v14
	v_mad_i64_i32 v[14:15], s[42:43], v13, s72, 0
	v_lshlrev_b64 v[14:15], 1, v[14:15]
	v_add_co_u32_e64 v14, s[62:63], v10, v14
	v_addc_co_u32_e64 v15, s[62:63], v11, v15, s[62:63]
	flat_load_ushort v13, v[14:15]
.LBB9_94:                               ;   in Loop: Header=BB9_13 Depth=1
	s_or_b64 exec, exec, s[64:65]
	s_waitcnt vmcnt(0) lgkmcnt(0)
	ds_write_b16 v187, v12 offset:11264
	ds_write_b16 v189, v13 offset:11264
                                        ; implicit-def: $sgpr42
	s_and_saveexec_b64 s[62:63], vcc
	s_xor_b64 s[62:63], exec, s[62:63]
	s_cbranch_execz .LBB9_96
; %bb.95:                               ;   in Loop: Header=BB9_13 Depth=1
	ds_write_b16 v191, v175 offset:11264
	ds_write_b16 v193, v175 offset:11264
	s_mov_b32 s42, 0
.LBB9_96:                               ;   in Loop: Header=BB9_13 Depth=1
	s_or_saveexec_b64 s[64:65], s[62:63]
	v_mov_b32_e32 v12, s42
	v_mov_b32_e32 v13, s42
	s_xor_b64 exec, exec, s[64:65]
	s_cbranch_execz .LBB9_98
; %bb.97:                               ;   in Loop: Header=BB9_13 Depth=1
	v_add_u32_e32 v12, s69, v190
	v_readlane_b32 s70, v253, 15
	v_mul_hi_u32 v13, s70, v12
	v_readlane_b32 s71, v253, 16
	v_add_u32_e32 v13, v12, v13
	v_readlane_b32 s72, v253, 51
	v_lshrrev_b32_e32 v13, s71, v13
	s_mov_b32 s68, s72
	v_mul_lo_u32 v13, v13, s68
	v_readlane_b32 s42, v253, 61
	v_sub_u32_e32 v12, v12, v13
	v_readlane_b32 s43, v253, 62
	s_mov_b32 s72, s42
	v_mad_i64_i32 v[12:13], s[42:43], v12, s72, 0
	v_lshlrev_b64 v[12:13], 1, v[12:13]
	v_add_co_u32_e64 v12, s[62:63], v10, v12
	v_addc_co_u32_e64 v13, s[62:63], v11, v13, s[62:63]
	flat_load_ushort v14, v[12:13]
	v_add_u32_e32 v12, s69, v192
	v_mul_hi_u32 v13, s70, v12
	v_add_u32_e32 v13, v12, v13
	v_lshrrev_b32_e32 v13, s71, v13
	v_mul_lo_u32 v13, v13, s68
	v_sub_u32_e32 v12, v12, v13
	v_mad_i64_i32 v[12:13], s[42:43], v12, s72, 0
	v_lshlrev_b64 v[12:13], 1, v[12:13]
	v_add_co_u32_e64 v12, s[62:63], v10, v12
	v_addc_co_u32_e64 v13, s[62:63], v11, v13, s[62:63]
	flat_load_ushort v12, v[12:13]
	v_readlane_b32 s73, v253, 52
	v_readlane_b32 s74, v253, 53
	;; [unrolled: 1-line block ×3, first 2 shown]
	s_waitcnt vmcnt(0) lgkmcnt(0)
	ds_write_b16 v191, v14 offset:11264
	ds_write_b16 v193, v12 offset:11264
	v_add_u32_e32 v12, s69, v194
	v_mul_hi_u32 v13, s70, v12
	v_add_u32_e32 v13, v12, v13
	v_lshrrev_b32_e32 v13, s71, v13
	v_mul_lo_u32 v13, v13, s68
	v_sub_u32_e32 v12, v12, v13
	v_mad_i64_i32 v[12:13], s[42:43], v12, s72, 0
	v_lshlrev_b64 v[12:13], 1, v[12:13]
	v_add_co_u32_e64 v12, s[62:63], v10, v12
	v_addc_co_u32_e64 v13, s[62:63], v11, v13, s[62:63]
	flat_load_ushort v12, v[12:13]
	v_add_u32_e32 v13, s69, v196
	v_mul_hi_u32 v14, s70, v13
	v_add_u32_e32 v14, v13, v14
	v_lshrrev_b32_e32 v14, s71, v14
	v_mul_lo_u32 v14, v14, s68
	v_sub_u32_e32 v13, v13, v14
	v_mad_i64_i32 v[14:15], s[42:43], v13, s72, 0
	v_lshlrev_b64 v[14:15], 1, v[14:15]
	v_add_co_u32_e64 v14, s[62:63], v10, v14
	v_addc_co_u32_e64 v15, s[62:63], v11, v15, s[62:63]
	flat_load_ushort v13, v[14:15]
.LBB9_98:                               ;   in Loop: Header=BB9_13 Depth=1
	s_or_b64 exec, exec, s[64:65]
	s_waitcnt vmcnt(0) lgkmcnt(0)
	ds_write_b16 v195, v12 offset:11264
	ds_write_b16 v197, v13 offset:11264
                                        ; implicit-def: $sgpr42
	s_and_saveexec_b64 s[62:63], vcc
	s_xor_b64 s[62:63], exec, s[62:63]
	s_cbranch_execz .LBB9_100
; %bb.99:                               ;   in Loop: Header=BB9_13 Depth=1
	ds_write_b16 v199, v175 offset:11264
	ds_write_b16 v201, v175 offset:11264
	s_mov_b32 s42, 0
                                        ; implicit-def: $vgpr10
                                        ; implicit-def: $vgpr11
.LBB9_100:                              ;   in Loop: Header=BB9_13 Depth=1
	s_or_saveexec_b64 s[62:63], s[62:63]
	v_mov_b32_e32 v12, s42
	v_mov_b32_e32 v13, s42
	s_xor_b64 exec, exec, s[62:63]
	s_cbranch_execz .LBB9_102
; %bb.101:                              ;   in Loop: Header=BB9_13 Depth=1
	v_add_u32_e32 v12, s69, v198
	v_readlane_b32 s70, v253, 15
	v_mul_hi_u32 v13, s70, v12
	v_readlane_b32 s71, v253, 16
	v_add_u32_e32 v13, v12, v13
	v_readlane_b32 s72, v253, 51
	v_lshrrev_b32_e32 v13, s71, v13
	s_mov_b32 s64, s72
	v_mul_lo_u32 v13, v13, s64
	v_readlane_b32 s42, v253, 61
	v_sub_u32_e32 v12, v12, v13
	v_readlane_b32 s43, v253, 62
	s_mov_b32 s68, s42
	v_mad_i64_i32 v[12:13], s[42:43], v12, s68, 0
	v_lshlrev_b64 v[12:13], 1, v[12:13]
	v_add_co_u32_e32 v12, vcc, v10, v12
	v_addc_co_u32_e32 v13, vcc, v11, v13, vcc
	flat_load_ushort v14, v[12:13]
	v_add_u32_e32 v12, s69, v200
	v_mul_hi_u32 v13, s70, v12
	v_add_u32_e32 v13, v12, v13
	v_lshrrev_b32_e32 v13, s71, v13
	v_mul_lo_u32 v13, v13, s64
	v_sub_u32_e32 v12, v12, v13
	v_mad_i64_i32 v[12:13], s[42:43], v12, s68, 0
	v_lshlrev_b64 v[12:13], 1, v[12:13]
	v_add_co_u32_e32 v12, vcc, v10, v12
	v_addc_co_u32_e32 v13, vcc, v11, v13, vcc
	flat_load_ushort v12, v[12:13]
	v_readlane_b32 s73, v253, 52
	v_readlane_b32 s74, v253, 53
	;; [unrolled: 1-line block ×3, first 2 shown]
	s_waitcnt vmcnt(0) lgkmcnt(0)
	ds_write_b16 v199, v14 offset:11264
	ds_write_b16 v201, v12 offset:11264
	v_add_u32_e32 v12, s69, v202
	v_mul_hi_u32 v13, s70, v12
	v_add_u32_e32 v13, v12, v13
	v_lshrrev_b32_e32 v13, s71, v13
	v_mul_lo_u32 v13, v13, s64
	v_sub_u32_e32 v12, v12, v13
	v_mad_i64_i32 v[12:13], s[42:43], v12, s68, 0
	v_lshlrev_b64 v[12:13], 1, v[12:13]
	v_add_co_u32_e32 v12, vcc, v10, v12
	v_addc_co_u32_e32 v13, vcc, v11, v13, vcc
	flat_load_ushort v12, v[12:13]
	v_add_u32_e32 v13, s69, v204
	v_mul_hi_u32 v14, s70, v13
	v_add_u32_e32 v14, v13, v14
	v_lshrrev_b32_e32 v14, s71, v14
	v_mul_lo_u32 v14, v14, s64
	v_sub_u32_e32 v13, v13, v14
	v_mad_i64_i32 v[14:15], s[42:43], v13, s68, 0
	v_lshlrev_b64 v[14:15], 1, v[14:15]
	v_add_co_u32_e32 v10, vcc, v10, v14
	v_addc_co_u32_e32 v11, vcc, v11, v15, vcc
	flat_load_ushort v13, v[10:11]
.LBB9_102:                              ;   in Loop: Header=BB9_13 Depth=1
	s_or_b64 exec, exec, s[62:63]
	s_waitcnt vmcnt(0) lgkmcnt(0)
	ds_write_b16 v203, v12 offset:11264
	ds_write_b16 v205, v13 offset:11264
.LBB9_103:                              ;   in Loop: Header=BB9_13 Depth=1
	s_mul_hi_i32 s43, s46, s50
	s_mul_i32 s42, s46, s50
	s_lshl_b64 s[42:43], s[42:43], 2
	s_add_u32 s42, s45, s42
	s_addc_u32 s43, s48, s43
	buffer_store_dword v175, off, s[0:3], 0
	buffer_store_dword v175, off, s[0:3], 0 offset:4
	buffer_store_dword v175, off, s[0:3], 0 offset:8
	;; [unrolled: 1-line block ×3, first 2 shown]
	s_and_saveexec_b64 s[62:63], s[98:99]
	s_cbranch_execz .LBB9_105
; %bb.104:                              ;   in Loop: Header=BB9_13 Depth=1
	v_mov_b32_e32 v10, s43
	v_add_co_u32_e32 v11, vcc, s42, v40
	v_addc_co_u32_e32 v10, vcc, v10, v41, vcc
	v_lshlrev_b32_e32 v12, 2, v32
	v_add_co_u32_e32 v11, vcc, v11, v12
	v_addc_co_u32_e32 v10, vcc, 0, v10, vcc
	v_add_co_u32_e32 v12, vcc, 0x80, v11
	v_addc_co_u32_e32 v10, vcc, 0, v10, vcc
	v_mov_b32_e32 v11, s55
	v_cmp_gt_i32_e32 vcc, s52, v109
	v_cndmask_b32_e32 v11, v11, v10, vcc
	v_mov_b32_e32 v10, s54
	v_cndmask_b32_e32 v10, v10, v12, vcc
	flat_load_dwordx4 v[10:13], v[10:11]
	s_waitcnt vmcnt(0) lgkmcnt(0)
	ds_write_b128 v110, v[10:13]
.LBB9_105:                              ;   in Loop: Header=BB9_13 Depth=1
	s_or_b64 exec, exec, s[62:63]
	v_mov_b32_e32 v10, s43
	v_add_co_u32_e32 v11, vcc, s42, v48
	v_addc_co_u32_e32 v10, vcc, v10, v49, vcc
	v_lshlrev_b32_e32 v24, 2, v34
	v_add_co_u32_e32 v12, vcc, v11, v24
	v_addc_co_u32_e32 v10, vcc, 0, v10, vcc
	v_mov_b32_e32 v14, s55
	v_cmp_gt_i32_e64 s[64:65], s52, v53
	v_mov_b32_e32 v16, s54
	v_cndmask_b32_e64 v11, v14, v10, s[64:65]
	v_cndmask_b32_e64 v10, v16, v12, s[64:65]
	flat_load_dwordx4 v[10:13], v[10:11]
	v_mov_b32_e32 v15, s43
	v_add_co_u32_e32 v17, vcc, s42, v50
	v_addc_co_u32_e32 v15, vcc, v15, v51, vcc
	v_add_co_u32_e32 v17, vcc, v17, v24
	v_addc_co_u32_e32 v15, vcc, 0, v15, vcc
	v_cmp_gt_i32_e64 s[62:63], s52, v137
	v_cndmask_b32_e64 v15, v14, v15, s[62:63]
	v_cndmask_b32_e64 v14, v16, v17, s[62:63]
	v_add_u32_e32 v18, 0x800, v111
	v_add_u32_e32 v25, 0x1000, v111
	v_add_u32_e32 v80, 0x2000, v111
	s_andn2_b64 vcc, exec, s[66:67]
	s_waitcnt vmcnt(0) lgkmcnt(0)
	ds_write_b128 v126, v[10:13]
	flat_load_dwordx4 v[10:13], v[14:15]
	s_waitcnt vmcnt(0) lgkmcnt(0)
	ds_write_b128 v127, v[10:13]
	s_waitcnt lgkmcnt(0)
	s_barrier
	ds_read2_b64 v[10:13], v111 offset1:4
	ds_read2_b64 v[20:23], v18 offset0:96 offset1:100
	ds_read2_b64 v[64:67], v25 offset0:192 offset1:196
	;; [unrolled: 1-line block ×3, first 2 shown]
	s_waitcnt lgkmcnt(3)
	v_mfma_f32_16x16x16f16 v[14:17], v[10:11], v[6:7], 0
	s_waitcnt lgkmcnt(2)
	v_mfma_f32_16x16x16f16 v[60:63], v[20:21], v[6:7], 0
	;; [unrolled: 2-line block ×4, first 2 shown]
	v_mfma_f32_16x16x16f16 v[10:13], v[12:13], v[8:9], v[14:17]
	v_mfma_f32_16x16x16f16 v[14:17], v[22:23], v[8:9], v[60:63]
	;; [unrolled: 1-line block ×3, first 2 shown]
	s_nop 5
	ds_read2_b64 v[60:63], v111 offset0:8 offset1:12
	ds_read2_b64 v[64:67], v18 offset0:104 offset1:108
	v_mfma_f32_16x16x16f16 v[6:9], v[74:75], v[8:9], v[76:79]
	ds_read2_b64 v[68:71], v25 offset0:200 offset1:204
	ds_read2_b64 v[72:75], v80 offset0:40 offset1:44
	s_waitcnt lgkmcnt(3)
	v_mfma_f32_16x16x16f16 v[10:13], v[60:61], v[2:3], v[10:13]
	s_waitcnt lgkmcnt(2)
	v_mfma_f32_16x16x16f16 v[14:17], v[64:65], v[2:3], v[14:17]
	;; [unrolled: 2-line block ×4, first 2 shown]
	v_mfma_f32_16x16x16f16 v[10:13], v[62:63], v[4:5], v[10:13]
	v_mfma_f32_16x16x16f16 v[60:63], v[66:67], v[4:5], v[14:17]
	v_mfma_f32_16x16x16f16 v[20:23], v[70:71], v[4:5], v[20:23]
	v_mfma_f32_16x16x16f16 v[2:5], v[74:75], v[4:5], v[6:9]
	s_nop 6
	ds_read_b64 v[6:7], v111 offset:128
	ds_read_b64 v[8:9], v111 offset:2944
	;; [unrolled: 1-line block ×4, first 2 shown]
	s_waitcnt lgkmcnt(0)
	s_barrier
	v_mfma_f32_16x16x16f16 v[14:17], v[6:7], v[58:59], v[10:13]
	v_mfma_f32_16x16x16f16 v[10:13], v[8:9], v[58:59], v[60:63]
	;; [unrolled: 1-line block ×4, first 2 shown]
	s_cbranch_vccnz .LBB9_107
; %bb.106:                              ;   in Loop: Header=BB9_13 Depth=1
	ds_read_b32 v18, v113 offset:11264
	s_waitcnt lgkmcnt(0)
	s_nop 2
	v_cvt_f32_f16_sdwa v21, v18 dst_sel:DWORD dst_unused:UNUSED_PAD src0_sel:WORD_1
	v_cvt_f32_f16_e32 v20, v18
	ds_read_b32 v18, v135 offset:11264
	v_pk_fma_f32 v[14:15], v[54:55], v[20:21], v[14:15] op_sel_hi:[0,1,1]
	s_waitcnt lgkmcnt(0)
	v_cvt_f32_f16_sdwa v23, v18 dst_sel:DWORD dst_unused:UNUSED_PAD src0_sel:WORD_1
	v_cvt_f32_f16_e32 v22, v18
	v_add_u32_e32 v18, 0x2c00, v115
	ds_read2_b32 v[20:21], v18 offset1:1
	v_add_u32_e32 v18, 0x2c00, v131
	v_pk_fma_f32 v[16:17], v[54:55], v[22:23], v[16:17] op_sel_hi:[0,1,1]
	s_waitcnt lgkmcnt(0)
	v_cvt_f32_f16_e32 v22, v20
	v_cvt_f32_f16_sdwa v23, v20 dst_sel:DWORD dst_unused:UNUSED_PAD src0_sel:WORD_1
	v_cvt_f32_f16_e32 v20, v21
	v_cvt_f32_f16_sdwa v21, v21 dst_sel:DWORD dst_unused:UNUSED_PAD src0_sel:WORD_1
	v_pk_fma_f32 v[10:11], v[54:55], v[22:23], v[10:11] op_sel_hi:[0,1,1]
	v_pk_fma_f32 v[12:13], v[54:55], v[20:21], v[12:13] op_sel_hi:[0,1,1]
	ds_read2_b32 v[20:21], v18 offset1:1
	v_add_u32_e32 v18, 0x2c00, v136
	s_waitcnt lgkmcnt(0)
	v_cvt_f32_f16_e32 v22, v20
	v_cvt_f32_f16_sdwa v23, v20 dst_sel:DWORD dst_unused:UNUSED_PAD src0_sel:WORD_1
	v_cvt_f32_f16_e32 v20, v21
	v_cvt_f32_f16_sdwa v21, v21 dst_sel:DWORD dst_unused:UNUSED_PAD src0_sel:WORD_1
	v_pk_fma_f32 v[6:7], v[54:55], v[22:23], v[6:7] op_sel_hi:[0,1,1]
	v_pk_fma_f32 v[8:9], v[54:55], v[20:21], v[8:9] op_sel_hi:[0,1,1]
	ds_read2_b32 v[20:21], v18 offset1:1
	s_waitcnt lgkmcnt(0)
	v_cvt_f32_f16_e32 v22, v20
	v_cvt_f32_f16_sdwa v23, v20 dst_sel:DWORD dst_unused:UNUSED_PAD src0_sel:WORD_1
	v_cvt_f32_f16_e32 v20, v21
	v_cvt_f32_f16_sdwa v21, v21 dst_sel:DWORD dst_unused:UNUSED_PAD src0_sel:WORD_1
	v_pk_fma_f32 v[2:3], v[54:55], v[22:23], v[2:3] op_sel_hi:[0,1,1]
	v_pk_fma_f32 v[4:5], v[54:55], v[20:21], v[4:5] op_sel_hi:[0,1,1]
.LBB9_107:                              ;   in Loop: Header=BB9_13 Depth=1
	s_nop 6
	v_add_f32_e32 v18, 0x40051340, v14
	v_max_f32_e32 v20, v55, v55
	v_max_f32_e32 v18, v20, v18
	v_cmp_gt_u32_e64 s[96:97], s52, v112
	v_cndmask_b32_e64 v18, v55, v18, s[96:97]
	v_add_f32_e32 v20, 0x40051340, v15
	v_max_f32_e32 v21, v18, v18
	v_max_f32_e32 v20, v21, v20
	v_cmp_gt_u32_e64 s[94:95], s52, v209
	v_cndmask_b32_e64 v18, v18, v20, s[94:95]
	;; [unrolled: 5-line block ×16, first 2 shown]
	v_and_b32_e32 v20, 64, v225
	v_add_u32_e32 v20, 64, v20
	v_xor_b32_e32 v21, 32, v225
	v_cmp_lt_i32_e32 vcc, v21, v20
	v_cndmask_b32_e32 v21, v225, v21, vcc
	v_lshlrev_b32_e32 v21, 2, v21
	ds_bpermute_b32 v22, v21, v18
	v_max_f32_e32 v18, v18, v18
	s_mul_hi_i32 s43, s46, s8
	s_mul_i32 s42, s46, s8
	s_lshl_b64 s[46:47], s[42:43], 2
	s_waitcnt lgkmcnt(0)
	v_max_f32_e32 v22, v22, v22
	v_max_f32_e32 v18, v18, v22
	v_xor_b32_e32 v22, 16, v225
	v_cmp_lt_i32_e32 vcc, v22, v20
	v_cndmask_b32_e32 v20, v225, v22, vcc
	v_lshlrev_b32_e32 v20, 2, v20
	ds_bpermute_b32 v22, v20, v18
	s_add_u32 s43, s57, s46
	s_addc_u32 s42, s44, s47
	buffer_store_dword v175, off, s[0:3], 0
	buffer_store_dword v175, off, s[0:3], 0 offset:4
	buffer_store_dword v175, off, s[0:3], 0 offset:8
	buffer_store_dword v175, off, s[0:3], 0 offset:12
	s_and_saveexec_b64 s[46:47], s[98:99]
	s_cbranch_execz .LBB9_109
; %bb.108:                              ;   in Loop: Header=BB9_13 Depth=1
	v_mov_b32_e32 v23, s42
	v_add_co_u32_e32 v25, vcc, s43, v38
	v_addc_co_u32_e32 v23, vcc, v23, v39, vcc
	v_lshlrev_b32_e32 v58, 2, v32
	v_add_co_u32_e32 v25, vcc, v25, v58
	v_addc_co_u32_e32 v23, vcc, 0, v23, vcc
	v_add_co_u32_e32 v25, vcc, 0x80, v25
	v_addc_co_u32_e32 v23, vcc, 0, v23, vcc
	v_mov_b32_e32 v58, s55
	v_cmp_gt_i32_e32 vcc, s52, v109
	v_cndmask_b32_e32 v59, v58, v23, vcc
	v_mov_b32_e32 v23, s54
	v_cndmask_b32_e32 v58, v23, v25, vcc
	flat_load_dwordx4 v[58:61], v[58:59]
	s_waitcnt vmcnt(0) lgkmcnt(0)
	ds_write_b128 v110, v[58:61]
.LBB9_109:                              ;   in Loop: Header=BB9_13 Depth=1
	s_or_b64 exec, exec, s[46:47]
	s_waitcnt lgkmcnt(0)
	v_max_f32_e32 v22, v22, v22
	v_max_f32_e32 v18, v18, v18
	;; [unrolled: 1-line block ×3, first 2 shown]
	v_sub_f32_e32 v14, v14, v18
	v_mul_f32_e32 v22, 0x3fb8aa3b, v14
	v_fma_f32 v23, v14, s58, -v22
	v_rndne_f32_e32 v25, v22
	v_fmac_f32_e32 v23, 0x32a5705f, v14
	v_sub_f32_e32 v22, v22, v25
	v_add_f32_e32 v22, v22, v23
	v_exp_f32_e32 v22, v22
	v_cvt_i32_f32_e32 v23, v25
	v_cmp_ngt_f32_e32 vcc, s59, v14
	v_sub_f32_e32 v15, v15, v18
	v_cndmask_b32_e64 v16, v16, v16, s[94:95]
	v_ldexp_f32 v22, v22, v23
	v_cndmask_b32_e32 v22, 0, v22, vcc
	v_cmp_nlt_f32_e32 vcc, s49, v14
	v_cndmask_b32_e32 v14, v223, v22, vcc
	v_mul_f32_e32 v22, 0x3fb8aa3b, v15
	v_fma_f32 v23, v15, s58, -v22
	v_rndne_f32_e32 v25, v22
	v_fmac_f32_e32 v23, 0x32a5705f, v15
	v_sub_f32_e32 v22, v22, v25
	v_add_f32_e32 v22, v22, v23
	v_exp_f32_e32 v22, v22
	v_cvt_i32_f32_e32 v23, v25
	v_cmp_ngt_f32_e32 vcc, s59, v15
	v_cndmask_b32_e64 v14, 0, v14, s[96:97]
	v_sub_f32_e32 v16, v16, v18
	v_ldexp_f32 v22, v22, v23
	v_cndmask_b32_e32 v22, 0, v22, vcc
	v_cmp_nlt_f32_e32 vcc, s49, v15
	v_cndmask_b32_e32 v22, v223, v22, vcc
	v_mov_b32_e32 v15, s53
	v_add_f32_e32 v23, v22, v14
	v_cndmask_b32_e64 v58, v15, v22, s[94:95]
	v_mul_f32_e32 v22, 0x3fb8aa3b, v16
	v_cndmask_b32_e64 v15, v14, v23, s[94:95]
	v_fma_f32 v23, v16, s58, -v22
	v_rndne_f32_e32 v25, v22
	v_fmac_f32_e32 v23, 0x32a5705f, v16
	v_sub_f32_e32 v22, v22, v25
	v_add_f32_e32 v22, v22, v23
	v_exp_f32_e32 v22, v22
	v_cvt_i32_f32_e32 v23, v25
	v_cmp_ngt_f32_e32 vcc, s59, v16
	v_cndmask_b32_e64 v17, v17, v17, s[94:95]
	v_sub_f32_e32 v10, v10, v18
	v_ldexp_f32 v22, v22, v23
	v_cndmask_b32_e32 v22, 0, v22, vcc
	v_cmp_nlt_f32_e32 vcc, s49, v16
	v_cndmask_b32_e32 v22, v223, v22, vcc
	v_mov_b32_e32 v16, s53
	v_cndmask_b32_e64 v59, v16, v22, s[92:93]
	v_sub_f32_e32 v16, v17, v18
	v_add_f32_e32 v23, v15, v22
	v_mul_f32_e32 v17, 0x3fb8aa3b, v16
	v_cndmask_b32_e64 v15, v15, v23, s[92:93]
	v_fma_f32 v22, v16, s58, -v17
	v_rndne_f32_e32 v23, v17
	v_fmac_f32_e32 v22, 0x32a5705f, v16
	v_sub_f32_e32 v17, v17, v23
	v_add_f32_e32 v17, v17, v22
	v_exp_f32_e32 v17, v17
	v_cvt_i32_f32_e32 v22, v23
	v_cmp_ngt_f32_e32 vcc, s59, v16
	v_cndmask_b32_e64 v11, v11, v11, s[90:91]
	v_sub_f32_e32 v11, v11, v18
	v_ldexp_f32 v17, v17, v22
	v_cndmask_b32_e32 v17, 0, v17, vcc
	v_cmp_nlt_f32_e32 vcc, s49, v16
	v_cndmask_b32_e32 v60, v223, v17, vcc
	v_add_f32_e32 v16, v15, v60
	v_cndmask_b32_e64 v15, v15, v16, s[66:67]
	v_mul_f32_e32 v16, 0x3fb8aa3b, v10
	v_fma_f32 v17, v10, s58, -v16
	v_rndne_f32_e32 v22, v16
	v_fmac_f32_e32 v17, 0x32a5705f, v10
	v_sub_f32_e32 v16, v16, v22
	v_add_f32_e32 v16, v16, v17
	v_exp_f32_e32 v16, v16
	v_cvt_i32_f32_e32 v17, v22
	v_cmp_ngt_f32_e32 vcc, s59, v10
	v_cndmask_b32_e64 v12, v12, v12, s[90:91]
	v_cndmask_b32_e64 v13, v13, v13, s[90:91]
	v_ldexp_f32 v16, v16, v17
	v_cndmask_b32_e32 v16, 0, v16, vcc
	v_cmp_nlt_f32_e32 vcc, s49, v10
	v_cndmask_b32_e32 v16, v223, v16, vcc
	v_add_f32_e32 v17, v16, v15
	v_mov_b32_e32 v10, s53
	v_cndmask_b32_e64 v61, v10, v16, s[90:91]
	v_cndmask_b32_e64 v10, v15, v17, s[90:91]
	v_mul_f32_e32 v15, 0x3fb8aa3b, v11
	v_fma_f32 v16, v11, s58, -v15
	v_rndne_f32_e32 v17, v15
	v_fmac_f32_e32 v16, 0x32a5705f, v11
	v_sub_f32_e32 v15, v15, v17
	v_add_f32_e32 v15, v15, v16
	v_exp_f32_e32 v15, v15
	v_cvt_i32_f32_e32 v16, v17
	v_cmp_ngt_f32_e32 vcc, s59, v11
	v_sub_f32_e32 v13, v13, v18
	v_sub_f32_e32 v6, v6, v18
	v_ldexp_f32 v15, v15, v16
	v_cndmask_b32_e32 v15, 0, v15, vcc
	v_cmp_nlt_f32_e32 vcc, s49, v11
	v_cndmask_b32_e32 v15, v223, v15, vcc
	v_add_f32_e32 v16, v15, v10
	v_mov_b32_e32 v11, s53
	v_cndmask_b32_e64 v11, v11, v15, s[88:89]
	v_cndmask_b32_e64 v15, v10, v16, s[88:89]
	v_sub_f32_e32 v10, v12, v18
	v_mul_f32_e32 v12, 0x3fb8aa3b, v10
	v_fma_f32 v16, v10, s58, -v12
	v_rndne_f32_e32 v17, v12
	v_fmac_f32_e32 v16, 0x32a5705f, v10
	v_sub_f32_e32 v12, v12, v17
	v_add_f32_e32 v12, v12, v16
	v_exp_f32_e32 v12, v12
	v_cvt_i32_f32_e32 v16, v17
	v_cmp_ngt_f32_e32 vcc, s59, v10
	v_cndmask_b32_e64 v7, v7, v7, s[84:85]
	v_sub_f32_e32 v7, v7, v18
	v_ldexp_f32 v12, v12, v16
	v_cndmask_b32_e32 v12, 0, v12, vcc
	v_cmp_nlt_f32_e32 vcc, s49, v10
	v_cndmask_b32_e32 v12, v223, v12, vcc
	v_add_f32_e32 v16, v12, v15
	v_mov_b32_e32 v10, s53
	v_cndmask_b32_e64 v10, v10, v12, s[86:87]
	v_cndmask_b32_e64 v12, v15, v16, s[86:87]
	v_mul_f32_e32 v15, 0x3fb8aa3b, v13
	v_fma_f32 v16, v13, s58, -v15
	v_rndne_f32_e32 v17, v15
	v_fmac_f32_e32 v16, 0x32a5705f, v13
	v_sub_f32_e32 v15, v15, v17
	v_add_f32_e32 v15, v15, v16
	v_exp_f32_e32 v15, v15
	v_cvt_i32_f32_e32 v16, v17
	v_cmp_ngt_f32_e32 vcc, s59, v13
	v_cndmask_b32_e64 v8, v8, v8, s[84:85]
	v_cndmask_b32_e64 v9, v9, v9, s[84:85]
	v_ldexp_f32 v15, v15, v16
	v_cndmask_b32_e32 v15, 0, v15, vcc
	v_cmp_nlt_f32_e32 vcc, s49, v13
	v_cndmask_b32_e32 v62, v223, v15, vcc
	v_add_f32_e32 v13, v62, v12
	v_cndmask_b32_e64 v12, v12, v13, s[68:69]
	v_mul_f32_e32 v13, 0x3fb8aa3b, v6
	v_fma_f32 v15, v6, s58, -v13
	v_rndne_f32_e32 v16, v13
	v_fmac_f32_e32 v15, 0x32a5705f, v6
	v_sub_f32_e32 v13, v13, v16
	v_add_f32_e32 v13, v13, v15
	v_exp_f32_e32 v13, v13
	v_cvt_i32_f32_e32 v15, v16
	v_cmp_ngt_f32_e32 vcc, s59, v6
	v_sub_f32_e32 v9, v9, v18
	v_sub_f32_e32 v2, v2, v18
	v_ldexp_f32 v13, v13, v15
	v_cndmask_b32_e32 v13, 0, v13, vcc
	v_cmp_nlt_f32_e32 vcc, s49, v6
	v_cndmask_b32_e32 v13, v223, v13, vcc
	v_add_f32_e32 v15, v13, v12
	v_mov_b32_e32 v6, s53
	v_cndmask_b32_e64 v63, v6, v13, s[84:85]
	v_cndmask_b32_e64 v6, v12, v15, s[84:85]
	v_mul_f32_e32 v12, 0x3fb8aa3b, v7
	v_fma_f32 v13, v7, s58, -v12
	v_rndne_f32_e32 v15, v12
	v_fmac_f32_e32 v13, 0x32a5705f, v7
	v_sub_f32_e32 v12, v12, v15
	v_add_f32_e32 v12, v12, v13
	v_exp_f32_e32 v12, v12
	v_cvt_i32_f32_e32 v13, v15
	v_cmp_ngt_f32_e32 vcc, s59, v7
	v_cndmask_b32_e64 v3, v3, v3, s[78:79]
	v_sub_f32_e32 v3, v3, v18
	v_ldexp_f32 v12, v12, v13
	v_cndmask_b32_e32 v12, 0, v12, vcc
	v_cmp_nlt_f32_e32 vcc, s49, v7
	v_cndmask_b32_e32 v12, v223, v12, vcc
	v_add_f32_e32 v13, v12, v6
	v_mov_b32_e32 v7, s53
	v_cndmask_b32_e64 v7, v7, v12, s[82:83]
	v_cndmask_b32_e64 v12, v6, v13, s[82:83]
	v_sub_f32_e32 v6, v8, v18
	v_mul_f32_e32 v8, 0x3fb8aa3b, v6
	v_fma_f32 v13, v6, s58, -v8
	v_rndne_f32_e32 v15, v8
	v_fmac_f32_e32 v13, 0x32a5705f, v6
	v_sub_f32_e32 v8, v8, v15
	v_add_f32_e32 v8, v8, v13
	v_exp_f32_e32 v8, v8
	v_cvt_i32_f32_e32 v13, v15
	v_cmp_ngt_f32_e32 vcc, s59, v6
	v_cndmask_b32_e64 v4, v4, v4, s[78:79]
	v_cndmask_b32_e64 v5, v5, v5, s[78:79]
	v_ldexp_f32 v8, v8, v13
	v_cndmask_b32_e32 v8, 0, v8, vcc
	v_cmp_nlt_f32_e32 vcc, s49, v6
	v_cndmask_b32_e32 v8, v223, v8, vcc
	v_add_f32_e32 v13, v8, v12
	v_mov_b32_e32 v6, s53
	v_cndmask_b32_e64 v6, v6, v8, s[80:81]
	v_cndmask_b32_e64 v8, v12, v13, s[80:81]
	v_mul_f32_e32 v12, 0x3fb8aa3b, v9
	v_fma_f32 v13, v9, s58, -v12
	v_rndne_f32_e32 v15, v12
	v_fmac_f32_e32 v13, 0x32a5705f, v9
	v_sub_f32_e32 v12, v12, v15
	v_add_f32_e32 v12, v12, v13
	v_exp_f32_e32 v12, v12
	v_cvt_i32_f32_e32 v13, v15
	v_cmp_ngt_f32_e32 vcc, s59, v9
	s_mov_b32 s88, 0xc1a00000
	v_ldexp_f32 v12, v12, v13
	v_cndmask_b32_e32 v12, 0, v12, vcc
	v_cmp_nlt_f32_e32 vcc, s49, v9
	v_cndmask_b32_e32 v64, v223, v12, vcc
	v_add_f32_e32 v9, v64, v8
	v_cndmask_b32_e64 v8, v8, v9, s[70:71]
	v_mul_f32_e32 v9, 0x3fb8aa3b, v2
	v_fma_f32 v12, v2, s58, -v9
	v_rndne_f32_e32 v13, v9
	v_fmac_f32_e32 v12, 0x32a5705f, v2
	v_sub_f32_e32 v9, v9, v13
	v_add_f32_e32 v9, v9, v12
	v_exp_f32_e32 v9, v9
	v_cvt_i32_f32_e32 v12, v13
	v_cmp_ngt_f32_e32 vcc, s59, v2
	v_ldexp_f32 v9, v9, v12
	v_cndmask_b32_e32 v9, 0, v9, vcc
	v_cmp_nlt_f32_e32 vcc, s49, v2
	v_cndmask_b32_e32 v9, v223, v9, vcc
	v_add_f32_e32 v12, v9, v8
	v_mov_b32_e32 v2, s53
	v_cndmask_b32_e64 v65, v2, v9, s[78:79]
	v_cndmask_b32_e64 v2, v8, v12, s[78:79]
	v_mul_f32_e32 v8, 0x3fb8aa3b, v3
	v_fma_f32 v9, v3, s58, -v8
	v_rndne_f32_e32 v12, v8
	v_fmac_f32_e32 v9, 0x32a5705f, v3
	v_sub_f32_e32 v8, v8, v12
	v_add_f32_e32 v8, v8, v9
	v_exp_f32_e32 v8, v8
	v_cvt_i32_f32_e32 v9, v12
	v_cmp_ngt_f32_e32 vcc, s59, v3
	v_readlane_b32 s78, v254, 36
	v_readlane_b32 s79, v254, 37
	v_ldexp_f32 v8, v8, v9
	v_cndmask_b32_e32 v8, 0, v8, vcc
	v_cmp_nlt_f32_e32 vcc, s49, v3
	v_cndmask_b32_e32 v8, v223, v8, vcc
	v_add_f32_e32 v9, v8, v2
	v_mov_b32_e32 v3, s53
	v_cndmask_b32_e64 v66, v3, v8, s[76:77]
	v_cndmask_b32_e64 v3, v2, v9, s[76:77]
	v_sub_f32_e32 v2, v4, v18
	v_mul_f32_e32 v4, 0x3fb8aa3b, v2
	v_fma_f32 v8, v2, s58, -v4
	v_rndne_f32_e32 v9, v4
	v_fmac_f32_e32 v8, 0x32a5705f, v2
	v_sub_f32_e32 v4, v4, v9
	v_add_f32_e32 v4, v4, v8
	v_exp_f32_e32 v4, v4
	v_cvt_i32_f32_e32 v8, v9
	v_cmp_ngt_f32_e32 vcc, s59, v2
	s_cmp_lg_u64 s[78:79], 0
	v_ldexp_f32 v4, v4, v8
	v_cndmask_b32_e32 v4, 0, v4, vcc
	v_cmp_nlt_f32_e32 vcc, s49, v2
	v_cndmask_b32_e32 v4, v223, v4, vcc
	v_add_f32_e32 v8, v4, v3
	v_mov_b32_e32 v2, s53
	v_cndmask_b32_e64 v4, v2, v4, s[74:75]
	v_cndmask_b32_e64 v2, v3, v8, s[74:75]
	v_sub_f32_e32 v3, v5, v18
	v_mul_f32_e32 v5, 0x3fb8aa3b, v3
	v_fma_f32 v8, v3, s58, -v5
	v_rndne_f32_e32 v9, v5
	v_fmac_f32_e32 v8, 0x32a5705f, v3
	v_sub_f32_e32 v5, v5, v9
	v_add_f32_e32 v5, v5, v8
	v_exp_f32_e32 v5, v5
	v_cvt_i32_f32_e32 v8, v9
	v_cmp_ngt_f32_e32 vcc, s59, v3
	v_ldexp_f32 v5, v5, v8
	v_cndmask_b32_e32 v5, 0, v5, vcc
	v_cmp_nlt_f32_e32 vcc, s49, v3
	v_cndmask_b32_e32 v5, v223, v5, vcc
	v_add_f32_e32 v3, v5, v2
	v_cndmask_b32_e64 v22, v2, v3, s[72:73]
	v_sub_f32_e32 v2, v55, v18
	v_mul_f32_e32 v3, 0x3fb8aa3b, v2
	v_fma_f32 v8, v2, s58, -v3
	v_rndne_f32_e32 v9, v3
	v_fmac_f32_e32 v8, 0x32a5705f, v2
	v_sub_f32_e32 v3, v3, v9
	v_add_f32_e32 v3, v3, v8
	v_exp_f32_e32 v3, v3
	v_cvt_i32_f32_e32 v8, v9
	v_cmp_ngt_f32_e32 vcc, s59, v2
	v_ldexp_f32 v3, v3, v8
	v_cndmask_b32_e32 v3, 0, v3, vcc
	v_cmp_nlt_f32_e32 vcc, s49, v2
	v_cndmask_b32_e32 v3, v223, v3, vcc
	v_cmp_le_f32_e32 vcc, s88, v2
	v_cndmask_b32_e32 v2, 0, v3, vcc
	v_fmac_f32_e32 v22, v19, v2
	v_cvt_f16_f32_e32 v2, v2
	v_mov_b32_e32 v3, s53
	v_cndmask_b32_e64 v5, v3, v5, s[72:73]
	v_cndmask_b32_e64 v55, v3, v64, s[70:71]
	v_pk_mul_f16 v9, v2, v100 op_sel_hi:[0,1]
	v_pk_mul_f16 v8, v2, v99 op_sel_hi:[0,1]
	;; [unrolled: 1-line block ×10, first 2 shown]
	v_cndmask_b32_e64 v62, v3, v62, s[68:69]
	v_cndmask_b32_e64 v60, v3, v60, s[66:67]
	v_cvt_f16_f32_e32 v2, v65
	v_cvt_f16_f32_e32 v3, v66
	v_pack_b32_f16 v2, v2, v3
	v_cvt_f16_f32_e32 v3, v4
	v_cvt_f16_f32_e32 v4, v5
	;; [unrolled: 1-line block ×5, first 2 shown]
	v_pack_b32_f16 v3, v3, v4
	v_cvt_f16_f32_e32 v4, v63
	v_pack_b32_f16 v4, v4, v5
	v_cvt_f16_f32_e32 v5, v6
	v_cvt_f16_f32_e32 v6, v55
	v_mov_b32_e32 v55, s42
	v_pack_b32_f16 v5, v5, v6
	v_cvt_f16_f32_e32 v6, v61
	v_pack_b32_f16 v6, v6, v7
	v_cvt_f16_f32_e32 v7, v10
	v_cvt_f16_f32_e32 v10, v62
	v_mov_b32_e32 v62, s55
	v_pack_b32_f16 v7, v7, v10
	v_cvt_f16_f32_e32 v10, v14
	v_cvt_f16_f32_e32 v14, v60
	v_pack_b32_f16 v10, v10, v11
	v_cvt_f16_f32_e32 v11, v59
	v_pack_b32_f16 v11, v11, v14
	v_add_co_u32_e32 v14, vcc, s43, v44
	v_addc_co_u32_e32 v55, vcc, v55, v45, vcc
	v_add_co_u32_e32 v14, vcc, v14, v24
	v_addc_co_u32_e32 v55, vcc, 0, v55, vcc
	v_cndmask_b32_e64 v59, v62, v55, s[64:65]
	v_mov_b32_e32 v55, s54
	v_cndmask_b32_e64 v58, v55, v14, s[64:65]
	flat_load_dwordx4 v[58:61], v[58:59]
	v_add_co_u32_e32 v14, vcc, s43, v46
	s_waitcnt vmcnt(0) lgkmcnt(0)
	ds_write_b128 v126, v[58:61]
	v_mov_b32_e32 v58, s42
	v_addc_co_u32_e32 v58, vcc, v58, v47, vcc
	v_add_co_u32_e32 v14, vcc, v14, v24
	v_addc_co_u32_e32 v24, vcc, 0, v58, vcc
	v_cndmask_b32_e64 v59, v62, v24, s[62:63]
	v_cndmask_b32_e64 v58, v55, v14, s[62:63]
	flat_load_dwordx4 v[58:61], v[58:59]
	s_waitcnt vmcnt(0) lgkmcnt(0)
	ds_write_b128 v127, v[58:61]
	s_waitcnt lgkmcnt(0)
	s_barrier
	ds_read_u16 v14, v118 offset:352
	v_cvt_f32_f16_e32 v60, v8
	v_cvt_f32_f16_sdwa v61, v8 dst_sel:DWORD dst_unused:UNUSED_PAD src0_sel:WORD_1
	ds_read_u16 v8, v119
	ds_read_u16 v24, v119 offset:32
	v_cvt_f32_f16_e32 v58, v9
	v_cvt_f32_f16_sdwa v59, v9 dst_sel:DWORD dst_unused:UNUSED_PAD src0_sel:WORD_1
	s_waitcnt lgkmcnt(1)
	v_perm_b32 v9, v8, v14, s56
	ds_read_u16 v8, v138
	ds_read_u16 v14, v138 offset:32
	ds_read_u16 v55, v118 offset:176
	;; [unrolled: 1-line block ×7, first 2 shown]
	s_waitcnt lgkmcnt(5)
	v_perm_b32 v8, v55, v8, s56
	s_nop 1
	v_mfma_f32_16x16x16f16 v[58:61], v[8:9], v[10:11], v[58:61]
	s_nop 7
	s_nop 2
	v_cvt_f16_f32_e32 v8, v58
	v_cvt_f16_f32_e32 v9, v59
	;; [unrolled: 1-line block ×4, first 2 shown]
	v_cvt_f32_f16_e32 v58, v8
	v_cvt_f32_f16_e32 v59, v9
	s_waitcnt lgkmcnt(0)
	v_perm_b32 v9, v66, v65, s56
	v_perm_b32 v8, v64, v63, s56
	v_cvt_f32_f16_e32 v60, v55
	v_cvt_f32_f16_e32 v61, v61
	ds_read_u16 v63, v138 offset:5632
	ds_read_u16 v64, v118 offset:5808
	;; [unrolled: 1-line block ×4, first 2 shown]
	v_mfma_f32_16x16x16f16 v[58:61], v[8:9], v[6:7], v[58:61]
	s_nop 7
	s_nop 2
	v_cvt_f16_f32_e32 v8, v58
	v_cvt_f16_f32_e32 v9, v59
	;; [unrolled: 1-line block ×4, first 2 shown]
	v_cvt_f32_f16_e32 v58, v8
	v_cvt_f32_f16_e32 v59, v9
	s_waitcnt lgkmcnt(0)
	v_perm_b32 v9, v66, v65, s56
	v_perm_b32 v8, v64, v63, s56
	v_cvt_f32_f16_e32 v60, v55
	v_cvt_f32_f16_e32 v61, v61
	ds_read_u16 v63, v138 offset:8448
	ds_read_u16 v64, v118 offset:8624
	;; [unrolled: 1-line block ×4, first 2 shown]
	v_mfma_f32_16x16x16f16 v[58:61], v[8:9], v[4:5], v[58:61]
	s_nop 7
	s_nop 2
	v_cvt_f16_f32_e32 v8, v58
	v_cvt_f16_f32_e32 v9, v59
	;; [unrolled: 1-line block ×4, first 2 shown]
	v_cvt_f32_f16_e32 v58, v8
	v_cvt_f32_f16_e32 v59, v9
	s_waitcnt lgkmcnt(0)
	v_perm_b32 v9, v66, v65, s56
	v_perm_b32 v8, v64, v63, s56
	v_cvt_f32_f16_e32 v60, v55
	v_cvt_f32_f16_e32 v61, v61
	s_nop 1
	v_mfma_f32_16x16x16f16 v[58:61], v[8:9], v[2:3], v[58:61]
	s_nop 7
	s_nop 2
	v_cvt_f16_f32_e32 v8, v58
	v_cvt_f16_f32_e32 v9, v59
	;; [unrolled: 1-line block ×4, first 2 shown]
	v_cvt_f32_f16_sdwa v59, v13 dst_sel:DWORD dst_unused:UNUSED_PAD src0_sel:WORD_1
	v_pack_b32_f16 v8, v8, v9
	v_cvt_f32_f16_e32 v60, v12
	v_pack_b32_f16 v9, v55, v58
	ds_read_u16 v55, v139 offset:352
	v_cvt_f32_f16_e32 v58, v13
	v_cvt_f32_f16_sdwa v61, v12 dst_sel:DWORD dst_unused:UNUSED_PAD src0_sel:WORD_1
	v_perm_b32 v12, v62, v14, s56
	s_waitcnt lgkmcnt(0)
	v_perm_b32 v13, v24, v55, s56
	ds_read_u16 v55, v138 offset:2848
	ds_read_u16 v62, v118 offset:3024
	ds_read_u16 v63, v123 offset:352
	ds_read_u16 v64, v119 offset:2848
	v_mfma_f32_16x16x16f16 v[58:61], v[12:13], v[10:11], v[58:61]
	s_nop 7
	s_nop 2
	v_cvt_f16_f32_e32 v12, v58
	v_cvt_f16_f32_e32 v13, v59
	v_cvt_f16_f32_e32 v14, v60
	v_cvt_f16_f32_e32 v24, v61
	v_cvt_f32_f16_e32 v58, v12
	v_cvt_f32_f16_e32 v59, v13
	s_waitcnt lgkmcnt(0)
	v_perm_b32 v13, v64, v63, s56
	v_perm_b32 v12, v62, v55, s56
	v_cvt_f32_f16_e32 v60, v14
	v_cvt_f32_f16_e32 v61, v24
	ds_read_u16 v55, v138 offset:5664
	ds_read_u16 v62, v118 offset:5840
	ds_read_u16 v63, v124 offset:352
	ds_read_u16 v64, v119 offset:5664
	v_mfma_f32_16x16x16f16 v[58:61], v[12:13], v[6:7], v[58:61]
	s_nop 7
	s_nop 2
	v_cvt_f16_f32_e32 v12, v58
	v_cvt_f16_f32_e32 v13, v59
	v_cvt_f16_f32_e32 v14, v60
	v_cvt_f16_f32_e32 v24, v61
	v_cvt_f32_f16_e32 v58, v12
	v_cvt_f32_f16_e32 v59, v13
	s_waitcnt lgkmcnt(0)
	v_perm_b32 v13, v64, v63, s56
	v_perm_b32 v12, v62, v55, s56
	v_cvt_f32_f16_e32 v60, v14
	v_cvt_f32_f16_e32 v61, v24
	;; [unrolled: 18-line block ×3, first 2 shown]
	s_nop 1
	v_mfma_f32_16x16x16f16 v[58:61], v[12:13], v[2:3], v[58:61]
	s_nop 7
	s_nop 2
	v_cvt_f16_f32_e32 v12, v58
	v_cvt_f16_f32_e32 v13, v59
	;; [unrolled: 1-line block ×4, first 2 shown]
	v_cvt_f32_f16_e32 v60, v15
	v_pack_b32_f16 v12, v12, v13
	v_cvt_f32_f16_sdwa v61, v15 dst_sel:DWORD dst_unused:UNUSED_PAD src0_sel:WORD_1
	v_pack_b32_f16 v13, v14, v24
	ds_read_u16 v14, v138 offset:64
	ds_read_u16 v24, v118 offset:240
	;; [unrolled: 1-line block ×4, first 2 shown]
	v_cvt_f32_f16_e32 v58, v25
	v_cvt_f32_f16_sdwa v59, v25 dst_sel:DWORD dst_unused:UNUSED_PAD src0_sel:WORD_1
	s_waitcnt lgkmcnt(2)
	v_perm_b32 v14, v24, v14, s56
	s_waitcnt lgkmcnt(0)
	v_perm_b32 v15, v62, v55, s56
	ds_read_u16 v55, v138 offset:2880
	ds_read_u16 v62, v118 offset:3056
	ds_read_u16 v63, v130 offset:352
	ds_read_u16 v64, v119 offset:2880
	v_mfma_f32_16x16x16f16 v[58:61], v[14:15], v[10:11], v[58:61]
	s_nop 7
	s_nop 2
	v_cvt_f16_f32_e32 v14, v58
	v_cvt_f16_f32_e32 v15, v59
	v_cvt_f16_f32_e32 v24, v60
	v_cvt_f16_f32_e32 v25, v61
	v_cvt_f32_f16_e32 v58, v14
	v_cvt_f32_f16_e32 v59, v15
	s_waitcnt lgkmcnt(0)
	v_perm_b32 v15, v64, v63, s56
	v_perm_b32 v14, v62, v55, s56
	v_cvt_f32_f16_e32 v60, v24
	v_cvt_f32_f16_e32 v61, v25
	ds_read_u16 v55, v138 offset:5696
	ds_read_u16 v62, v118 offset:5872
	ds_read_u16 v63, v134 offset:352
	ds_read_u16 v64, v119 offset:5696
	v_mfma_f32_16x16x16f16 v[58:61], v[14:15], v[6:7], v[58:61]
	s_nop 7
	s_nop 2
	v_cvt_f16_f32_e32 v14, v58
	v_cvt_f16_f32_e32 v15, v59
	v_cvt_f16_f32_e32 v24, v60
	v_cvt_f16_f32_e32 v25, v61
	v_cvt_f32_f16_e32 v58, v14
	v_cvt_f32_f16_e32 v59, v15
	s_waitcnt lgkmcnt(0)
	v_perm_b32 v15, v64, v63, s56
	v_perm_b32 v14, v62, v55, s56
	v_cvt_f32_f16_e32 v60, v24
	v_cvt_f32_f16_e32 v61, v25
	;; [unrolled: 18-line block ×3, first 2 shown]
	s_nop 1
	v_mfma_f32_16x16x16f16 v[58:61], v[14:15], v[2:3], v[58:61]
	s_nop 7
	s_nop 2
	v_cvt_f16_f32_e32 v14, v58
	v_cvt_f16_f32_e32 v15, v59
	;; [unrolled: 1-line block ×4, first 2 shown]
	v_cvt_f32_f16_e32 v58, v17
	v_pack_b32_f16 v14, v14, v15
	v_cvt_f32_f16_sdwa v59, v17 dst_sel:DWORD dst_unused:UNUSED_PAD src0_sel:WORD_1
	v_pack_b32_f16 v15, v24, v25
	ds_read_u16 v24, v138 offset:96
	ds_read_u16 v25, v118 offset:272
	;; [unrolled: 1-line block ×4, first 2 shown]
	v_cvt_f32_f16_e32 v60, v16
	v_cvt_f32_f16_sdwa v61, v16 dst_sel:DWORD dst_unused:UNUSED_PAD src0_sel:WORD_1
	s_waitcnt lgkmcnt(2)
	v_perm_b32 v16, v25, v24, s56
	s_waitcnt lgkmcnt(0)
	v_perm_b32 v17, v62, v55, s56
	ds_read_u16 v55, v138 offset:2912
	ds_read_u16 v62, v118 offset:3088
	ds_read_u16 v63, v143 offset:352
	ds_read_u16 v64, v119 offset:2912
	v_mfma_f32_16x16x16f16 v[58:61], v[16:17], v[10:11], v[58:61]
	s_nop 7
	s_nop 2
	v_cvt_f16_f32_e32 v16, v58
	v_cvt_f16_f32_e32 v17, v59
	v_cvt_f16_f32_e32 v24, v60
	v_cvt_f16_f32_e32 v25, v61
	v_cvt_f32_f16_e32 v58, v16
	v_cvt_f32_f16_e32 v59, v17
	s_waitcnt lgkmcnt(0)
	v_perm_b32 v17, v64, v63, s56
	v_perm_b32 v16, v62, v55, s56
	v_cvt_f32_f16_e32 v60, v24
	v_cvt_f32_f16_e32 v61, v25
	ds_read_u16 v55, v138 offset:5728
	ds_read_u16 v62, v118 offset:5904
	ds_read_u16 v63, v144 offset:352
	ds_read_u16 v64, v119 offset:5728
	v_mfma_f32_16x16x16f16 v[58:61], v[16:17], v[6:7], v[58:61]
	s_nop 7
	s_nop 2
	v_cvt_f16_f32_e32 v16, v58
	v_cvt_f16_f32_e32 v17, v59
	v_cvt_f16_f32_e32 v24, v60
	v_cvt_f16_f32_e32 v25, v61
	v_cvt_f32_f16_e32 v58, v16
	v_cvt_f32_f16_e32 v59, v17
	s_waitcnt lgkmcnt(0)
	v_perm_b32 v17, v64, v63, s56
	v_perm_b32 v16, v62, v55, s56
	v_cvt_f32_f16_e32 v60, v24
	v_cvt_f32_f16_e32 v61, v25
	;; [unrolled: 18-line block ×3, first 2 shown]
	s_nop 1
	v_mfma_f32_16x16x16f16 v[58:61], v[16:17], v[2:3], v[58:61]
	s_nop 7
	s_nop 2
	v_cvt_f16_f32_e32 v16, v58
	v_cvt_f16_f32_e32 v17, v59
	v_cvt_f16_f32_e32 v24, v60
	v_cvt_f16_f32_e32 v25, v61
	v_cvt_f32_f16_e32 v58, v23
	v_pack_b32_f16 v16, v16, v17
	v_cvt_f32_f16_sdwa v59, v23 dst_sel:DWORD dst_unused:UNUSED_PAD src0_sel:WORD_1
	v_pack_b32_f16 v17, v24, v25
	ds_read_u16 v24, v138 offset:128
	ds_read_u16 v55, v118 offset:304
	;; [unrolled: 1-line block ×4, first 2 shown]
	v_cvt_f32_f16_e32 v60, v19
	v_cvt_f32_f16_sdwa v61, v19 dst_sel:DWORD dst_unused:UNUSED_PAD src0_sel:WORD_1
	s_waitcnt lgkmcnt(2)
	v_perm_b32 v24, v55, v24, s56
	s_waitcnt lgkmcnt(0)
	v_perm_b32 v25, v62, v25, s56
	s_nop 1
	v_mfma_f32_16x16x16f16 v[58:61], v[24:25], v[10:11], v[58:61]
	ds_read_u16 v24, v138 offset:2944
	ds_read_u16 v25, v118 offset:3120
	;; [unrolled: 1-line block ×4, first 2 shown]
	s_nop 6
	v_cvt_f16_f32_e32 v10, v58
	v_cvt_f16_f32_e32 v11, v59
	;; [unrolled: 1-line block ×4, first 2 shown]
	v_cvt_f32_f16_e32 v58, v10
	v_cvt_f32_f16_e32 v59, v11
	s_waitcnt lgkmcnt(0)
	v_perm_b32 v11, v62, v55, s56
	v_perm_b32 v10, v25, v24, s56
	v_cvt_f32_f16_e32 v60, v19
	v_cvt_f32_f16_e32 v61, v23
	ds_read_u16 v19, v138 offset:5760
	ds_read_u16 v23, v118 offset:5936
	;; [unrolled: 1-line block ×4, first 2 shown]
	v_mfma_f32_16x16x16f16 v[58:61], v[10:11], v[6:7], v[58:61]
	s_nop 7
	s_nop 2
	v_cvt_f16_f32_e32 v6, v58
	v_cvt_f16_f32_e32 v7, v59
	;; [unrolled: 1-line block ×4, first 2 shown]
	v_cvt_f32_f16_e32 v58, v6
	v_cvt_f32_f16_e32 v59, v7
	s_waitcnt lgkmcnt(0)
	v_perm_b32 v7, v25, v24, s56
	v_perm_b32 v6, v23, v19, s56
	v_cvt_f32_f16_e32 v60, v10
	v_cvt_f32_f16_e32 v61, v11
	s_nop 1
	v_mfma_f32_16x16x16f16 v[58:61], v[6:7], v[4:5], v[58:61]
	ds_read_u16 v4, v138 offset:8576
	ds_read_u16 v11, v118 offset:8752
	;; [unrolled: 1-line block ×4, first 2 shown]
	s_waitcnt lgkmcnt(0)
	s_barrier
	v_perm_b32 v4, v11, v4, s56
	s_nop 3
	v_cvt_f16_f32_e32 v5, v58
	v_cvt_f16_f32_e32 v6, v59
	;; [unrolled: 1-line block ×4, first 2 shown]
	v_cvt_f32_f16_e32 v58, v5
	v_perm_b32 v5, v23, v19, s56
	v_cvt_f32_f16_e32 v59, v6
	v_cvt_f32_f16_e32 v60, v7
	;; [unrolled: 1-line block ×3, first 2 shown]
	s_nop 1
	v_mfma_f32_16x16x16f16 v[2:5], v[4:5], v[2:3], v[58:61]
	s_nop 7
	s_nop 2
	v_cvt_f16_f32_e32 v2, v2
	v_cvt_f16_f32_e32 v3, v3
	;; [unrolled: 1-line block ×4, first 2 shown]
	v_pack_b32_f16 v2, v2, v3
	v_pack_b32_f16 v3, v4, v5
	ds_bpermute_b32 v4, v21, v22
	s_waitcnt lgkmcnt(0)
	v_add_f32_e32 v4, v22, v4
	ds_bpermute_b32 v5, v20, v4
	s_waitcnt lgkmcnt(0)
	v_add_f32_e32 v19, v4, v5
	s_cbranch_scc0 .LBB9_111
; %bb.110:                              ;   in Loop: Header=BB9_13 Depth=1
	global_load_dword v5, v175, s[78:79]
	v_max_f32_e32 v4, v18, v18
	s_mov_b64 s[46:47], 0
	s_waitcnt vmcnt(0)
	v_max_f32_e32 v6, v5, v5
	v_max_f32_e32 v4, v4, v6
	v_sub_f32_e32 v6, v18, v4
	v_sub_f32_e32 v5, v5, v4
	v_mul_f32_e32 v7, 0x3fb8aa3b, v6
	v_mul_f32_e32 v10, 0x3fb8aa3b, v5
	v_fma_f32 v11, v6, s58, -v7
	v_rndne_f32_e32 v20, v7
	v_fma_f32 v21, v5, s58, -v10
	v_rndne_f32_e32 v22, v10
	v_fmac_f32_e32 v11, 0x32a5705f, v6
	v_sub_f32_e32 v7, v7, v20
	v_fmac_f32_e32 v21, 0x32a5705f, v5
	v_sub_f32_e32 v10, v10, v22
	v_add_f32_e32 v7, v7, v11
	v_cvt_i32_f32_e32 v20, v20
	v_add_f32_e32 v10, v10, v21
	v_exp_f32_e32 v7, v7
	v_cvt_i32_f32_e32 v22, v22
	v_exp_f32_e32 v10, v10
	v_cmp_ngt_f32_e32 vcc, s59, v6
	v_ldexp_f32 v7, v7, v20
	v_cndmask_b32_e32 v7, 0, v7, vcc
	v_ldexp_f32 v10, v10, v22
	v_cmp_ngt_f32_e32 vcc, s59, v5
	v_cndmask_b32_e32 v10, 0, v10, vcc
	v_cmp_nlt_f32_e32 vcc, s49, v6
	v_cndmask_b32_e32 v7, v223, v7, vcc
	v_cmp_le_f32_e32 vcc, s88, v6
	v_cndmask_b32_e32 v6, 0, v7, vcc
	v_cvt_f16_f32_e32 v25, v6
	v_cmp_nlt_f32_e32 vcc, s49, v5
	v_cndmask_b32_e32 v5, v223, v10, vcc
	v_fmac_f32_e32 v5, v19, v6
	v_pk_mul_f16 v6, v25, v8 op_sel_hi:[0,1]
	v_pk_mul_f16 v7, v25, v9 op_sel_hi:[0,1]
	;; [unrolled: 1-line block ×10, first 2 shown]
	s_branch .LBB9_112
.LBB9_111:                              ;   in Loop: Header=BB9_13 Depth=1
	s_mov_b64 s[46:47], -1
                                        ; implicit-def: $vgpr4_vgpr5
                                        ; implicit-def: $vgpr24_vgpr25
                                        ; implicit-def: $vgpr22_vgpr23
                                        ; implicit-def: $vgpr20_vgpr21
                                        ; implicit-def: $vgpr6_vgpr7
                                        ; implicit-def: $vgpr10_vgpr11
.LBB9_112:                              ;   in Loop: Header=BB9_13 Depth=1
	v_readlane_b32 s52, v254, 35
	s_andn2_b64 vcc, exec, s[46:47]
	s_cbranch_vccnz .LBB9_114
; %bb.113:                              ;   in Loop: Header=BB9_13 Depth=1
	v_pk_mov_b32 v[10:11], v[12:13], v[12:13] op_sel:[0,1]
	v_pk_mov_b32 v[6:7], v[8:9], v[8:9] op_sel:[0,1]
	;; [unrolled: 1-line block ×6, first 2 shown]
.LBB9_114:                              ;   in Loop: Header=BB9_13 Depth=1
	s_barrier
	s_mov_b64 s[46:47], exec
	v_readlane_b32 s42, v254, 20
	v_readlane_b32 s43, v254, 21
	s_and_b64 s[42:43], s[46:47], s[42:43]
	s_mov_b64 exec, s[42:43]
	s_cbranch_execz .LBB9_116
; %bb.115:                              ;   in Loop: Header=BB9_13 Depth=1
	global_store_dwordx2 v[36:37], v[4:5], off
.LBB9_116:                              ;   in Loop: Header=BB9_13 Depth=1
	s_or_b64 exec, exec, s[46:47]
	v_mov_b32_e32 v2, 50
	ds_write2_b32 v107, v6, v7 offset1:1
	ds_write2_b32 v107, v10, v11 offset0:8 offset1:9
	ds_write2_b32 v107, v20, v21 offset0:16 offset1:17
	;; [unrolled: 1-line block ×4, first 2 shown]
	s_waitcnt lgkmcnt(0)
	s_barrier
	s_mov_b64 s[46:47], exec
	v_readlane_b32 s42, v254, 61
	v_readlane_b32 s43, v254, 62
	s_and_b64 s[42:43], s[46:47], s[42:43]
	s_mov_b64 exec, s[42:43]
	s_cbranch_execz .LBB9_118
; %bb.117:                              ;   in Loop: Header=BB9_13 Depth=1
	ds_read_b32 v4, v150
	v_readlane_b32 s42, v254, 10
	v_mad_u64_u32 v[2:3], s[42:43], v98, s42, v[42:43]
	v_ashrrev_i32_e32 v3, 31, v2
	s_waitcnt lgkmcnt(0)
	v_cvt_f32_f16_sdwa v5, v4 dst_sel:DWORD dst_unused:UNUSED_PAD src0_sel:WORD_1
	v_cvt_f32_f16_e32 v4, v4
	v_lshlrev_b64 v[2:3], 3, v[2:3]
	v_readlane_b32 s42, v254, 24
	v_mov_b32_e32 v6, s42
	v_add_co_u32_e32 v2, vcc, s52, v2
	v_addc_co_u32_e32 v3, vcc, v6, v3, vcc
	v_pk_add_f32 v[4:5], v[4:5], 0 op_sel_hi:[1,0]
	global_store_dwordx2 v[2:3], v[4:5], off
	v_mov_b32_e32 v2, 0
.LBB9_118:                              ;   in Loop: Header=BB9_13 Depth=1
	s_or_b64 exec, exec, s[46:47]
	v_cmp_gt_i32_e32 vcc, 50, v2
	s_mov_b64 s[46:47], -1
	s_and_saveexec_b64 s[42:43], vcc
; %bb.119:                              ;   in Loop: Header=BB9_13 Depth=1
	v_cmp_eq_u32_e32 vcc, 0, v2
	s_orn2_b64 s[46:47], vcc, exec
; %bb.120:                              ;   in Loop: Header=BB9_13 Depth=1
	s_or_b64 exec, exec, s[42:43]
	s_and_saveexec_b64 s[42:43], s[46:47]
	s_cbranch_execz .LBB9_153
; %bb.121:                              ;   in Loop: Header=BB9_13 Depth=1
	v_mov_b32_e32 v2, 50
	s_mov_b64 s[46:47], exec
	v_readlane_b32 s62, v254, 63
	v_readlane_b32 s63, v255, 0
	s_and_b64 s[62:63], s[46:47], s[62:63]
	s_mov_b64 exec, s[62:63]
	s_cbranch_execz .LBB9_123
; %bb.122:                              ;   in Loop: Header=BB9_13 Depth=1
	ds_read_b32 v4, v150 offset:1408
	v_readlane_b32 s52, v254, 10
	v_mad_u64_u32 v[2:3], s[62:63], v97, s52, v[42:43]
	v_ashrrev_i32_e32 v3, 31, v2
	s_waitcnt lgkmcnt(0)
	v_cvt_f32_f16_sdwa v5, v4 dst_sel:DWORD dst_unused:UNUSED_PAD src0_sel:WORD_1
	v_cvt_f32_f16_e32 v4, v4
	v_readlane_b32 s52, v254, 35
	v_lshlrev_b64 v[2:3], 3, v[2:3]
	v_readlane_b32 s62, v254, 24
	v_mov_b32_e32 v6, s62
	v_add_co_u32_e32 v2, vcc, s52, v2
	v_addc_co_u32_e32 v3, vcc, v6, v3, vcc
	v_pk_add_f32 v[4:5], v[4:5], 0 op_sel_hi:[1,0]
	global_store_dwordx2 v[2:3], v[4:5], off
	v_mov_b32_e32 v2, 0
.LBB9_123:                              ;   in Loop: Header=BB9_13 Depth=1
	s_or_b64 exec, exec, s[46:47]
	v_cmp_gt_i32_e32 vcc, 50, v2
	s_mov_b64 s[46:47], -1
	s_and_saveexec_b64 s[62:63], vcc
; %bb.124:                              ;   in Loop: Header=BB9_13 Depth=1
	v_cmp_eq_u32_e32 vcc, 0, v2
	s_orn2_b64 s[46:47], vcc, exec
; %bb.125:                              ;   in Loop: Header=BB9_13 Depth=1
	s_or_b64 exec, exec, s[62:63]
	s_and_b64 exec, exec, s[46:47]
	s_cbranch_execz .LBB9_153
; %bb.126:                              ;   in Loop: Header=BB9_13 Depth=1
	v_mov_b32_e32 v2, 50
	s_mov_b64 s[46:47], exec
	v_readlane_b32 s62, v255, 1
	v_readlane_b32 s63, v255, 2
	s_and_b64 s[62:63], s[46:47], s[62:63]
	s_mov_b64 exec, s[62:63]
	s_cbranch_execz .LBB9_128
; %bb.127:                              ;   in Loop: Header=BB9_13 Depth=1
	ds_read_b32 v4, v152
	v_readlane_b32 s52, v254, 10
	v_mad_u64_u32 v[2:3], s[62:63], v96, s52, v[42:43]
	v_ashrrev_i32_e32 v3, 31, v2
	s_waitcnt lgkmcnt(0)
	v_cvt_f32_f16_sdwa v5, v4 dst_sel:DWORD dst_unused:UNUSED_PAD src0_sel:WORD_1
	v_cvt_f32_f16_e32 v4, v4
	v_readlane_b32 s52, v254, 35
	v_lshlrev_b64 v[2:3], 3, v[2:3]
	v_readlane_b32 s62, v254, 24
	v_mov_b32_e32 v6, s62
	v_add_co_u32_e32 v2, vcc, s52, v2
	v_addc_co_u32_e32 v3, vcc, v6, v3, vcc
	v_pk_add_f32 v[4:5], v[4:5], 0 op_sel_hi:[1,0]
	global_store_dwordx2 v[2:3], v[4:5], off
	v_mov_b32_e32 v2, 0
.LBB9_128:                              ;   in Loop: Header=BB9_13 Depth=1
	s_or_b64 exec, exec, s[46:47]
	v_cmp_gt_i32_e32 vcc, 50, v2
	s_mov_b64 s[46:47], -1
	s_and_saveexec_b64 s[62:63], vcc
; %bb.129:                              ;   in Loop: Header=BB9_13 Depth=1
	v_cmp_eq_u32_e32 vcc, 0, v2
	s_orn2_b64 s[46:47], vcc, exec
; %bb.130:                              ;   in Loop: Header=BB9_13 Depth=1
	s_or_b64 exec, exec, s[62:63]
	s_and_b64 exec, exec, s[46:47]
	s_cbranch_execz .LBB9_153
; %bb.131:                              ;   in Loop: Header=BB9_13 Depth=1
	v_mov_b32_e32 v2, 50
	s_mov_b64 s[46:47], exec
	v_readlane_b32 s62, v255, 3
	v_readlane_b32 s63, v255, 4
	s_and_b64 s[62:63], s[46:47], s[62:63]
	s_mov_b64 exec, s[62:63]
	s_cbranch_execz .LBB9_133
; %bb.132:                              ;   in Loop: Header=BB9_13 Depth=1
	ds_read_b32 v4, v150 offset:4224
	v_readlane_b32 s52, v254, 10
	v_mad_u64_u32 v[2:3], s[62:63], v95, s52, v[42:43]
	v_ashrrev_i32_e32 v3, 31, v2
	s_waitcnt lgkmcnt(0)
	v_cvt_f32_f16_sdwa v5, v4 dst_sel:DWORD dst_unused:UNUSED_PAD src0_sel:WORD_1
	v_cvt_f32_f16_e32 v4, v4
	v_readlane_b32 s52, v254, 35
	v_lshlrev_b64 v[2:3], 3, v[2:3]
	v_readlane_b32 s62, v254, 24
	v_mov_b32_e32 v6, s62
	v_add_co_u32_e32 v2, vcc, s52, v2
	v_addc_co_u32_e32 v3, vcc, v6, v3, vcc
	v_pk_add_f32 v[4:5], v[4:5], 0 op_sel_hi:[1,0]
	global_store_dwordx2 v[2:3], v[4:5], off
	v_mov_b32_e32 v2, 0
.LBB9_133:                              ;   in Loop: Header=BB9_13 Depth=1
	s_or_b64 exec, exec, s[46:47]
	v_cmp_gt_i32_e32 vcc, 50, v2
	s_mov_b64 s[46:47], -1
	s_and_saveexec_b64 s[62:63], vcc
; %bb.134:                              ;   in Loop: Header=BB9_13 Depth=1
	v_cmp_eq_u32_e32 vcc, 0, v2
	s_orn2_b64 s[46:47], vcc, exec
; %bb.135:                              ;   in Loop: Header=BB9_13 Depth=1
	s_or_b64 exec, exec, s[62:63]
	s_and_b64 exec, exec, s[46:47]
	s_cbranch_execz .LBB9_153
; %bb.136:                              ;   in Loop: Header=BB9_13 Depth=1
	v_mov_b32_e32 v2, 50
	s_mov_b64 s[46:47], exec
	v_readlane_b32 s62, v255, 5
	v_readlane_b32 s63, v255, 6
	s_and_b64 s[62:63], s[46:47], s[62:63]
	s_mov_b64 exec, s[62:63]
	s_cbranch_execz .LBB9_138
; %bb.137:                              ;   in Loop: Header=BB9_13 Depth=1
	ds_read_b32 v4, v154
	v_readlane_b32 s52, v254, 10
	v_mad_u64_u32 v[2:3], s[62:63], v94, s52, v[42:43]
	v_ashrrev_i32_e32 v3, 31, v2
	s_waitcnt lgkmcnt(0)
	v_cvt_f32_f16_sdwa v5, v4 dst_sel:DWORD dst_unused:UNUSED_PAD src0_sel:WORD_1
	v_cvt_f32_f16_e32 v4, v4
	v_readlane_b32 s52, v254, 35
	v_lshlrev_b64 v[2:3], 3, v[2:3]
	v_readlane_b32 s62, v254, 24
	v_mov_b32_e32 v6, s62
	v_add_co_u32_e32 v2, vcc, s52, v2
	v_addc_co_u32_e32 v3, vcc, v6, v3, vcc
	v_pk_add_f32 v[4:5], v[4:5], 0 op_sel_hi:[1,0]
	global_store_dwordx2 v[2:3], v[4:5], off
	v_mov_b32_e32 v2, 0
.LBB9_138:                              ;   in Loop: Header=BB9_13 Depth=1
	s_or_b64 exec, exec, s[46:47]
	v_cmp_gt_i32_e32 vcc, 50, v2
	s_mov_b64 s[46:47], -1
	s_and_saveexec_b64 s[62:63], vcc
; %bb.139:                              ;   in Loop: Header=BB9_13 Depth=1
	v_cmp_eq_u32_e32 vcc, 0, v2
	s_orn2_b64 s[46:47], vcc, exec
; %bb.140:                              ;   in Loop: Header=BB9_13 Depth=1
	s_or_b64 exec, exec, s[62:63]
	s_and_b64 exec, exec, s[46:47]
	s_cbranch_execz .LBB9_153
; %bb.141:                              ;   in Loop: Header=BB9_13 Depth=1
	v_mov_b32_e32 v2, 50
	s_mov_b64 s[46:47], exec
	v_readlane_b32 s62, v255, 7
	v_readlane_b32 s63, v255, 8
	s_and_b64 s[62:63], s[46:47], s[62:63]
	s_mov_b64 exec, s[62:63]
	s_cbranch_execz .LBB9_143
; %bb.142:                              ;   in Loop: Header=BB9_13 Depth=1
	ds_read_b32 v4, v150 offset:7040
	v_readlane_b32 s52, v254, 10
	v_mad_u64_u32 v[2:3], s[62:63], v31, s52, v[42:43]
	v_ashrrev_i32_e32 v3, 31, v2
	s_waitcnt lgkmcnt(0)
	v_cvt_f32_f16_sdwa v5, v4 dst_sel:DWORD dst_unused:UNUSED_PAD src0_sel:WORD_1
	v_cvt_f32_f16_e32 v4, v4
	v_readlane_b32 s52, v254, 35
	v_lshlrev_b64 v[2:3], 3, v[2:3]
	v_readlane_b32 s62, v254, 24
	v_mov_b32_e32 v6, s62
	v_add_co_u32_e32 v2, vcc, s52, v2
	v_addc_co_u32_e32 v3, vcc, v6, v3, vcc
	v_pk_add_f32 v[4:5], v[4:5], 0 op_sel_hi:[1,0]
	global_store_dwordx2 v[2:3], v[4:5], off
	v_mov_b32_e32 v2, 0
.LBB9_143:                              ;   in Loop: Header=BB9_13 Depth=1
	s_or_b64 exec, exec, s[46:47]
	v_cmp_gt_i32_e32 vcc, 50, v2
	s_mov_b64 s[46:47], -1
	s_and_saveexec_b64 s[62:63], vcc
; %bb.144:                              ;   in Loop: Header=BB9_13 Depth=1
	v_cmp_eq_u32_e32 vcc, 0, v2
	s_orn2_b64 s[46:47], vcc, exec
; %bb.145:                              ;   in Loop: Header=BB9_13 Depth=1
	s_or_b64 exec, exec, s[62:63]
	s_and_b64 exec, exec, s[46:47]
	s_cbranch_execz .LBB9_153
; %bb.146:                              ;   in Loop: Header=BB9_13 Depth=1
	v_mov_b32_e32 v2, 50
	s_mov_b64 s[46:47], exec
	v_readlane_b32 s62, v255, 9
	v_readlane_b32 s63, v255, 10
	s_and_b64 s[62:63], s[46:47], s[62:63]
	s_mov_b64 exec, s[62:63]
	s_cbranch_execz .LBB9_148
; %bb.147:                              ;   in Loop: Header=BB9_13 Depth=1
	buffer_load_dword v2, off, s[0:3], 0 offset:20 ; 4-byte Folded Reload
	v_readlane_b32 s52, v254, 10
	s_waitcnt vmcnt(0)
	ds_read_b32 v4, v2
	v_mad_u64_u32 v[2:3], s[62:63], v27, s52, v[42:43]
	v_ashrrev_i32_e32 v3, 31, v2
	v_readlane_b32 s52, v254, 35
	s_waitcnt lgkmcnt(0)
	v_cvt_f32_f16_sdwa v5, v4 dst_sel:DWORD dst_unused:UNUSED_PAD src0_sel:WORD_1
	v_cvt_f32_f16_e32 v4, v4
	v_lshlrev_b64 v[2:3], 3, v[2:3]
	v_readlane_b32 s62, v254, 24
	v_mov_b32_e32 v6, s62
	v_add_co_u32_e32 v2, vcc, s52, v2
	v_addc_co_u32_e32 v3, vcc, v6, v3, vcc
	v_pk_add_f32 v[4:5], v[4:5], 0 op_sel_hi:[1,0]
	global_store_dwordx2 v[2:3], v[4:5], off
	v_mov_b32_e32 v2, 0
.LBB9_148:                              ;   in Loop: Header=BB9_13 Depth=1
	s_or_b64 exec, exec, s[46:47]
	v_cmp_gt_i32_e32 vcc, 50, v2
	s_mov_b64 s[46:47], -1
	s_and_saveexec_b64 s[62:63], vcc
; %bb.149:                              ;   in Loop: Header=BB9_13 Depth=1
	v_cmp_eq_u32_e32 vcc, 0, v2
	s_orn2_b64 s[46:47], vcc, exec
; %bb.150:                              ;   in Loop: Header=BB9_13 Depth=1
	s_or_b64 exec, exec, s[62:63]
	s_and_b64 exec, exec, s[46:47]
	s_cbranch_execz .LBB9_153
; %bb.151:                              ;   in Loop: Header=BB9_13 Depth=1
	v_readlane_b32 s46, v255, 11
	v_readlane_b32 s47, v255, 12
	s_and_b64 exec, exec, s[46:47]
	s_cbranch_execz .LBB9_153
; %bb.152:                              ;   in Loop: Header=BB9_13 Depth=1
	ds_read_b32 v4, v150 offset:9856
	v_readlane_b32 s46, v254, 10
	v_mad_u64_u32 v[2:3], s[46:47], v1, s46, v[42:43]
	v_ashrrev_i32_e32 v3, 31, v2
	s_waitcnt lgkmcnt(0)
	v_cvt_f32_f16_sdwa v5, v4 dst_sel:DWORD dst_unused:UNUSED_PAD src0_sel:WORD_1
	v_cvt_f32_f16_e32 v4, v4
	v_lshlrev_b64 v[2:3], 3, v[2:3]
	v_readlane_b32 s46, v254, 24
	v_mov_b32_e32 v1, s46
	v_add_co_u32_e32 v2, vcc, s52, v2
	v_addc_co_u32_e32 v3, vcc, v1, v3, vcc
	v_pk_add_f32 v[4:5], v[4:5], 0 op_sel_hi:[1,0]
	global_store_dwordx2 v[2:3], v[4:5], off
.LBB9_153:                              ;   in Loop: Header=BB9_13 Depth=1
	s_or_b64 exec, exec, s[42:43]
	v_mov_b32_e32 v1, 50
	s_mov_b64 s[42:43], exec
	v_readlane_b32 s46, v255, 13
	v_readlane_b32 s47, v255, 14
	s_and_b64 s[46:47], s[42:43], s[46:47]
	s_mov_b64 exec, s[46:47]
	s_cbranch_execz .LBB9_155
; %bb.154:                              ;   in Loop: Header=BB9_13 Depth=1
	ds_read_b32 v4, v128 offset:128
	v_readlane_b32 s46, v254, 10
	v_mul_lo_u32 v1, v29, s46
	v_ashrrev_i32_e32 v3, 31, v1
	v_add_co_u32_e32 v2, vcc, v1, v28
	s_waitcnt lgkmcnt(0)
	v_cvt_f32_f16_sdwa v5, v4 dst_sel:DWORD dst_unused:UNUSED_PAD src0_sel:WORD_1
	v_cvt_f32_f16_e32 v4, v4
	v_addc_co_u32_e32 v3, vcc, 0, v3, vcc
	v_lshlrev_b64 v[2:3], 3, v[2:3]
	v_readlane_b32 s46, v254, 24
	v_mov_b32_e32 v1, s46
	v_add_co_u32_e32 v2, vcc, s52, v2
	v_addc_co_u32_e32 v3, vcc, v1, v3, vcc
	v_pk_add_f32 v[4:5], v[4:5], 0 op_sel_hi:[1,0]
	v_mov_b32_e32 v1, 0
	global_store_dwordx2 v[2:3], v[4:5], off offset:256
.LBB9_155:                              ;   in Loop: Header=BB9_13 Depth=1
	s_or_b64 exec, exec, s[42:43]
	v_cmp_gt_i32_e32 vcc, 50, v1
	s_mov_b64 s[64:65], -1
	s_and_saveexec_b64 s[42:43], vcc
; %bb.156:                              ;   in Loop: Header=BB9_13 Depth=1
	v_cmp_eq_u32_e32 vcc, 0, v1
	s_orn2_b64 s[64:65], vcc, exec
; %bb.157:                              ;   in Loop: Header=BB9_13 Depth=1
	s_or_b64 exec, exec, s[42:43]
	s_mov_b64 s[42:43], 0
	s_mov_b64 s[66:67], 0
                                        ; implicit-def: $vgpr2_vgpr3
	s_and_saveexec_b64 s[62:63], s[64:65]
	s_cbranch_execz .LBB9_161
; %bb.158:                              ;   in Loop: Header=BB9_13 Depth=1
	s_mov_b64 s[46:47], 0
                                        ; implicit-def: $vgpr2_vgpr3
	s_mov_b64 s[64:65], exec
	v_readlane_b32 s66, v255, 15
	v_readlane_b32 s67, v255, 16
	s_and_b64 s[66:67], s[64:65], s[66:67]
	s_xor_b64 s[64:65], s[66:67], s[64:65]
	s_mov_b64 exec, s[66:67]
	s_cbranch_execz .LBB9_160
; %bb.159:                              ;   in Loop: Header=BB9_13 Depth=1
	ds_read_b32 v1, v129 offset:128
	s_mov_b64 s[46:47], exec
	s_waitcnt lgkmcnt(0)
	v_cvt_f32_f16_sdwa v3, v1 dst_sel:DWORD dst_unused:UNUSED_PAD src0_sel:WORD_1
	v_cvt_f32_f16_e32 v2, v1
	v_pk_add_f32 v[2:3], v[2:3], 0 op_sel_hi:[1,0]
.LBB9_160:                              ;   in Loop: Header=BB9_13 Depth=1
	s_or_b64 exec, exec, s[64:65]
	s_and_b64 s[66:67], s[46:47], exec
.LBB9_161:                              ;   in Loop: Header=BB9_13 Depth=1
	v_writelane_b32 v254, s66, 39
	v_writelane_b32 v254, s67, 40
	s_or_b64 exec, exec, s[62:63]
	s_and_b64 vcc, exec, s[42:43]
	s_cbranch_vccz .LBB9_83
.LBB9_162:                              ;   in Loop: Header=BB9_13 Depth=1
	v_readlane_b32 s42, v254, 38
	s_lshl_b32 s68, s42, 6
	v_readlane_b32 s64, v253, 51
	v_add_u32_e32 v231, s68, v43
	s_mov_b32 s52, s64
	v_cmp_gt_i32_e64 s[42:43], s52, v231
	v_writelane_b32 v254, s42, 41
	v_writelane_b32 v254, s43, 42
	v_cmp_le_i32_e32 vcc, s52, v231
	v_readlane_b32 s65, v253, 52
	v_readlane_b32 s66, v253, 53
	;; [unrolled: 1-line block ×3, first 2 shown]
	s_and_saveexec_b64 s[42:43], vcc
	s_xor_b64 s[42:43], exec, s[42:43]
	s_cbranch_execz .LBB9_164
; %bb.163:                              ;   in Loop: Header=BB9_13 Depth=1
	ds_write_b32 v150, v175
.LBB9_164:                              ;   in Loop: Header=BB9_13 Depth=1
	s_andn2_saveexec_b64 s[42:43], s[42:43]
	s_cbranch_execz .LBB9_166
; %bb.165:                              ;   in Loop: Header=BB9_13 Depth=1
	v_readlane_b32 s46, v253, 25
	v_mad_u64_u32 v[2:3], s[46:47], v231, s46, v[42:43]
	v_ashrrev_i32_e32 v3, 31, v2
	v_readlane_b32 s46, v254, 30
	v_lshlrev_b64 v[2:3], 3, v[2:3]
	v_mov_b32_e32 v1, s46
	v_readlane_b32 s46, v254, 29
	v_add_co_u32_e32 v2, vcc, s46, v2
	v_addc_co_u32_e32 v3, vcc, v1, v3, vcc
	global_load_dwordx2 v[2:3], v[2:3], off
	s_waitcnt vmcnt(0)
	v_cvt_f16_f32_e32 v1, v2
	v_cvt_f16_f32_e32 v2, v3
	v_pack_b32_f16 v1, v1, v2
	v_pk_mul_f16 v1, v33, v1
	ds_write_b32 v150, v1
.LBB9_166:                              ;   in Loop: Header=BB9_13 Depth=1
	s_or_b64 exec, exec, s[42:43]
	v_readlane_b32 s64, v253, 51
	v_add_u32_e32 v230, s68, v217
	s_mov_b32 s52, s64
	v_cmp_gt_i32_e64 s[42:43], s52, v230
	v_writelane_b32 v254, s42, 43
	v_writelane_b32 v254, s43, 44
	v_cmp_le_i32_e32 vcc, s52, v230
	v_readlane_b32 s65, v253, 52
	v_readlane_b32 s66, v253, 53
	v_readlane_b32 s67, v253, 54
	s_and_saveexec_b64 s[42:43], vcc
	s_xor_b64 s[42:43], exec, s[42:43]
	s_cbranch_execz .LBB9_168
; %bb.167:                              ;   in Loop: Header=BB9_13 Depth=1
	ds_write_b32 v150, v175 offset:1408
.LBB9_168:                              ;   in Loop: Header=BB9_13 Depth=1
	s_andn2_saveexec_b64 s[42:43], s[42:43]
	s_cbranch_execz .LBB9_170
; %bb.169:                              ;   in Loop: Header=BB9_13 Depth=1
	v_readlane_b32 s46, v253, 25
	v_mad_u64_u32 v[2:3], s[46:47], v230, s46, v[42:43]
	v_ashrrev_i32_e32 v3, 31, v2
	v_readlane_b32 s46, v254, 30
	v_lshlrev_b64 v[2:3], 3, v[2:3]
	v_mov_b32_e32 v1, s46
	v_readlane_b32 s46, v254, 29
	v_add_co_u32_e32 v2, vcc, s46, v2
	v_addc_co_u32_e32 v3, vcc, v1, v3, vcc
	global_load_dwordx2 v[2:3], v[2:3], off
	s_waitcnt vmcnt(0)
	v_cvt_f16_f32_e32 v1, v2
	v_cvt_f16_f32_e32 v2, v3
	v_pack_b32_f16 v1, v1, v2
	v_pk_mul_f16 v1, v33, v1
	ds_write_b32 v150, v1 offset:1408
.LBB9_170:                              ;   in Loop: Header=BB9_13 Depth=1
	s_or_b64 exec, exec, s[42:43]
	v_readlane_b32 s64, v253, 51
	v_add_u32_e32 v229, s68, v151
	s_mov_b32 s52, s64
	v_cmp_gt_i32_e64 s[42:43], s52, v229
	v_writelane_b32 v254, s42, 45
	v_writelane_b32 v254, s43, 46
	v_cmp_le_i32_e32 vcc, s52, v229
	v_readlane_b32 s65, v253, 52
	v_readlane_b32 s66, v253, 53
	v_readlane_b32 s67, v253, 54
	s_and_saveexec_b64 s[42:43], vcc
	s_xor_b64 s[42:43], exec, s[42:43]
	s_cbranch_execz .LBB9_172
; %bb.171:                              ;   in Loop: Header=BB9_13 Depth=1
	ds_write_b32 v150, v175 offset:2816
.LBB9_172:                              ;   in Loop: Header=BB9_13 Depth=1
	s_andn2_saveexec_b64 s[42:43], s[42:43]
	s_cbranch_execz .LBB9_174
; %bb.173:                              ;   in Loop: Header=BB9_13 Depth=1
	v_readlane_b32 s46, v253, 25
	v_mad_u64_u32 v[2:3], s[46:47], v229, s46, v[42:43]
	v_ashrrev_i32_e32 v3, 31, v2
	v_readlane_b32 s46, v254, 30
	v_lshlrev_b64 v[2:3], 3, v[2:3]
	v_mov_b32_e32 v1, s46
	v_readlane_b32 s46, v254, 29
	v_add_co_u32_e32 v2, vcc, s46, v2
	v_addc_co_u32_e32 v3, vcc, v1, v3, vcc
	global_load_dwordx2 v[2:3], v[2:3], off
	s_waitcnt vmcnt(0)
	v_cvt_f16_f32_e32 v1, v2
	v_cvt_f16_f32_e32 v2, v3
	v_pack_b32_f16 v1, v1, v2
	v_pk_mul_f16 v1, v33, v1
	ds_write_b32 v150, v1 offset:2816
.LBB9_174:                              ;   in Loop: Header=BB9_13 Depth=1
	;; [unrolled: 37-line block ×7, first 2 shown]
	s_or_b64 exec, exec, s[42:43]
	v_readlane_b32 s64, v253, 51
	v_add_u32_e32 v65, s68, v53
	s_mov_b32 s52, s64
	v_cmp_gt_i32_e64 s[42:43], s52, v65
	v_writelane_b32 v254, s42, 57
	v_writelane_b32 v254, s43, 58
	v_cmp_le_i32_e32 vcc, s52, v65
	v_readlane_b32 s65, v253, 52
	v_readlane_b32 s66, v253, 53
	;; [unrolled: 1-line block ×3, first 2 shown]
	s_and_saveexec_b64 s[42:43], vcc
	s_xor_b64 s[42:43], exec, s[42:43]
	s_cbranch_execz .LBB9_196
; %bb.195:                              ;   in Loop: Header=BB9_13 Depth=1
	ds_write_b32 v128, v175 offset:128
.LBB9_196:                              ;   in Loop: Header=BB9_13 Depth=1
	s_andn2_saveexec_b64 s[42:43], s[42:43]
	s_cbranch_execz .LBB9_198
; %bb.197:                              ;   in Loop: Header=BB9_13 Depth=1
	v_readlane_b32 s46, v253, 25
	v_mul_lo_u32 v1, v65, s46
	v_ashrrev_i32_e32 v3, 31, v1
	v_add_co_u32_e32 v2, vcc, v1, v28
	v_addc_co_u32_e32 v3, vcc, 0, v3, vcc
	v_readlane_b32 s46, v254, 30
	v_lshlrev_b64 v[2:3], 3, v[2:3]
	v_mov_b32_e32 v1, s46
	v_readlane_b32 s46, v254, 29
	v_add_co_u32_e32 v2, vcc, s46, v2
	v_addc_co_u32_e32 v3, vcc, v1, v3, vcc
	global_load_dwordx2 v[2:3], v[2:3], off offset:256
	s_waitcnt vmcnt(0)
	v_cvt_f16_f32_e32 v1, v2
	v_cvt_f16_f32_e32 v2, v3
	v_pack_b32_f16 v1, v1, v2
	v_pk_mul_f16 v1, v33, v1
	ds_write_b32 v128, v1 offset:128
.LBB9_198:                              ;   in Loop: Header=BB9_13 Depth=1
	s_or_b64 exec, exec, s[42:43]
	v_readlane_b32 s64, v253, 51
	v_add_u32_e32 v226, s68, v137
	s_mov_b32 s52, s64
	v_cmp_gt_i32_e64 s[42:43], s52, v226
	v_writelane_b32 v254, s42, 59
	v_writelane_b32 v254, s43, 60
	v_cmp_le_i32_e32 vcc, s52, v226
	v_readlane_b32 s65, v253, 52
	v_readlane_b32 s66, v253, 53
	v_readlane_b32 s67, v253, 54
	s_and_saveexec_b64 s[42:43], vcc
	s_xor_b64 s[42:43], exec, s[42:43]
	s_cbranch_execz .LBB9_200
; %bb.199:                              ;   in Loop: Header=BB9_13 Depth=1
	ds_write_b32 v129, v175 offset:128
.LBB9_200:                              ;   in Loop: Header=BB9_13 Depth=1
	s_andn2_saveexec_b64 s[42:43], s[42:43]
	s_cbranch_execz .LBB9_202
; %bb.201:                              ;   in Loop: Header=BB9_13 Depth=1
	v_readlane_b32 s46, v253, 25
	v_mul_lo_u32 v1, v226, s46
	v_ashrrev_i32_e32 v3, 31, v1
	v_add_co_u32_e32 v2, vcc, v1, v28
	v_addc_co_u32_e32 v3, vcc, 0, v3, vcc
	v_readlane_b32 s46, v254, 30
	v_lshlrev_b64 v[2:3], 3, v[2:3]
	v_mov_b32_e32 v1, s46
	v_readlane_b32 s46, v254, 29
	v_add_co_u32_e32 v2, vcc, s46, v2
	v_addc_co_u32_e32 v3, vcc, v1, v3, vcc
	global_load_dwordx2 v[2:3], v[2:3], off offset:256
	s_waitcnt vmcnt(0)
	v_cvt_f16_f32_e32 v1, v2
	v_cvt_f16_f32_e32 v2, v3
	v_pack_b32_f16 v1, v1, v2
	v_pk_mul_f16 v1, v33, v1
	ds_write_b32 v129, v1 offset:128
.LBB9_202:                              ;   in Loop: Header=BB9_13 Depth=1
	s_or_b64 exec, exec, s[42:43]
	s_waitcnt lgkmcnt(0)
	s_barrier
	ds_read2_b64 v[6:9], v107 offset1:4
	ds_read2_b64 v[2:5], v107 offset0:8 offset1:12
	ds_read_b64 v[58:59], v107 offset:128
	v_readlane_b32 s42, v253, 63
	s_mov_b32 s52, 0
	s_cmp_lt_i32 s42, 2
	v_mov_b32_e32 v242, 0
	v_cmp_ne_u64_e64 s[62:63], 0, v[56:57]
	s_waitcnt lgkmcnt(0)
	s_barrier
	s_cbranch_scc1 .LBB9_221
; %bb.203:                              ;   in Loop: Header=BB9_13 Depth=1
	s_add_i32 s52, s42, -1
	v_add_u32_e32 v1, s68, v35
	v_readlane_b32 s42, v253, 15
	v_mul_hi_u32 v10, s42, v1
	v_readlane_b32 s43, v253, 16
	v_add_u32_e32 v10, v1, v10
	v_lshrrev_b32_e32 v10, s43, v10
	v_readlane_b32 s64, v253, 51
	v_mul_lo_u32 v10, v10, s64
	v_sub_u32_e32 v10, v1, v10
	v_add_u32_e32 v1, s68, v176
	v_mul_hi_u32 v11, s42, v1
	v_add_u32_e32 v11, v1, v11
	v_lshrrev_b32_e32 v11, s43, v11
	v_mul_lo_u32 v11, v11, s64
	v_sub_u32_e32 v11, v1, v11
	v_add_u32_e32 v1, s68, v178
	v_mul_hi_u32 v12, s42, v1
	v_add_u32_e32 v12, v1, v12
	v_lshrrev_b32_e32 v12, s43, v12
	;; [unrolled: 6-line block ×15, first 2 shown]
	v_mul_lo_u32 v25, v25, s64
	v_sub_u32_e32 v25, v1, v25
	v_and_b32_e32 v1, 64, v225
	v_add_u32_e32 v1, 64, v1
	v_xor_b32_e32 v27, 32, v225
	v_cmp_lt_i32_e32 vcc, v27, v1
	v_cndmask_b32_e32 v27, v225, v27, vcc
	v_lshlrev_b32_e32 v236, 2, v27
	v_xor_b32_e32 v27, 16, v225
	v_readlane_b32 s42, v254, 25
	v_readlane_b32 s43, v254, 27
	v_cmp_lt_i32_e32 vcc, v27, v1
	s_add_u32 s42, s42, s43
	v_readlane_b32 s43, v254, 26
	v_readlane_b32 s46, v254, 28
	v_cndmask_b32_e32 v1, v225, v27, vcc
	s_addc_u32 s43, s43, s46
	v_lshlrev_b32_e32 v237, 2, v1
	v_mov_b32_e32 v1, s43
	v_add_co_u32_e32 v62, vcc, s42, v162
	v_addc_co_u32_e32 v63, vcc, v163, v1, vcc
	v_add_co_u32_e32 v64, vcc, s42, v164
	v_addc_co_u32_e32 v1, vcc, v165, v1, vcc
	v_mov_b32_e32 v27, s43
	v_add_co_u32_e32 v66, vcc, s42, v166
	v_readlane_b32 s42, v254, 31
	v_readlane_b32 s43, v254, 33
	s_add_u32 s42, s42, s43
	v_readlane_b32 s43, v254, 32
	v_readlane_b32 s46, v254, 34
	v_addc_co_u32_e32 v27, vcc, v167, v27, vcc
	s_addc_u32 s43, s43, s46
	v_mov_b32_e32 v29, s43
	v_add_co_u32_e32 v68, vcc, s42, v168
	v_addc_co_u32_e32 v69, vcc, v169, v29, vcc
	v_add_co_u32_e32 v70, vcc, s42, v170
	v_addc_co_u32_e32 v29, vcc, v171, v29, vcc
	v_mov_b32_e32 v31, s43
	v_add_co_u32_e32 v72, vcc, s42, v172
	v_readlane_b32 s42, v254, 22
	v_readlane_b32 s43, v254, 23
	s_mov_b32 s46, s42
	v_mov_b32_e32 v234, 0
	v_mov_b32_e32 v60, v54
	;; [unrolled: 1-line block ×3, first 2 shown]
	v_addc_co_u32_e32 v31, vcc, v173, v31, vcc
	v_mad_i64_i32 v[74:75], s[42:43], s46, v13, v[56:57]
	v_mad_i64_i32 v[76:77], s[42:43], s46, v12, v[56:57]
	;; [unrolled: 1-line block ×16, first 2 shown]
	v_mov_b32_e32 v244, 0
	v_mov_b32_e32 v245, 0xfeffffff
	s_mov_b32 s69, s52
	v_mov_b32_e32 v235, 0
	v_mov_b32_e32 v233, 0
	;; [unrolled: 1-line block ×9, first 2 shown]
	v_readlane_b32 s65, v253, 52
	v_readlane_b32 s66, v253, 53
	;; [unrolled: 1-line block ×3, first 2 shown]
	v_cndmask_b32_e64 v10, 0, 1, s[62:63]
	v_cmp_ne_u32_e64 s[64:65], 1, v10
	s_andn2_b64 vcc, exec, s[62:63]
	s_cbranch_vccnz .LBB9_213
.LBB9_204:                              ;   in Loop: Header=BB9_13 Depth=1
                                        ; implicit-def: $sgpr46
	s_and_saveexec_b64 s[42:43], s[6:7]
	s_xor_b64 s[42:43], exec, s[42:43]
	s_cbranch_execz .LBB9_206
; %bb.205:                              ;   in Loop: Header=BB9_13 Depth=1
	ds_write_b16 v108, v175 offset:11264
	ds_write_b16 v177, v175 offset:11264
	;; [unrolled: 1-line block ×4, first 2 shown]
	s_mov_b32 s46, 0
.LBB9_206:                              ;   in Loop: Header=BB9_13 Depth=1
	s_or_saveexec_b64 s[66:67], s[42:43]
	v_mov_b32_e32 v10, s46
	v_mov_b32_e32 v11, s46
	;; [unrolled: 1-line block ×4, first 2 shown]
	s_xor_b64 exec, exec, s[66:67]
	s_cbranch_execz .LBB9_208
; %bb.207:                              ;   in Loop: Header=BB9_13 Depth=1
	v_add_co_u32_e32 v10, vcc, v80, v30
	v_addc_co_u32_e32 v11, vcc, 0, v81, vcc
	flat_load_ushort v12, v[10:11]
	v_add_co_u32_e32 v10, vcc, v78, v30
	v_addc_co_u32_e32 v11, vcc, 0, v79, vcc
	flat_load_ushort v13, v[10:11]
	;; [unrolled: 3-line block ×4, first 2 shown]
	s_waitcnt vmcnt(0) lgkmcnt(0)
	ds_write_b16 v108, v12 offset:11264
	ds_write_b16 v177, v13 offset:11264
	;; [unrolled: 1-line block ×4, first 2 shown]
	v_add_co_u32_e32 v10, vcc, v88, v30
	v_addc_co_u32_e32 v11, vcc, 0, v89, vcc
	v_add_co_u32_e32 v12, vcc, v86, v30
	v_addc_co_u32_e32 v13, vcc, 0, v87, vcc
	flat_load_ushort v10, v[10:11]
	s_nop 0
	flat_load_ushort v11, v[12:13]
	v_add_co_u32_e32 v12, vcc, v84, v30
	v_addc_co_u32_e32 v13, vcc, 0, v85, vcc
	v_add_co_u32_e32 v14, vcc, v82, v30
	v_addc_co_u32_e32 v15, vcc, 0, v83, vcc
	flat_load_ushort v12, v[12:13]
	s_nop 0
	flat_load_ushort v13, v[14:15]
.LBB9_208:                              ;   in Loop: Header=BB9_13 Depth=1
	s_or_b64 exec, exec, s[66:67]
	s_waitcnt vmcnt(0) lgkmcnt(0)
	ds_write_b16 v183, v10 offset:11264
	ds_write_b16 v185, v11 offset:11264
	ds_write_b16 v187, v12 offset:11264
	ds_write_b16 v189, v13 offset:11264
                                        ; implicit-def: $sgpr46
	s_and_saveexec_b64 s[42:43], s[6:7]
	s_xor_b64 s[42:43], exec, s[42:43]
	s_cbranch_execz .LBB9_210
; %bb.209:                              ;   in Loop: Header=BB9_13 Depth=1
	ds_write_b16 v191, v175 offset:11264
	ds_write_b16 v193, v175 offset:11264
	;; [unrolled: 1-line block ×4, first 2 shown]
	s_mov_b32 s46, 0
.LBB9_210:                              ;   in Loop: Header=BB9_13 Depth=1
	s_or_saveexec_b64 s[66:67], s[42:43]
	v_mov_b32_e32 v10, s46
	v_mov_b32_e32 v11, s46
	;; [unrolled: 1-line block ×4, first 2 shown]
	s_xor_b64 exec, exec, s[66:67]
	s_cbranch_execz .LBB9_212
; %bb.211:                              ;   in Loop: Header=BB9_13 Depth=1
	v_add_co_u32_e32 v10, vcc, v96, v30
	v_addc_co_u32_e32 v11, vcc, 0, v97, vcc
	flat_load_ushort v12, v[10:11]
	v_add_co_u32_e32 v10, vcc, v94, v30
	v_addc_co_u32_e32 v11, vcc, 0, v95, vcc
	flat_load_ushort v13, v[10:11]
	v_add_co_u32_e32 v10, vcc, v92, v30
	v_addc_co_u32_e32 v11, vcc, 0, v93, vcc
	flat_load_ushort v14, v[10:11]
	v_add_co_u32_e32 v10, vcc, v90, v30
	v_addc_co_u32_e32 v11, vcc, 0, v91, vcc
	flat_load_ushort v10, v[10:11]
	s_waitcnt vmcnt(0) lgkmcnt(0)
	ds_write_b16 v191, v12 offset:11264
	ds_write_b16 v193, v13 offset:11264
	;; [unrolled: 1-line block ×4, first 2 shown]
	v_add_co_u32_e32 v10, vcc, v104, v30
	v_addc_co_u32_e32 v11, vcc, 0, v105, vcc
	v_add_co_u32_e32 v12, vcc, v102, v30
	v_addc_co_u32_e32 v13, vcc, 0, v103, vcc
	flat_load_ushort v10, v[10:11]
	s_nop 0
	flat_load_ushort v11, v[12:13]
	v_add_co_u32_e32 v12, vcc, v100, v30
	v_addc_co_u32_e32 v13, vcc, 0, v101, vcc
	v_add_co_u32_e32 v14, vcc, v98, v30
	v_addc_co_u32_e32 v15, vcc, 0, v99, vcc
	flat_load_ushort v12, v[12:13]
	s_nop 0
	flat_load_ushort v13, v[14:15]
.LBB9_212:                              ;   in Loop: Header=BB9_13 Depth=1
	s_or_b64 exec, exec, s[66:67]
	s_waitcnt vmcnt(0) lgkmcnt(0)
	ds_write_b16 v199, v10 offset:11264
	ds_write_b16 v201, v11 offset:11264
	;; [unrolled: 1-line block ×4, first 2 shown]
.LBB9_213:                              ;   Parent Loop BB9_13 Depth=1
                                        ; =>  This Inner Loop Header: Depth=2
	buffer_store_dword v175, off, s[0:3], 0
	buffer_store_dword v175, off, s[0:3], 0 offset:4
	buffer_store_dword v175, off, s[0:3], 0 offset:8
	;; [unrolled: 1-line block ×3, first 2 shown]
	s_and_saveexec_b64 s[42:43], s[98:99]
	s_cbranch_execz .LBB9_215
; %bb.214:                              ;   in Loop: Header=BB9_213 Depth=2
	global_load_dwordx4 v[10:13], v[68:69], off
	s_waitcnt vmcnt(0)
	ds_write_b128 v110, v[10:13]
.LBB9_215:                              ;   in Loop: Header=BB9_213 Depth=2
	s_or_b64 exec, exec, s[42:43]
	v_add_co_u32_e32 v10, vcc, v70, v52
	v_addc_co_u32_e32 v11, vcc, 0, v29, vcc
	v_mov_b32_e32 v14, s55
	v_mov_b32_e32 v15, s54
	v_cndmask_b32_e64 v11, v14, v11, s[10:11]
	v_cndmask_b32_e64 v10, v15, v10, s[10:11]
	flat_load_dwordx4 v[10:13], v[10:11]
	v_add_u32_e32 v18, 0x800, v111
	v_add_u32_e32 v55, 0x1000, v111
	s_waitcnt vmcnt(0) lgkmcnt(0)
	ds_write_b128 v126, v[10:13]
	v_add_co_u32_e32 v10, vcc, v72, v52
	v_addc_co_u32_e32 v11, vcc, 0, v31, vcc
	v_cndmask_b32_e64 v11, v14, v11, s[16:17]
	v_cndmask_b32_e64 v10, v15, v10, s[16:17]
	flat_load_dwordx4 v[10:13], v[10:11]
	s_and_b64 vcc, exec, s[64:65]
	s_waitcnt vmcnt(0) lgkmcnt(0)
	ds_write_b128 v127, v[10:13]
	s_waitcnt lgkmcnt(0)
	s_barrier
	ds_read2_b64 v[10:13], v111 offset1:4
	s_waitcnt lgkmcnt(0)
	v_mfma_f32_16x16x16f16 v[14:17], v[10:11], v[6:7], 0
	v_mfma_f32_16x16x16f16 v[10:13], v[12:13], v[8:9], v[14:17]
	s_nop 7
	s_nop 1
	ds_read2_b64 v[14:17], v111 offset0:8 offset1:12
	s_waitcnt lgkmcnt(0)
	v_mfma_f32_16x16x16f16 v[10:13], v[14:15], v[2:3], v[10:13]
	ds_read_b64 v[14:15], v111 offset:128
	v_mfma_f32_16x16x16f16 v[10:13], v[16:17], v[4:5], v[10:13]
	s_waitcnt lgkmcnt(0)
	v_mfma_f32_16x16x16f16 v[22:25], v[14:15], v[58:59], v[10:13]
	s_nop 7
	s_nop 0
	ds_read2_b64 v[10:13], v18 offset0:96 offset1:100
	s_waitcnt lgkmcnt(0)
	v_mfma_f32_16x16x16f16 v[14:17], v[10:11], v[6:7], 0
	v_mfma_f32_16x16x16f16 v[10:13], v[12:13], v[8:9], v[14:17]
	s_nop 7
	s_nop 1
	ds_read2_b64 v[14:17], v18 offset0:104 offset1:108
	s_waitcnt lgkmcnt(0)
	v_mfma_f32_16x16x16f16 v[10:13], v[14:15], v[2:3], v[10:13]
	ds_read_b64 v[14:15], v111 offset:2944
	v_mfma_f32_16x16x16f16 v[10:13], v[16:17], v[4:5], v[10:13]
	s_waitcnt lgkmcnt(0)
	v_mfma_f32_16x16x16f16 v[18:21], v[14:15], v[58:59], v[10:13]
	s_nop 7
	s_nop 0
	ds_read2_b64 v[10:13], v55 offset0:192 offset1:196
	s_waitcnt lgkmcnt(0)
	v_mfma_f32_16x16x16f16 v[14:17], v[10:11], v[6:7], 0
	v_mfma_f32_16x16x16f16 v[10:13], v[12:13], v[8:9], v[14:17]
	s_nop 7
	s_nop 1
	ds_read2_b64 v[14:17], v55 offset0:200 offset1:204
	s_waitcnt lgkmcnt(0)
	v_mfma_f32_16x16x16f16 v[10:13], v[14:15], v[2:3], v[10:13]
	ds_read_b64 v[14:15], v111 offset:5760
	v_add_u32_e32 v55, 0x2000, v111
	v_mfma_f32_16x16x16f16 v[10:13], v[16:17], v[4:5], v[10:13]
	s_waitcnt lgkmcnt(0)
	v_mfma_f32_16x16x16f16 v[10:13], v[14:15], v[58:59], v[10:13]
	ds_read2_b64 v[14:17], v55 offset0:32 offset1:36
	s_waitcnt lgkmcnt(0)
	v_mfma_f32_16x16x16f16 v[246:249], v[14:15], v[6:7], 0
	v_mfma_f32_16x16x16f16 v[14:17], v[16:17], v[8:9], v[246:249]
	s_nop 7
	s_nop 1
	ds_read2_b64 v[246:249], v55 offset0:40 offset1:44
	s_waitcnt lgkmcnt(0)
	v_mfma_f32_16x16x16f16 v[14:17], v[246:247], v[2:3], v[14:17]
	ds_read_b64 v[246:247], v111 offset:8576
	s_waitcnt lgkmcnt(0)
	s_barrier
	v_mfma_f32_16x16x16f16 v[14:17], v[248:249], v[4:5], v[14:17]
	v_mfma_f32_16x16x16f16 v[14:17], v[246:247], v[58:59], v[14:17]
	s_cbranch_vccnz .LBB9_217
; %bb.216:                              ;   in Loop: Header=BB9_213 Depth=2
	ds_read_b32 v55, v113 offset:11264
	s_waitcnt lgkmcnt(0)
	v_cvt_f32_f16_sdwa v247, v55 dst_sel:DWORD dst_unused:UNUSED_PAD src0_sel:WORD_1
	v_cvt_f32_f16_e32 v246, v55
	ds_read_b32 v55, v135 offset:11264
	v_pk_fma_f32 v[22:23], v[60:61], v[246:247], v[22:23]
	v_add_u32_e32 v246, 0x2c00, v115
	ds_read2_b32 v[246:247], v246 offset1:1
	s_waitcnt lgkmcnt(1)
	v_cvt_f32_f16_sdwa v249, v55 dst_sel:DWORD dst_unused:UNUSED_PAD src0_sel:WORD_1
	v_cvt_f32_f16_e32 v248, v55
	v_mov_b32_e32 v55, v54
	v_pk_fma_f32 v[24:25], v[54:55], v[248:249], v[24:25]
	s_waitcnt lgkmcnt(0)
	v_cvt_f32_f16_e32 v248, v246
	v_cvt_f32_f16_sdwa v249, v246 dst_sel:DWORD dst_unused:UNUSED_PAD src0_sel:WORD_1
	v_cvt_f32_f16_e32 v246, v247
	v_cvt_f32_f16_sdwa v247, v247 dst_sel:DWORD dst_unused:UNUSED_PAD src0_sel:WORD_1
	v_pk_fma_f32 v[18:19], v[60:61], v[248:249], v[18:19]
	v_pk_fma_f32 v[20:21], v[54:55], v[246:247], v[20:21]
	v_add_u32_e32 v246, 0x2c00, v131
	ds_read2_b32 v[246:247], v246 offset1:1
	s_waitcnt lgkmcnt(0)
	v_cvt_f32_f16_e32 v248, v246
	v_cvt_f32_f16_sdwa v249, v246 dst_sel:DWORD dst_unused:UNUSED_PAD src0_sel:WORD_1
	v_cvt_f32_f16_e32 v246, v247
	v_cvt_f32_f16_sdwa v247, v247 dst_sel:DWORD dst_unused:UNUSED_PAD src0_sel:WORD_1
	v_pk_fma_f32 v[10:11], v[60:61], v[248:249], v[10:11]
	v_pk_fma_f32 v[12:13], v[54:55], v[246:247], v[12:13]
	v_add_u32_e32 v246, 0x2c00, v136
	ds_read2_b32 v[246:247], v246 offset1:1
	s_waitcnt lgkmcnt(0)
	v_cvt_f32_f16_e32 v248, v246
	v_cvt_f32_f16_sdwa v249, v246 dst_sel:DWORD dst_unused:UNUSED_PAD src0_sel:WORD_1
	v_cvt_f32_f16_e32 v246, v247
	v_cvt_f32_f16_sdwa v247, v247 dst_sel:DWORD dst_unused:UNUSED_PAD src0_sel:WORD_1
	v_pk_fma_f32 v[14:15], v[60:61], v[248:249], v[14:15]
	v_pk_fma_f32 v[16:17], v[54:55], v[246:247], v[16:17]
.LBB9_217:                              ;   in Loop: Header=BB9_213 Depth=2
	v_add_f32_e32 v55, 0x40051340, v22
	v_max_f32_e32 v246, v245, v245
	v_max_f32_e32 v55, v246, v55
	v_cndmask_b32_e64 v55, v245, v55, s[12:13]
	v_add_f32_e32 v246, 0x40051340, v23
	v_max_f32_e32 v55, v55, v55
	v_max_f32_e32 v55, v55, v246
	v_cndmask_b32_e64 v55, v245, v55, s[12:13]
	;; [unrolled: 4-line block ×16, first 2 shown]
	ds_bpermute_b32 v246, v236, v55
	v_max_f32_e32 v55, v55, v55
	buffer_store_dword v175, off, s[0:3], 0
	buffer_store_dword v175, off, s[0:3], 0 offset:4
	buffer_store_dword v175, off, s[0:3], 0 offset:8
	;; [unrolled: 1-line block ×3, first 2 shown]
	s_waitcnt lgkmcnt(0)
	v_max_f32_e32 v246, v246, v246
	v_max_f32_e32 v55, v55, v246
	ds_bpermute_b32 v246, v237, v55
	s_and_saveexec_b64 s[42:43], s[98:99]
	s_cbranch_execz .LBB9_219
; %bb.218:                              ;   in Loop: Header=BB9_213 Depth=2
	global_load_dwordx4 v[248:251], v[62:63], off
	s_waitcnt vmcnt(0)
	ds_write_b128 v110, v[248:251]
.LBB9_219:                              ;   in Loop: Header=BB9_213 Depth=2
	s_or_b64 exec, exec, s[42:43]
	s_waitcnt lgkmcnt(0)
	v_max_f32_e32 v246, v246, v246
	v_max_f32_e32 v55, v55, v55
	;; [unrolled: 1-line block ×3, first 2 shown]
	v_sub_f32_e32 v22, v22, v55
	v_mul_f32_e32 v246, 0x3fb8aa3b, v22
	v_fma_f32 v247, v22, s58, -v246
	v_rndne_f32_e32 v248, v246
	v_fmac_f32_e32 v247, 0x32a5705f, v22
	v_sub_f32_e32 v246, v246, v248
	v_add_f32_e32 v246, v246, v247
	v_exp_f32_e32 v246, v246
	v_cvt_i32_f32_e32 v247, v248
	v_sub_f32_e32 v23, v23, v55
	v_cmp_ngt_f32_e32 vcc, s59, v22
	v_cndmask_b32_e64 v24, v24, v24, s[12:13]
	v_ldexp_f32 v246, v246, v247
	v_mul_f32_e32 v247, 0x3fb8aa3b, v23
	v_fma_f32 v248, v23, s58, -v247
	v_rndne_f32_e32 v249, v247
	v_fmac_f32_e32 v248, 0x32a5705f, v23
	v_sub_f32_e32 v247, v247, v249
	v_add_f32_e32 v247, v247, v248
	v_exp_f32_e32 v247, v247
	v_cvt_i32_f32_e32 v248, v249
	v_cndmask_b32_e32 v246, 0, v246, vcc
	v_cmp_nlt_f32_e32 vcc, s49, v22
	v_cndmask_b32_e32 v246, v223, v246, vcc
	v_ldexp_f32 v247, v247, v248
	v_cmp_ngt_f32_e32 vcc, s59, v23
	v_cndmask_b32_e32 v247, 0, v247, vcc
	v_cmp_nlt_f32_e32 vcc, s49, v23
	v_cndmask_b32_e32 v247, v223, v247, vcc
	v_mov_b32_e32 v23, s53
	v_cndmask_b32_e64 v22, 0, v246, s[12:13]
	v_add_f32_e32 v246, v246, v247
	v_cndmask_b32_e64 v247, v23, v247, s[12:13]
	v_sub_f32_e32 v23, v24, v55
	v_mul_f32_e32 v24, 0x3fb8aa3b, v23
	v_fma_f32 v248, v23, s58, -v24
	v_rndne_f32_e32 v249, v24
	v_fmac_f32_e32 v248, 0x32a5705f, v23
	v_sub_f32_e32 v24, v24, v249
	v_add_f32_e32 v24, v24, v248
	v_exp_f32_e32 v24, v24
	v_cvt_i32_f32_e32 v248, v249
	v_cmp_ngt_f32_e32 vcc, s59, v23
	v_cndmask_b32_e64 v25, v25, v25, s[12:13]
	v_sub_f32_e32 v18, v18, v55
	v_ldexp_f32 v24, v24, v248
	v_cndmask_b32_e32 v24, 0, v24, vcc
	v_cmp_nlt_f32_e32 vcc, s49, v23
	v_cndmask_b32_e32 v23, v223, v24, vcc
	v_mov_b32_e32 v24, s53
	v_add_f32_e32 v246, v246, v23
	v_cndmask_b32_e64 v248, v24, v23, s[12:13]
	v_sub_f32_e32 v23, v25, v55
	v_mul_f32_e32 v24, 0x3fb8aa3b, v23
	v_fma_f32 v25, v23, s58, -v24
	v_rndne_f32_e32 v249, v24
	v_fmac_f32_e32 v25, 0x32a5705f, v23
	v_sub_f32_e32 v24, v24, v249
	v_add_f32_e32 v24, v24, v25
	v_exp_f32_e32 v24, v24
	v_cvt_i32_f32_e32 v25, v249
	v_cmp_ngt_f32_e32 vcc, s59, v23
	v_cndmask_b32_e64 v19, v19, v19, s[14:15]
	v_sub_f32_e32 v19, v19, v55
	v_ldexp_f32 v24, v24, v25
	v_cndmask_b32_e32 v24, 0, v24, vcc
	v_cmp_nlt_f32_e32 vcc, s49, v23
	v_cndmask_b32_e32 v249, v223, v24, vcc
	v_mul_f32_e32 v24, 0x3fb8aa3b, v18
	v_add_f32_e32 v23, v246, v249
	v_fma_f32 v25, v18, s58, -v24
	v_rndne_f32_e32 v246, v24
	v_fmac_f32_e32 v25, 0x32a5705f, v18
	v_sub_f32_e32 v24, v24, v246
	v_add_f32_e32 v24, v24, v25
	v_exp_f32_e32 v24, v24
	v_cvt_i32_f32_e32 v25, v246
	v_cmp_ngt_f32_e32 vcc, s59, v18
	v_cndmask_b32_e64 v23, 0, v23, s[12:13]
	v_cndmask_b32_e64 v20, v20, v20, s[14:15]
	v_ldexp_f32 v24, v24, v25
	v_cndmask_b32_e32 v24, 0, v24, vcc
	v_cmp_nlt_f32_e32 vcc, s49, v18
	v_cndmask_b32_e32 v24, v223, v24, vcc
	v_add_f32_e32 v25, v24, v23
	v_mov_b32_e32 v18, s53
	v_cndmask_b32_e64 v246, v18, v24, s[14:15]
	v_cndmask_b32_e64 v18, v23, v25, s[14:15]
	v_mul_f32_e32 v23, 0x3fb8aa3b, v19
	v_fma_f32 v24, v19, s58, -v23
	v_rndne_f32_e32 v25, v23
	v_fmac_f32_e32 v24, 0x32a5705f, v19
	v_sub_f32_e32 v23, v23, v25
	v_add_f32_e32 v23, v23, v24
	v_exp_f32_e32 v23, v23
	v_cvt_i32_f32_e32 v24, v25
	v_cmp_ngt_f32_e32 vcc, s59, v19
	v_cndmask_b32_e64 v21, v21, v21, s[14:15]
	v_sub_f32_e32 v10, v10, v55
	v_ldexp_f32 v23, v23, v24
	v_cndmask_b32_e32 v23, 0, v23, vcc
	v_cmp_nlt_f32_e32 vcc, s49, v19
	v_cndmask_b32_e32 v23, v223, v23, vcc
	v_add_f32_e32 v24, v23, v18
	v_mov_b32_e32 v19, s53
	v_cndmask_b32_e64 v250, v19, v23, s[18:19]
	v_cndmask_b32_e64 v19, v18, v24, s[18:19]
	v_sub_f32_e32 v18, v20, v55
	v_mul_f32_e32 v20, 0x3fb8aa3b, v18
	v_fma_f32 v23, v18, s58, -v20
	v_rndne_f32_e32 v24, v20
	v_fmac_f32_e32 v23, 0x32a5705f, v18
	v_sub_f32_e32 v20, v20, v24
	v_add_f32_e32 v20, v20, v23
	v_exp_f32_e32 v20, v20
	v_cvt_i32_f32_e32 v23, v24
	v_cmp_ngt_f32_e32 vcc, s59, v18
	v_cndmask_b32_e64 v11, v11, v11, s[24:25]
	v_sub_f32_e32 v11, v11, v55
	v_ldexp_f32 v20, v20, v23
	v_cndmask_b32_e32 v20, 0, v20, vcc
	v_cmp_nlt_f32_e32 vcc, s49, v18
	v_cndmask_b32_e32 v20, v223, v20, vcc
	v_add_f32_e32 v23, v20, v19
	v_mov_b32_e32 v18, s53
	v_cndmask_b32_e64 v251, v18, v20, s[20:21]
	v_cndmask_b32_e64 v18, v19, v23, s[20:21]
	v_sub_f32_e32 v19, v21, v55
	v_mul_f32_e32 v20, 0x3fb8aa3b, v19
	v_fma_f32 v21, v19, s58, -v20
	v_rndne_f32_e32 v23, v20
	v_fmac_f32_e32 v21, 0x32a5705f, v19
	v_sub_f32_e32 v20, v20, v23
	v_add_f32_e32 v20, v20, v21
	v_exp_f32_e32 v20, v20
	v_cvt_i32_f32_e32 v21, v23
	v_cmp_ngt_f32_e32 vcc, s59, v19
	v_cndmask_b32_e64 v12, v12, v12, s[24:25]
	v_cndmask_b32_e64 v13, v13, v13, s[24:25]
	v_ldexp_f32 v20, v20, v21
	v_cndmask_b32_e32 v20, 0, v20, vcc
	v_cmp_nlt_f32_e32 vcc, s49, v19
	v_cndmask_b32_e32 v252, v223, v20, vcc
	v_add_f32_e32 v19, v252, v18
	v_cndmask_b32_e64 v18, v18, v19, s[22:23]
	v_mul_f32_e32 v19, 0x3fb8aa3b, v10
	v_fma_f32 v20, v10, s58, -v19
	v_rndne_f32_e32 v21, v19
	v_fmac_f32_e32 v20, 0x32a5705f, v10
	v_sub_f32_e32 v19, v19, v21
	v_add_f32_e32 v19, v19, v20
	v_exp_f32_e32 v19, v19
	v_cvt_i32_f32_e32 v20, v21
	v_cmp_ngt_f32_e32 vcc, s59, v10
	v_cndmask_b32_e64 v15, v15, v15, s[4:5]
	v_cndmask_b32_e64 v16, v16, v16, s[4:5]
	v_ldexp_f32 v19, v19, v20
	v_cndmask_b32_e32 v19, 0, v19, vcc
	v_cmp_nlt_f32_e32 vcc, s49, v10
	v_cndmask_b32_e32 v19, v223, v19, vcc
	v_add_f32_e32 v20, v19, v18
	v_mov_b32_e32 v10, s53
	v_cndmask_b32_e64 v160, v10, v19, s[24:25]
	v_cndmask_b32_e64 v10, v18, v20, s[24:25]
	v_mul_f32_e32 v18, 0x3fb8aa3b, v11
	v_fma_f32 v19, v11, s58, -v18
	v_rndne_f32_e32 v20, v18
	v_fmac_f32_e32 v19, 0x32a5705f, v11
	v_sub_f32_e32 v18, v18, v20
	v_add_f32_e32 v18, v18, v19
	v_exp_f32_e32 v18, v18
	v_cvt_i32_f32_e32 v19, v20
	v_cmp_ngt_f32_e32 vcc, s59, v11
	v_cndmask_b32_e64 v17, v17, v17, s[4:5]
	s_add_i32 s69, s69, -1
	v_ldexp_f32 v18, v18, v19
	v_cndmask_b32_e32 v18, 0, v18, vcc
	v_cmp_nlt_f32_e32 vcc, s49, v11
	v_cndmask_b32_e32 v18, v223, v18, vcc
	v_add_f32_e32 v19, v18, v10
	v_mov_b32_e32 v11, s53
	v_cndmask_b32_e64 v156, v11, v18, s[26:27]
	v_cndmask_b32_e64 v11, v10, v19, s[26:27]
	v_sub_f32_e32 v10, v12, v55
	v_mul_f32_e32 v12, 0x3fb8aa3b, v10
	v_fma_f32 v18, v10, s58, -v12
	v_rndne_f32_e32 v19, v12
	v_fmac_f32_e32 v18, 0x32a5705f, v10
	v_sub_f32_e32 v12, v12, v19
	v_add_f32_e32 v12, v12, v18
	v_exp_f32_e32 v12, v12
	v_cvt_i32_f32_e32 v18, v19
	v_cmp_ngt_f32_e32 vcc, s59, v10
	s_cmp_lg_u32 s69, 0
	v_ldexp_f32 v12, v12, v18
	v_cndmask_b32_e32 v12, 0, v12, vcc
	v_cmp_nlt_f32_e32 vcc, s49, v10
	v_cndmask_b32_e32 v12, v223, v12, vcc
	v_add_f32_e32 v18, v12, v11
	v_mov_b32_e32 v10, s53
	v_cndmask_b32_e64 v159, v10, v12, s[28:29]
	v_cndmask_b32_e64 v10, v11, v18, s[28:29]
	v_sub_f32_e32 v11, v13, v55
	v_mul_f32_e32 v12, 0x3fb8aa3b, v11
	v_fma_f32 v13, v11, s58, -v12
	v_rndne_f32_e32 v18, v12
	v_fmac_f32_e32 v13, 0x32a5705f, v11
	v_sub_f32_e32 v12, v12, v18
	v_add_f32_e32 v12, v12, v13
	v_exp_f32_e32 v12, v12
	v_cvt_i32_f32_e32 v13, v18
	v_cmp_ngt_f32_e32 vcc, s59, v11
	v_ldexp_f32 v12, v12, v13
	v_cndmask_b32_e32 v12, 0, v12, vcc
	v_cmp_nlt_f32_e32 vcc, s49, v11
	v_cndmask_b32_e32 v12, v223, v12, vcc
	v_add_f32_e32 v11, v12, v10
	v_cndmask_b32_e64 v11, v10, v11, s[30:31]
	v_sub_f32_e32 v10, v14, v55
	v_mul_f32_e32 v13, 0x3fb8aa3b, v10
	v_fma_f32 v14, v10, s58, -v13
	v_rndne_f32_e32 v18, v13
	v_fmac_f32_e32 v14, 0x32a5705f, v10
	v_sub_f32_e32 v13, v13, v18
	v_add_f32_e32 v13, v13, v14
	v_exp_f32_e32 v13, v13
	v_cvt_i32_f32_e32 v14, v18
	v_cmp_ngt_f32_e32 vcc, s59, v10
	v_ldexp_f32 v13, v13, v14
	v_cndmask_b32_e32 v13, 0, v13, vcc
	v_cmp_nlt_f32_e32 vcc, s49, v10
	v_cndmask_b32_e32 v13, v223, v13, vcc
	v_add_f32_e32 v14, v13, v11
	v_mov_b32_e32 v10, s53
	v_cndmask_b32_e64 v13, v10, v13, s[4:5]
	v_cndmask_b32_e64 v10, v11, v14, s[4:5]
	v_sub_f32_e32 v11, v15, v55
	v_mul_f32_e32 v14, 0x3fb8aa3b, v11
	v_fma_f32 v15, v11, s58, -v14
	v_rndne_f32_e32 v18, v14
	v_fmac_f32_e32 v15, 0x32a5705f, v11
	v_sub_f32_e32 v14, v14, v18
	v_add_f32_e32 v14, v14, v15
	v_exp_f32_e32 v14, v14
	v_cvt_i32_f32_e32 v15, v18
	v_cmp_ngt_f32_e32 vcc, s59, v11
	v_ldexp_f32 v14, v14, v15
	v_cndmask_b32_e32 v14, 0, v14, vcc
	v_cmp_nlt_f32_e32 vcc, s49, v11
	v_cndmask_b32_e32 v14, v223, v14, vcc
	v_add_f32_e32 v15, v14, v10
	v_mov_b32_e32 v11, s53
	v_cndmask_b32_e64 v14, v11, v14, s[34:35]
	;; [unrolled: 18-line block ×3, first 2 shown]
	v_cndmask_b32_e64 v10, v11, v16, s[36:37]
	v_sub_f32_e32 v11, v17, v55
	v_mul_f32_e32 v16, 0x3fb8aa3b, v11
	v_fma_f32 v17, v11, s58, -v16
	v_rndne_f32_e32 v18, v16
	v_fmac_f32_e32 v17, 0x32a5705f, v11
	v_sub_f32_e32 v16, v16, v18
	v_add_f32_e32 v16, v16, v17
	v_exp_f32_e32 v16, v16
	v_cvt_i32_f32_e32 v17, v18
	v_cmp_ngt_f32_e32 vcc, s59, v11
	v_ldexp_f32 v16, v16, v17
	v_cndmask_b32_e32 v16, 0, v16, vcc
	v_cmp_nlt_f32_e32 vcc, s49, v11
	v_cndmask_b32_e32 v16, v223, v16, vcc
	v_add_f32_e32 v11, v16, v10
	v_cndmask_b32_e64 v19, v10, v11, s[38:39]
	v_sub_f32_e32 v10, v245, v55
	v_mul_f32_e32 v11, 0x3fb8aa3b, v10
	v_fma_f32 v17, v10, s58, -v11
	v_rndne_f32_e32 v18, v11
	v_fmac_f32_e32 v17, 0x32a5705f, v10
	v_sub_f32_e32 v11, v11, v18
	v_add_f32_e32 v11, v11, v17
	v_exp_f32_e32 v11, v11
	v_cvt_i32_f32_e32 v17, v18
	v_cmp_ngt_f32_e32 vcc, s59, v10
	v_ldexp_f32 v11, v11, v17
	v_cndmask_b32_e32 v11, 0, v11, vcc
	v_cmp_nlt_f32_e32 vcc, s49, v10
	v_cndmask_b32_e32 v11, v223, v11, vcc
	v_cmp_le_f32_e32 vcc, s88, v10
	v_cndmask_b32_e32 v10, 0, v11, vcc
	v_fmac_f32_e32 v19, v244, v10
	v_cvt_f16_f32_e32 v10, v10
	v_mov_b32_e32 v11, s53
	v_cndmask_b32_e64 v16, v11, v16, s[38:39]
	v_cndmask_b32_e64 v17, v11, v12, s[30:31]
	v_pk_mul_f16 v233, v10, v233 op_sel_hi:[0,1]
	v_pk_mul_f16 v232, v10, v232 op_sel_hi:[0,1]
	;; [unrolled: 1-line block ×10, first 2 shown]
	v_cndmask_b32_e64 v235, v11, v252, s[22:23]
	v_cndmask_b32_e64 v238, v11, v249, s[12:13]
	v_cvt_f16_f32_e32 v10, v13
	v_cvt_f16_f32_e32 v11, v14
	;; [unrolled: 1-line block ×5, first 2 shown]
	v_pack_b32_f16 v10, v10, v11
	v_cvt_f16_f32_e32 v11, v15
	v_cvt_f16_f32_e32 v15, v250
	;; [unrolled: 1-line block ×4, first 2 shown]
	v_pack_b32_f16 v11, v11, v12
	v_cvt_f16_f32_e32 v12, v160
	v_pack_b32_f16 v12, v12, v13
	v_cvt_f16_f32_e32 v13, v159
	v_mov_b32_e32 v159, s55
	v_pack_b32_f16 v13, v13, v14
	v_cvt_f16_f32_e32 v14, v246
	v_pack_b32_f16 v14, v14, v15
	v_cvt_f16_f32_e32 v15, v251
	;; [unrolled: 2-line block ×3, first 2 shown]
	v_cvt_f16_f32_e32 v22, v238
	v_pack_b32_f16 v16, v16, v17
	v_cvt_f16_f32_e32 v17, v248
	v_pack_b32_f16 v17, v17, v22
	v_add_co_u32_e32 v22, vcc, v64, v52
	v_addc_co_u32_e32 v156, vcc, 0, v1, vcc
	v_cndmask_b32_e64 v239, v159, v156, s[10:11]
	v_mov_b32_e32 v156, s54
	v_cndmask_b32_e64 v238, v156, v22, s[10:11]
	flat_load_dwordx4 v[238:241], v[238:239]
	v_add_co_u32_e32 v22, vcc, v66, v52
	v_addc_co_u32_e32 v160, vcc, 0, v27, vcc
	v_add_co_u32_e32 v62, vcc, s60, v62
	s_waitcnt vmcnt(0) lgkmcnt(0)
	ds_write_b128 v126, v[238:241]
	v_cndmask_b32_e64 v239, v159, v160, s[16:17]
	v_cndmask_b32_e64 v238, v156, v22, s[16:17]
	flat_load_dwordx4 v[238:241], v[238:239]
	s_waitcnt vmcnt(0) lgkmcnt(0)
	ds_write_b128 v127, v[238:241]
	s_waitcnt lgkmcnt(0)
	s_barrier
	ds_read_u16 v22, v118 offset:352
	ds_read_u16 v156, v119
	ds_read_u16 v159, v119 offset:32
	v_cvt_f32_f16_e32 v238, v233
	v_cvt_f32_f16_sdwa v239, v233 dst_sel:DWORD dst_unused:UNUSED_PAD src0_sel:WORD_1
	v_cvt_f32_f16_e32 v240, v232
	s_waitcnt lgkmcnt(1)
	v_perm_b32 v233, v156, v22, s56
	ds_read_u16 v22, v138
	ds_read_u16 v156, v138 offset:32
	ds_read_u16 v160, v118 offset:176
	;; [unrolled: 1-line block ×3, first 2 shown]
	v_cvt_f32_f16_sdwa v241, v232 dst_sel:DWORD dst_unused:UNUSED_PAD src0_sel:WORD_1
	ds_read_u16 v235, v138 offset:2816
	ds_read_u16 v243, v118 offset:2992
	;; [unrolled: 1-line block ×4, first 2 shown]
	s_waitcnt lgkmcnt(5)
	v_perm_b32 v232, v160, v22, s56
	s_nop 1
	v_mfma_f32_16x16x16f16 v[238:241], v[232:233], v[16:17], v[238:241]
	s_nop 7
	s_nop 2
	v_cvt_f16_f32_e32 v232, v240
	v_cvt_f16_f32_e32 v233, v241
	;; [unrolled: 1-line block ×4, first 2 shown]
	v_cvt_f32_f16_e32 v240, v232
	v_cvt_f32_f16_e32 v241, v233
	s_waitcnt lgkmcnt(0)
	v_perm_b32 v233, v246, v245, s56
	v_perm_b32 v232, v243, v235, s56
	v_cvt_f32_f16_e32 v238, v22
	v_cvt_f32_f16_e32 v239, v160
	ds_read_u16 v235, v138 offset:5632
	ds_read_u16 v243, v118 offset:5808
	;; [unrolled: 1-line block ×4, first 2 shown]
	v_mfma_f32_16x16x16f16 v[238:241], v[232:233], v[14:15], v[238:241]
	s_nop 7
	s_nop 2
	v_cvt_f16_f32_e32 v232, v240
	v_cvt_f16_f32_e32 v233, v241
	;; [unrolled: 1-line block ×4, first 2 shown]
	v_cvt_f32_f16_e32 v240, v232
	v_cvt_f32_f16_e32 v241, v233
	s_waitcnt lgkmcnt(0)
	v_perm_b32 v233, v246, v245, s56
	v_perm_b32 v232, v243, v235, s56
	v_cvt_f32_f16_e32 v238, v22
	v_cvt_f32_f16_e32 v239, v160
	ds_read_u16 v235, v138 offset:8448
	ds_read_u16 v243, v118 offset:8624
	;; [unrolled: 1-line block ×4, first 2 shown]
	v_mfma_f32_16x16x16f16 v[238:241], v[232:233], v[12:13], v[238:241]
	s_nop 7
	s_nop 2
	v_cvt_f16_f32_e32 v232, v240
	v_cvt_f16_f32_e32 v233, v241
	;; [unrolled: 1-line block ×4, first 2 shown]
	v_cvt_f32_f16_e32 v240, v232
	v_cvt_f32_f16_e32 v241, v233
	s_waitcnt lgkmcnt(0)
	v_perm_b32 v233, v246, v245, s56
	v_perm_b32 v232, v243, v235, s56
	v_cvt_f32_f16_e32 v238, v22
	v_cvt_f32_f16_e32 v239, v160
	s_nop 1
	v_mfma_f32_16x16x16f16 v[238:241], v[232:233], v[10:11], v[238:241]
	s_nop 7
	s_nop 2
	v_cvt_f16_f32_e32 v22, v238
	v_cvt_f16_f32_e32 v160, v239
	;; [unrolled: 1-line block ×4, first 2 shown]
	v_cvt_f32_f16_e32 v240, v234
	v_pack_b32_f16 v233, v22, v160
	ds_read_u16 v22, v139 offset:352
	v_pack_b32_f16 v232, v232, v235
	v_cvt_f32_f16_sdwa v241, v234 dst_sel:DWORD dst_unused:UNUSED_PAD src0_sel:WORD_1
	v_perm_b32 v234, v242, v156, s56
	v_cvt_f32_f16_e32 v238, v244
	s_waitcnt lgkmcnt(0)
	v_perm_b32 v235, v159, v22, s56
	v_cvt_f32_f16_sdwa v239, v244 dst_sel:DWORD dst_unused:UNUSED_PAD src0_sel:WORD_1
	s_nop 1
	v_mfma_f32_16x16x16f16 v[238:241], v[234:235], v[16:17], v[238:241]
	ds_read_u16 v234, v138 offset:2848
	ds_read_u16 v242, v118 offset:3024
	ds_read_u16 v235, v123 offset:352
	ds_read_u16 v243, v119 offset:2848
	s_waitcnt lgkmcnt(2)
	v_perm_b32 v234, v242, v234, s56
	s_waitcnt lgkmcnt(0)
	v_perm_b32 v235, v243, v235, s56
	s_nop 2
	v_cvt_f16_f32_e32 v22, v238
	v_cvt_f16_f32_e32 v156, v239
	v_cvt_f16_f32_e32 v159, v240
	v_cvt_f16_f32_e32 v160, v241
	v_cvt_f32_f16_e32 v238, v22
	v_cvt_f32_f16_e32 v239, v156
	v_cvt_f32_f16_e32 v240, v159
	v_cvt_f32_f16_e32 v241, v160
	s_nop 1
	v_mfma_f32_16x16x16f16 v[238:241], v[234:235], v[14:15], v[238:241]
	ds_read_u16 v234, v138 offset:5664
	ds_read_u16 v242, v118 offset:5840
	ds_read_u16 v235, v124 offset:352
	ds_read_u16 v243, v119 offset:5664
	s_waitcnt lgkmcnt(2)
	v_perm_b32 v234, v242, v234, s56
	s_waitcnt lgkmcnt(0)
	v_perm_b32 v235, v243, v235, s56
	s_nop 2
	v_cvt_f16_f32_e32 v22, v238
	v_cvt_f16_f32_e32 v156, v239
	v_cvt_f16_f32_e32 v159, v240
	v_cvt_f16_f32_e32 v160, v241
	v_cvt_f32_f16_e32 v238, v22
	v_cvt_f32_f16_e32 v239, v156
	v_cvt_f32_f16_e32 v240, v159
	v_cvt_f32_f16_e32 v241, v160
	;; [unrolled: 19-line block ×3, first 2 shown]
	s_nop 1
	v_mfma_f32_16x16x16f16 v[238:241], v[234:235], v[10:11], v[238:241]
	s_nop 7
	s_nop 2
	v_cvt_f16_f32_e32 v22, v238
	v_cvt_f16_f32_e32 v156, v239
	;; [unrolled: 1-line block ×4, first 2 shown]
	v_cvt_f32_f16_e32 v238, v25
	v_pack_b32_f16 v234, v22, v156
	v_cvt_f32_f16_sdwa v239, v25 dst_sel:DWORD dst_unused:UNUSED_PAD src0_sel:WORD_1
	v_pack_b32_f16 v235, v159, v160
	ds_read_u16 v22, v138 offset:64
	ds_read_u16 v156, v118 offset:240
	;; [unrolled: 1-line block ×4, first 2 shown]
	v_cvt_f32_f16_e32 v240, v24
	v_cvt_f32_f16_sdwa v241, v24 dst_sel:DWORD dst_unused:UNUSED_PAD src0_sel:WORD_1
	s_waitcnt lgkmcnt(2)
	v_perm_b32 v24, v156, v22, s56
	s_waitcnt lgkmcnt(0)
	v_perm_b32 v25, v160, v159, s56
	ds_read_u16 v159, v138 offset:2880
	ds_read_u16 v160, v118 offset:3056
	ds_read_u16 v242, v130 offset:352
	ds_read_u16 v243, v119 offset:2880
	v_mfma_f32_16x16x16f16 v[238:241], v[24:25], v[16:17], v[238:241]
	s_nop 7
	s_nop 2
	v_cvt_f16_f32_e32 v24, v239
	v_cvt_f16_f32_e32 v25, v240
	v_cvt_f16_f32_e32 v22, v238
	v_cvt_f16_f32_e32 v156, v241
	v_cvt_f32_f16_e32 v239, v24
	v_cvt_f32_f16_e32 v240, v25
	s_waitcnt lgkmcnt(0)
	v_perm_b32 v25, v243, v242, s56
	v_perm_b32 v24, v160, v159, s56
	v_cvt_f32_f16_e32 v238, v22
	v_cvt_f32_f16_e32 v241, v156
	ds_read_u16 v159, v138 offset:5696
	ds_read_u16 v160, v118 offset:5872
	ds_read_u16 v242, v134 offset:352
	ds_read_u16 v243, v119 offset:5696
	v_mfma_f32_16x16x16f16 v[238:241], v[24:25], v[14:15], v[238:241]
	s_nop 7
	s_nop 2
	v_cvt_f16_f32_e32 v24, v239
	v_cvt_f16_f32_e32 v25, v240
	v_cvt_f16_f32_e32 v22, v238
	v_cvt_f16_f32_e32 v156, v241
	v_cvt_f32_f16_e32 v239, v24
	v_cvt_f32_f16_e32 v240, v25
	s_waitcnt lgkmcnt(0)
	v_perm_b32 v25, v243, v242, s56
	v_perm_b32 v24, v160, v159, s56
	v_cvt_f32_f16_e32 v238, v22
	v_cvt_f32_f16_e32 v241, v156
	;; [unrolled: 18-line block ×3, first 2 shown]
	s_nop 1
	v_mfma_f32_16x16x16f16 v[238:241], v[24:25], v[10:11], v[238:241]
	s_nop 7
	s_nop 2
	v_cvt_f16_f32_e32 v25, v240
	v_cvt_f16_f32_e32 v156, v241
	;; [unrolled: 1-line block ×4, first 2 shown]
	v_pack_b32_f16 v238, v25, v156
	ds_read_u16 v156, v138 offset:96
	ds_read_u16 v159, v118 offset:272
	;; [unrolled: 1-line block ×4, first 2 shown]
	v_pack_b32_f16 v239, v22, v24
	v_cvt_f32_f16_e32 v22, v23
	v_cvt_f32_f16_sdwa v23, v23 dst_sel:DWORD dst_unused:UNUSED_PAD src0_sel:WORD_1
	v_cvt_f32_f16_e32 v24, v21
	s_waitcnt lgkmcnt(0)
	v_perm_b32 v241, v240, v160, s56
	v_perm_b32 v240, v159, v156, s56
	v_cvt_f32_f16_sdwa v25, v21 dst_sel:DWORD dst_unused:UNUSED_PAD src0_sel:WORD_1
	s_nop 1
	v_mfma_f32_16x16x16f16 v[22:25], v[240:241], v[16:17], v[22:25]
	ds_read_u16 v156, v138 offset:2912
	ds_read_u16 v159, v118 offset:3088
	ds_read_u16 v160, v143 offset:352
	ds_read_u16 v240, v119 offset:2912
	s_waitcnt lgkmcnt(0)
	v_perm_b32 v241, v240, v160, s56
	v_perm_b32 v240, v159, v156, s56
	s_nop 3
	v_cvt_f16_f32_e32 v21, v22
	v_cvt_f16_f32_e32 v23, v23
	v_cvt_f16_f32_e32 v24, v24
	v_cvt_f16_f32_e32 v25, v25
	v_cvt_f32_f16_e32 v22, v21
	v_cvt_f32_f16_e32 v23, v23
	v_cvt_f32_f16_e32 v24, v24
	v_cvt_f32_f16_e32 v25, v25
	s_nop 1
	v_mfma_f32_16x16x16f16 v[22:25], v[240:241], v[14:15], v[22:25]
	ds_read_u16 v156, v138 offset:5728
	ds_read_u16 v159, v118 offset:5904
	ds_read_u16 v160, v144 offset:352
	ds_read_u16 v240, v119 offset:5728
	s_waitcnt lgkmcnt(0)
	v_perm_b32 v241, v240, v160, s56
	v_perm_b32 v240, v159, v156, s56
	s_nop 3
	v_cvt_f16_f32_e32 v21, v22
	v_cvt_f16_f32_e32 v23, v23
	v_cvt_f16_f32_e32 v24, v24
	v_cvt_f16_f32_e32 v25, v25
	v_cvt_f32_f16_e32 v22, v21
	v_cvt_f32_f16_e32 v23, v23
	v_cvt_f32_f16_e32 v24, v24
	v_cvt_f32_f16_e32 v25, v25
	;; [unrolled: 18-line block ×3, first 2 shown]
	s_nop 1
	v_mfma_f32_16x16x16f16 v[22:25], v[240:241], v[10:11], v[22:25]
	s_nop 7
	s_nop 2
	v_cvt_f16_f32_e32 v21, v22
	v_cvt_f16_f32_e32 v22, v23
	;; [unrolled: 1-line block ×4, first 2 shown]
	v_cvt_f32_f16_sdwa v25, v18 dst_sel:DWORD dst_unused:UNUSED_PAD src0_sel:WORD_1
	v_pack_b32_f16 v241, v21, v22
	ds_read_u16 v156, v138 offset:128
	ds_read_u16 v159, v118 offset:304
	;; [unrolled: 1-line block ×4, first 2 shown]
	v_pack_b32_f16 v240, v23, v24
	v_cvt_f32_f16_e32 v22, v20
	v_cvt_f32_f16_sdwa v23, v20 dst_sel:DWORD dst_unused:UNUSED_PAD src0_sel:WORD_1
	s_waitcnt lgkmcnt(2)
	v_perm_b32 v20, v159, v156, s56
	s_waitcnt lgkmcnt(0)
	v_perm_b32 v21, v160, v21, s56
	v_cvt_f32_f16_e32 v24, v18
	s_nop 1
	v_mfma_f32_16x16x16f16 v[20:23], v[20:21], v[16:17], v[22:25]
	s_nop 6
	ds_read_u16 v24, v138 offset:2944
	ds_read_u16 v25, v118 offset:3120
	ds_read_u16 v156, v147 offset:352
	ds_read_u16 v159, v119 offset:2944
	v_cvt_f16_f32_e32 v16, v20
	v_cvt_f16_f32_e32 v17, v21
	;; [unrolled: 1-line block ×4, first 2 shown]
	v_cvt_f32_f16_e32 v20, v16
	v_cvt_f32_f16_e32 v21, v17
	s_waitcnt lgkmcnt(0)
	v_perm_b32 v17, v159, v156, s56
	v_perm_b32 v16, v25, v24, s56
	v_cvt_f32_f16_e32 v22, v18
	v_cvt_f32_f16_e32 v23, v23
	s_nop 1
	v_mfma_f32_16x16x16f16 v[14:17], v[16:17], v[14:15], v[20:23]
	ds_read_u16 v18, v138 offset:5760
	s_nop 5
	ds_read_u16 v20, v118 offset:5936
	ds_read_u16 v21, v148 offset:352
	;; [unrolled: 1-line block ×3, first 2 shown]
	s_waitcnt lgkmcnt(2)
	v_perm_b32 v20, v20, v18, s56
	s_waitcnt lgkmcnt(0)
	v_perm_b32 v21, v22, v21, s56
	v_cvt_f16_f32_e32 v14, v14
	v_cvt_f16_f32_e32 v15, v15
	;; [unrolled: 1-line block ×4, first 2 shown]
	v_cvt_f32_f16_e32 v14, v14
	v_cvt_f32_f16_e32 v15, v15
	;; [unrolled: 1-line block ×4, first 2 shown]
	s_nop 1
	v_mfma_f32_16x16x16f16 v[14:17], v[20:21], v[12:13], v[14:17]
	s_nop 7
	s_nop 2
	v_cvt_f16_f32_e32 v13, v14
	v_cvt_f16_f32_e32 v14, v15
	;; [unrolled: 1-line block ×4, first 2 shown]
	ds_read_u16 v12, v138 offset:8576
	ds_read_u16 v17, v118 offset:8752
	;; [unrolled: 1-line block ×4, first 2 shown]
	v_cvt_f32_f16_e32 v22, v13
	v_cvt_f32_f16_e32 v23, v14
	s_waitcnt lgkmcnt(2)
	v_perm_b32 v12, v17, v12, s56
	v_cvt_f32_f16_e32 v24, v15
	s_waitcnt lgkmcnt(0)
	v_perm_b32 v13, v20, v18, s56
	v_cvt_f32_f16_e32 v25, v16
	s_barrier
	s_nop 0
	v_mfma_f32_16x16x16f16 v[10:13], v[12:13], v[10:11], v[22:25]
	s_nop 7
	s_nop 2
	v_cvt_f16_f32_e32 v10, v10
	v_cvt_f16_f32_e32 v11, v11
	;; [unrolled: 1-line block ×4, first 2 shown]
	v_pack_b32_f16 v243, v10, v11
	v_mov_b32_e32 v10, s61
	v_addc_co_u32_e32 v63, vcc, v63, v10, vcc
	v_add_co_u32_e32 v64, vcc, s60, v64
	v_addc_co_u32_e32 v1, vcc, v1, v10, vcc
	v_add_co_u32_e32 v66, vcc, s60, v66
	;; [unrolled: 2-line block ×3, first 2 shown]
	v_mov_b32_e32 v10, s41
	v_addc_co_u32_e32 v69, vcc, v69, v10, vcc
	v_add_co_u32_e32 v70, vcc, s40, v70
	v_addc_co_u32_e32 v29, vcc, v29, v10, vcc
	v_add_co_u32_e32 v72, vcc, s40, v72
	v_addc_co_u32_e32 v31, vcc, v31, v10, vcc
	v_add_co_u32_e32 v74, vcc, s33, v74
	v_addc_co_u32_e32 v75, vcc, 0, v75, vcc
	v_add_co_u32_e32 v76, vcc, s33, v76
	v_addc_co_u32_e32 v77, vcc, 0, v77, vcc
	v_add_co_u32_e32 v78, vcc, s33, v78
	v_addc_co_u32_e32 v79, vcc, 0, v79, vcc
	v_add_co_u32_e32 v80, vcc, s33, v80
	v_addc_co_u32_e32 v81, vcc, 0, v81, vcc
	v_add_co_u32_e32 v82, vcc, s33, v82
	v_addc_co_u32_e32 v83, vcc, 0, v83, vcc
	v_add_co_u32_e32 v84, vcc, s33, v84
	v_addc_co_u32_e32 v85, vcc, 0, v85, vcc
	v_add_co_u32_e32 v86, vcc, s33, v86
	v_addc_co_u32_e32 v87, vcc, 0, v87, vcc
	v_add_co_u32_e32 v88, vcc, s33, v88
	v_addc_co_u32_e32 v89, vcc, 0, v89, vcc
	v_add_co_u32_e32 v90, vcc, s33, v90
	v_addc_co_u32_e32 v91, vcc, 0, v91, vcc
	v_add_co_u32_e32 v92, vcc, s33, v92
	v_addc_co_u32_e32 v93, vcc, 0, v93, vcc
	v_add_co_u32_e32 v94, vcc, s33, v94
	v_addc_co_u32_e32 v95, vcc, 0, v95, vcc
	v_add_co_u32_e32 v96, vcc, s33, v96
	v_addc_co_u32_e32 v97, vcc, 0, v97, vcc
	v_add_co_u32_e32 v98, vcc, s33, v98
	v_addc_co_u32_e32 v99, vcc, 0, v99, vcc
	v_add_co_u32_e32 v100, vcc, 0x80, v100
	v_addc_co_u32_e32 v101, vcc, 0, v101, vcc
	v_add_co_u32_e32 v102, vcc, 0x80, v102
	v_addc_co_u32_e32 v103, vcc, 0, v103, vcc
	v_add_co_u32_e32 v104, vcc, 0x80, v104
	v_pack_b32_f16 v242, v12, v13
	v_addc_co_u32_e32 v105, vcc, 0, v105, vcc
	s_cbranch_scc0 .LBB9_222
; %bb.220:                              ;   in Loop: Header=BB9_213 Depth=2
	v_mov_b32_e32 v244, v19
	v_mov_b32_e32 v245, v55
	v_cndmask_b32_e64 v10, 0, 1, s[62:63]
	v_cmp_ne_u32_e64 s[64:65], 1, v10
	s_andn2_b64 vcc, exec, s[62:63]
	s_cbranch_vccz .LBB9_204
	s_branch .LBB9_213
.LBB9_221:                              ;   in Loop: Header=BB9_13 Depth=1
	v_mov_b32_e32 v19, 0
	v_mov_b32_e32 v55, 0xfeffffff
	;; [unrolled: 1-line block ×11, first 2 shown]
.LBB9_222:                              ;   in Loop: Header=BB9_13 Depth=1
	s_lshl_b32 s52, s52, 6
	v_readlane_b32 s42, v253, 4
	v_cmp_eq_u64_e32 vcc, 0, v[56:57]
	s_sub_i32 s46, s42, s52
	v_cmp_ne_u64_e64 s[66:67], 0, v[56:57]
	v_readlane_b32 s43, v253, 5
	s_cbranch_vccnz .LBB9_240
; %bb.223:                              ;   in Loop: Header=BB9_13 Depth=1
	v_cmp_le_i32_e32 vcc, s46, v26
                                        ; implicit-def: $sgpr47
	s_and_saveexec_b64 s[42:43], vcc
	s_xor_b64 s[42:43], exec, s[42:43]
	s_cbranch_execz .LBB9_225
; %bb.224:                              ;   in Loop: Header=BB9_13 Depth=1
	ds_write_b16 v108, v175 offset:11264
	ds_write_b16 v177, v175 offset:11264
	s_mov_b32 s47, 0
.LBB9_225:                              ;   in Loop: Header=BB9_13 Depth=1
	s_or_saveexec_b64 s[64:65], s[42:43]
	s_lshl_b64 s[42:43], s[52:53], 1
	v_mov_b32_e32 v1, s43
	v_add_co_u32_e64 v10, s[62:63], s42, v56
	v_addc_co_u32_e64 v11, s[62:63], v57, v1, s[62:63]
	v_lshlrev_b32_e32 v1, 1, v26
	v_add_co_u32_e64 v1, s[62:63], v10, v1
	v_addc_co_u32_e64 v10, s[62:63], 0, v11, s[62:63]
	v_mov_b32_e32 v11, s47
	v_mov_b32_e32 v12, s47
	s_xor_b64 exec, exec, s[64:65]
	s_cbranch_execz .LBB9_227
; %bb.226:                              ;   in Loop: Header=BB9_13 Depth=1
	v_add_u32_e32 v11, s68, v35
	v_readlane_b32 s70, v253, 15
	v_mul_hi_u32 v12, s70, v11
	v_readlane_b32 s71, v253, 16
	v_add_u32_e32 v12, v11, v12
	v_lshrrev_b32_e32 v12, s71, v12
	v_readlane_b32 s72, v253, 51
	v_readlane_b32 s74, v253, 53
	;; [unrolled: 1-line block ×3, first 2 shown]
	v_mul_lo_u32 v12, v12, s72
	v_sub_u32_e32 v11, v11, v12
	v_readlane_b32 s74, v253, 61
	v_mad_i64_i32 v[12:13], s[42:43], v11, s74, 0
	v_lshlrev_b64 v[12:13], 1, v[12:13]
	v_add_co_u32_e64 v12, s[62:63], v1, v12
	v_addc_co_u32_e64 v13, s[62:63], v10, v13, s[62:63]
	flat_load_ushort v11, v[12:13]
	v_add_u32_e32 v12, s68, v176
	v_mul_hi_u32 v13, s70, v12
	v_add_u32_e32 v13, v12, v13
	v_lshrrev_b32_e32 v13, s71, v13
	v_mul_lo_u32 v13, v13, s72
	v_sub_u32_e32 v12, v12, v13
	v_mad_i64_i32 v[12:13], s[42:43], v12, s74, 0
	v_lshlrev_b64 v[12:13], 1, v[12:13]
	v_add_co_u32_e64 v12, s[62:63], v1, v12
	v_addc_co_u32_e64 v13, s[62:63], v10, v13, s[62:63]
	flat_load_ushort v12, v[12:13]
	v_readlane_b32 s73, v253, 52
	v_readlane_b32 s75, v253, 62
	s_waitcnt vmcnt(0) lgkmcnt(0)
	ds_write_b16 v108, v11 offset:11264
	ds_write_b16 v177, v12 offset:11264
	v_add_u32_e32 v11, s68, v178
	v_mul_hi_u32 v12, s70, v11
	v_add_u32_e32 v12, v11, v12
	v_lshrrev_b32_e32 v12, s71, v12
	v_mul_lo_u32 v12, v12, s72
	v_sub_u32_e32 v11, v11, v12
	v_mad_i64_i32 v[12:13], s[42:43], v11, s74, 0
	v_lshlrev_b64 v[12:13], 1, v[12:13]
	v_add_co_u32_e64 v12, s[62:63], v1, v12
	v_addc_co_u32_e64 v13, s[62:63], v10, v13, s[62:63]
	flat_load_ushort v11, v[12:13]
	v_add_u32_e32 v12, s68, v180
	v_mul_hi_u32 v13, s70, v12
	v_add_u32_e32 v13, v12, v13
	v_lshrrev_b32_e32 v13, s71, v13
	v_mul_lo_u32 v13, v13, s72
	v_sub_u32_e32 v12, v12, v13
	v_mad_i64_i32 v[12:13], s[42:43], v12, s74, 0
	v_lshlrev_b64 v[12:13], 1, v[12:13]
	v_add_co_u32_e64 v12, s[62:63], v1, v12
	v_addc_co_u32_e64 v13, s[62:63], v10, v13, s[62:63]
	flat_load_ushort v12, v[12:13]
.LBB9_227:                              ;   in Loop: Header=BB9_13 Depth=1
	s_or_b64 exec, exec, s[64:65]
	s_waitcnt vmcnt(0) lgkmcnt(0)
	ds_write_b16 v179, v11 offset:11264
	ds_write_b16 v181, v12 offset:11264
                                        ; implicit-def: $sgpr47
	s_and_saveexec_b64 s[42:43], vcc
	s_xor_b64 s[42:43], exec, s[42:43]
	s_cbranch_execz .LBB9_229
; %bb.228:                              ;   in Loop: Header=BB9_13 Depth=1
	ds_write_b16 v183, v175 offset:11264
	ds_write_b16 v185, v175 offset:11264
	s_mov_b32 s47, 0
.LBB9_229:                              ;   in Loop: Header=BB9_13 Depth=1
	s_or_saveexec_b64 s[64:65], s[42:43]
	v_mov_b32_e32 v11, s47
	v_mov_b32_e32 v12, s47
	s_xor_b64 exec, exec, s[64:65]
	s_cbranch_execz .LBB9_231
; %bb.230:                              ;   in Loop: Header=BB9_13 Depth=1
	v_add_u32_e32 v11, s68, v182
	v_readlane_b32 s70, v253, 15
	v_mul_hi_u32 v12, s70, v11
	v_readlane_b32 s71, v253, 16
	v_add_u32_e32 v12, v11, v12
	v_lshrrev_b32_e32 v12, s71, v12
	v_readlane_b32 s72, v253, 51
	v_readlane_b32 s74, v253, 53
	v_mul_lo_u32 v12, v12, s72
	v_readlane_b32 s42, v253, 61
	v_sub_u32_e32 v11, v11, v12
	v_readlane_b32 s43, v253, 62
	s_mov_b32 s74, s42
	v_mad_i64_i32 v[12:13], s[42:43], v11, s74, 0
	v_lshlrev_b64 v[12:13], 1, v[12:13]
	v_add_co_u32_e64 v12, s[62:63], v1, v12
	v_addc_co_u32_e64 v13, s[62:63], v10, v13, s[62:63]
	flat_load_ushort v11, v[12:13]
	v_add_u32_e32 v12, s68, v184
	v_mul_hi_u32 v13, s70, v12
	v_add_u32_e32 v13, v12, v13
	v_lshrrev_b32_e32 v13, s71, v13
	v_mul_lo_u32 v13, v13, s72
	v_sub_u32_e32 v12, v12, v13
	v_mad_i64_i32 v[12:13], s[42:43], v12, s74, 0
	v_lshlrev_b64 v[12:13], 1, v[12:13]
	v_add_co_u32_e64 v12, s[62:63], v1, v12
	v_addc_co_u32_e64 v13, s[62:63], v10, v13, s[62:63]
	flat_load_ushort v12, v[12:13]
	v_readlane_b32 s73, v253, 52
	v_readlane_b32 s75, v253, 54
	s_waitcnt vmcnt(0) lgkmcnt(0)
	ds_write_b16 v183, v11 offset:11264
	ds_write_b16 v185, v12 offset:11264
	v_add_u32_e32 v11, s68, v186
	v_mul_hi_u32 v12, s70, v11
	v_add_u32_e32 v12, v11, v12
	v_lshrrev_b32_e32 v12, s71, v12
	v_mul_lo_u32 v12, v12, s72
	v_sub_u32_e32 v11, v11, v12
	v_mad_i64_i32 v[12:13], s[42:43], v11, s74, 0
	v_lshlrev_b64 v[12:13], 1, v[12:13]
	v_add_co_u32_e64 v12, s[62:63], v1, v12
	v_addc_co_u32_e64 v13, s[62:63], v10, v13, s[62:63]
	flat_load_ushort v11, v[12:13]
	v_add_u32_e32 v12, s68, v188
	v_mul_hi_u32 v13, s70, v12
	v_add_u32_e32 v13, v12, v13
	v_lshrrev_b32_e32 v13, s71, v13
	v_mul_lo_u32 v13, v13, s72
	v_sub_u32_e32 v12, v12, v13
	v_mad_i64_i32 v[12:13], s[42:43], v12, s74, 0
	v_lshlrev_b64 v[12:13], 1, v[12:13]
	v_add_co_u32_e64 v12, s[62:63], v1, v12
	v_addc_co_u32_e64 v13, s[62:63], v10, v13, s[62:63]
	flat_load_ushort v12, v[12:13]
.LBB9_231:                              ;   in Loop: Header=BB9_13 Depth=1
	s_or_b64 exec, exec, s[64:65]
	s_waitcnt vmcnt(0) lgkmcnt(0)
	ds_write_b16 v187, v11 offset:11264
	ds_write_b16 v189, v12 offset:11264
                                        ; implicit-def: $sgpr47
	s_and_saveexec_b64 s[42:43], vcc
	s_xor_b64 s[42:43], exec, s[42:43]
	s_cbranch_execz .LBB9_233
; %bb.232:                              ;   in Loop: Header=BB9_13 Depth=1
	ds_write_b16 v191, v175 offset:11264
	ds_write_b16 v193, v175 offset:11264
	s_mov_b32 s47, 0
.LBB9_233:                              ;   in Loop: Header=BB9_13 Depth=1
	s_or_saveexec_b64 s[64:65], s[42:43]
	v_mov_b32_e32 v11, s47
	v_mov_b32_e32 v12, s47
	s_xor_b64 exec, exec, s[64:65]
	s_cbranch_execz .LBB9_235
; %bb.234:                              ;   in Loop: Header=BB9_13 Depth=1
	v_add_u32_e32 v11, s68, v190
	v_readlane_b32 s70, v253, 15
	v_mul_hi_u32 v12, s70, v11
	v_readlane_b32 s71, v253, 16
	v_add_u32_e32 v12, v11, v12
	v_lshrrev_b32_e32 v12, s71, v12
	v_readlane_b32 s72, v253, 51
	v_readlane_b32 s74, v253, 53
	v_mul_lo_u32 v12, v12, s72
	v_readlane_b32 s42, v253, 61
	v_sub_u32_e32 v11, v11, v12
	v_readlane_b32 s43, v253, 62
	s_mov_b32 s74, s42
	v_mad_i64_i32 v[12:13], s[42:43], v11, s74, 0
	v_lshlrev_b64 v[12:13], 1, v[12:13]
	v_add_co_u32_e64 v12, s[62:63], v1, v12
	v_addc_co_u32_e64 v13, s[62:63], v10, v13, s[62:63]
	flat_load_ushort v11, v[12:13]
	v_add_u32_e32 v12, s68, v192
	v_mul_hi_u32 v13, s70, v12
	v_add_u32_e32 v13, v12, v13
	v_lshrrev_b32_e32 v13, s71, v13
	v_mul_lo_u32 v13, v13, s72
	v_sub_u32_e32 v12, v12, v13
	v_mad_i64_i32 v[12:13], s[42:43], v12, s74, 0
	v_lshlrev_b64 v[12:13], 1, v[12:13]
	v_add_co_u32_e64 v12, s[62:63], v1, v12
	v_addc_co_u32_e64 v13, s[62:63], v10, v13, s[62:63]
	flat_load_ushort v12, v[12:13]
	v_readlane_b32 s73, v253, 52
	v_readlane_b32 s75, v253, 54
	s_waitcnt vmcnt(0) lgkmcnt(0)
	ds_write_b16 v191, v11 offset:11264
	ds_write_b16 v193, v12 offset:11264
	v_add_u32_e32 v11, s68, v194
	v_mul_hi_u32 v12, s70, v11
	v_add_u32_e32 v12, v11, v12
	v_lshrrev_b32_e32 v12, s71, v12
	v_mul_lo_u32 v12, v12, s72
	v_sub_u32_e32 v11, v11, v12
	v_mad_i64_i32 v[12:13], s[42:43], v11, s74, 0
	v_lshlrev_b64 v[12:13], 1, v[12:13]
	v_add_co_u32_e64 v12, s[62:63], v1, v12
	v_addc_co_u32_e64 v13, s[62:63], v10, v13, s[62:63]
	flat_load_ushort v11, v[12:13]
	v_add_u32_e32 v12, s68, v196
	v_mul_hi_u32 v13, s70, v12
	v_add_u32_e32 v13, v12, v13
	v_lshrrev_b32_e32 v13, s71, v13
	v_mul_lo_u32 v13, v13, s72
	v_sub_u32_e32 v12, v12, v13
	v_mad_i64_i32 v[12:13], s[42:43], v12, s74, 0
	v_lshlrev_b64 v[12:13], 1, v[12:13]
	v_add_co_u32_e64 v12, s[62:63], v1, v12
	v_addc_co_u32_e64 v13, s[62:63], v10, v13, s[62:63]
	flat_load_ushort v12, v[12:13]
.LBB9_235:                              ;   in Loop: Header=BB9_13 Depth=1
	s_or_b64 exec, exec, s[64:65]
	s_waitcnt vmcnt(0) lgkmcnt(0)
	ds_write_b16 v195, v11 offset:11264
	ds_write_b16 v197, v12 offset:11264
                                        ; implicit-def: $sgpr47
	s_and_saveexec_b64 s[42:43], vcc
	s_xor_b64 s[42:43], exec, s[42:43]
	s_cbranch_execz .LBB9_237
; %bb.236:                              ;   in Loop: Header=BB9_13 Depth=1
	ds_write_b16 v199, v175 offset:11264
	ds_write_b16 v201, v175 offset:11264
	s_mov_b32 s47, 0
                                        ; implicit-def: $vgpr1
                                        ; implicit-def: $vgpr10
.LBB9_237:                              ;   in Loop: Header=BB9_13 Depth=1
	s_or_saveexec_b64 s[62:63], s[42:43]
	v_mov_b32_e32 v11, s47
	v_mov_b32_e32 v12, s47
	s_xor_b64 exec, exec, s[62:63]
	s_cbranch_execz .LBB9_239
; %bb.238:                              ;   in Loop: Header=BB9_13 Depth=1
	v_add_u32_e32 v11, s68, v198
	v_readlane_b32 s70, v253, 15
	v_mul_hi_u32 v12, s70, v11
	v_readlane_b32 s71, v253, 16
	v_add_u32_e32 v12, v11, v12
	v_readlane_b32 s72, v253, 51
	v_lshrrev_b32_e32 v12, s71, v12
	s_mov_b32 s64, s72
	v_mul_lo_u32 v12, v12, s64
	v_readlane_b32 s42, v253, 61
	v_sub_u32_e32 v11, v11, v12
	v_readlane_b32 s43, v253, 62
	s_mov_b32 s72, s42
	v_mad_i64_i32 v[12:13], s[42:43], v11, s72, 0
	v_lshlrev_b64 v[12:13], 1, v[12:13]
	v_add_co_u32_e32 v12, vcc, v1, v12
	v_addc_co_u32_e32 v13, vcc, v10, v13, vcc
	flat_load_ushort v11, v[12:13]
	v_add_u32_e32 v12, s68, v200
	v_mul_hi_u32 v13, s70, v12
	v_add_u32_e32 v13, v12, v13
	v_lshrrev_b32_e32 v13, s71, v13
	v_mul_lo_u32 v13, v13, s64
	v_sub_u32_e32 v12, v12, v13
	v_mad_i64_i32 v[12:13], s[42:43], v12, s72, 0
	v_lshlrev_b64 v[12:13], 1, v[12:13]
	v_add_co_u32_e32 v12, vcc, v1, v12
	v_addc_co_u32_e32 v13, vcc, v10, v13, vcc
	flat_load_ushort v12, v[12:13]
	v_readlane_b32 s73, v253, 52
	v_readlane_b32 s74, v253, 53
	;; [unrolled: 1-line block ×3, first 2 shown]
	s_waitcnt vmcnt(0) lgkmcnt(0)
	ds_write_b16 v199, v11 offset:11264
	ds_write_b16 v201, v12 offset:11264
	v_add_u32_e32 v11, s68, v202
	v_mul_hi_u32 v12, s70, v11
	v_add_u32_e32 v12, v11, v12
	v_lshrrev_b32_e32 v12, s71, v12
	v_mul_lo_u32 v12, v12, s64
	v_sub_u32_e32 v11, v11, v12
	v_mad_i64_i32 v[12:13], s[42:43], v11, s72, 0
	v_lshlrev_b64 v[12:13], 1, v[12:13]
	v_add_co_u32_e32 v12, vcc, v1, v12
	v_addc_co_u32_e32 v13, vcc, v10, v13, vcc
	flat_load_ushort v11, v[12:13]
	v_add_u32_e32 v12, s68, v204
	v_mul_hi_u32 v13, s70, v12
	v_add_u32_e32 v13, v12, v13
	v_lshrrev_b32_e32 v13, s71, v13
	v_mul_lo_u32 v13, v13, s64
	v_sub_u32_e32 v12, v12, v13
	v_mad_i64_i32 v[12:13], s[42:43], v12, s72, 0
	v_lshlrev_b64 v[12:13], 1, v[12:13]
	v_add_co_u32_e32 v12, vcc, v1, v12
	v_addc_co_u32_e32 v13, vcc, v10, v13, vcc
	flat_load_ushort v12, v[12:13]
.LBB9_239:                              ;   in Loop: Header=BB9_13 Depth=1
	s_or_b64 exec, exec, s[62:63]
	s_waitcnt vmcnt(0) lgkmcnt(0)
	ds_write_b16 v203, v11 offset:11264
	ds_write_b16 v205, v12 offset:11264
.LBB9_240:                              ;   in Loop: Header=BB9_13 Depth=1
	s_mul_i32 s42, s52, s51
	s_mul_hi_u32 s43, s52, s50
	s_add_i32 s43, s43, s42
	s_mul_i32 s42, s52, s50
	s_lshl_b64 s[42:43], s[42:43], 2
	s_add_u32 s42, s45, s42
	s_addc_u32 s43, s48, s43
	buffer_store_dword v175, off, s[0:3], 0
	buffer_store_dword v175, off, s[0:3], 0 offset:4
	buffer_store_dword v175, off, s[0:3], 0 offset:8
	;; [unrolled: 1-line block ×3, first 2 shown]
	s_and_saveexec_b64 s[62:63], s[98:99]
	s_cbranch_execz .LBB9_242
; %bb.241:                              ;   in Loop: Header=BB9_13 Depth=1
	v_mov_b32_e32 v1, s43
	v_add_co_u32_e32 v10, vcc, s42, v40
	v_addc_co_u32_e32 v1, vcc, v1, v41, vcc
	v_lshlrev_b32_e32 v11, 2, v32
	v_add_co_u32_e32 v10, vcc, v10, v11
	v_addc_co_u32_e32 v1, vcc, 0, v1, vcc
	v_add_co_u32_e32 v10, vcc, 0x80, v10
	v_addc_co_u32_e32 v1, vcc, 0, v1, vcc
	v_mov_b32_e32 v11, s55
	v_cmp_gt_i32_e32 vcc, s46, v109
	v_cndmask_b32_e32 v11, v11, v1, vcc
	v_mov_b32_e32 v1, s54
	v_cndmask_b32_e32 v10, v1, v10, vcc
	flat_load_dwordx4 v[10:13], v[10:11]
	s_waitcnt vmcnt(0) lgkmcnt(0)
	ds_write_b128 v110, v[10:13]
.LBB9_242:                              ;   in Loop: Header=BB9_13 Depth=1
	s_or_b64 exec, exec, s[62:63]
	v_mov_b32_e32 v1, s43
	v_add_co_u32_e32 v10, vcc, s42, v48
	v_addc_co_u32_e32 v1, vcc, v1, v49, vcc
	v_lshlrev_b32_e32 v23, 2, v34
	v_add_co_u32_e32 v10, vcc, v10, v23
	v_addc_co_u32_e32 v1, vcc, 0, v1, vcc
	v_mov_b32_e32 v14, s55
	v_cmp_gt_i32_e64 s[64:65], s46, v53
	v_cndmask_b32_e64 v11, v14, v1, s[64:65]
	v_mov_b32_e32 v1, s54
	v_cndmask_b32_e64 v10, v1, v10, s[64:65]
	flat_load_dwordx4 v[10:13], v[10:11]
	v_mov_b32_e32 v15, s43
	v_add_co_u32_e32 v16, vcc, s42, v50
	v_addc_co_u32_e32 v15, vcc, v15, v51, vcc
	v_add_co_u32_e32 v16, vcc, v16, v23
	v_addc_co_u32_e32 v15, vcc, 0, v15, vcc
	v_cmp_gt_i32_e64 s[62:63], s46, v137
	v_cndmask_b32_e64 v15, v14, v15, s[62:63]
	v_cndmask_b32_e64 v14, v1, v16, s[62:63]
	v_add_u32_e32 v1, 0x800, v111
	v_add_u32_e32 v18, 0x1000, v111
	;; [unrolled: 1-line block ×3, first 2 shown]
	s_andn2_b64 vcc, exec, s[66:67]
	s_waitcnt vmcnt(0) lgkmcnt(0)
	ds_write_b128 v126, v[10:13]
	flat_load_dwordx4 v[10:13], v[14:15]
	s_waitcnt vmcnt(0) lgkmcnt(0)
	ds_write_b128 v127, v[10:13]
	s_waitcnt lgkmcnt(0)
	s_barrier
	ds_read2_b64 v[10:13], v111 offset1:4
	ds_read2_b64 v[60:63], v1 offset0:96 offset1:100
	ds_read2_b64 v[78:81], v18 offset0:192 offset1:196
	;; [unrolled: 1-line block ×3, first 2 shown]
	s_waitcnt lgkmcnt(3)
	v_mfma_f32_16x16x16f16 v[14:17], v[10:11], v[6:7], 0
	s_waitcnt lgkmcnt(2)
	v_mfma_f32_16x16x16f16 v[74:77], v[60:61], v[6:7], 0
	;; [unrolled: 2-line block ×4, first 2 shown]
	v_mfma_f32_16x16x16f16 v[10:13], v[12:13], v[8:9], v[14:17]
	v_mfma_f32_16x16x16f16 v[14:17], v[62:63], v[8:9], v[74:77]
	;; [unrolled: 1-line block ×3, first 2 shown]
	s_nop 5
	ds_read2_b64 v[74:77], v111 offset0:8 offset1:12
	ds_read2_b64 v[78:81], v1 offset0:104 offset1:108
	v_mfma_f32_16x16x16f16 v[6:9], v[88:89], v[8:9], v[90:93]
	ds_read2_b64 v[82:85], v18 offset0:200 offset1:204
	ds_read2_b64 v[86:89], v20 offset0:40 offset1:44
	s_waitcnt lgkmcnt(3)
	v_mfma_f32_16x16x16f16 v[10:13], v[74:75], v[2:3], v[10:13]
	s_waitcnt lgkmcnt(2)
	v_mfma_f32_16x16x16f16 v[14:17], v[78:79], v[2:3], v[14:17]
	;; [unrolled: 2-line block ×4, first 2 shown]
	v_mfma_f32_16x16x16f16 v[10:13], v[76:77], v[4:5], v[10:13]
	v_mfma_f32_16x16x16f16 v[74:77], v[80:81], v[4:5], v[14:17]
	;; [unrolled: 1-line block ×4, first 2 shown]
	s_nop 6
	ds_read_b64 v[6:7], v111 offset:128
	ds_read_b64 v[8:9], v111 offset:2944
	;; [unrolled: 1-line block ×4, first 2 shown]
	s_waitcnt lgkmcnt(0)
	s_barrier
	v_mfma_f32_16x16x16f16 v[14:17], v[6:7], v[58:59], v[10:13]
	v_mfma_f32_16x16x16f16 v[10:13], v[8:9], v[58:59], v[74:77]
	;; [unrolled: 1-line block ×4, first 2 shown]
	s_cbranch_vccnz .LBB9_244
; %bb.243:                              ;   in Loop: Header=BB9_13 Depth=1
	ds_read_b32 v1, v113 offset:11264
	s_waitcnt lgkmcnt(0)
	v_cvt_f32_f16_sdwa v21, v1 dst_sel:DWORD dst_unused:UNUSED_PAD src0_sel:WORD_1
	v_cvt_f32_f16_e32 v20, v1
	ds_read_b32 v1, v135 offset:11264
	s_nop 1
	v_pk_fma_f32 v[14:15], v[54:55], v[20:21], v[14:15] op_sel_hi:[0,1,1]
	s_waitcnt lgkmcnt(0)
	v_cvt_f32_f16_sdwa v25, v1 dst_sel:DWORD dst_unused:UNUSED_PAD src0_sel:WORD_1
	v_cvt_f32_f16_e32 v24, v1
	v_add_u32_e32 v1, 0x2c00, v115
	ds_read2_b32 v[20:21], v1 offset1:1
	v_add_u32_e32 v1, 0x2c00, v131
	v_pk_fma_f32 v[16:17], v[54:55], v[24:25], v[16:17] op_sel_hi:[0,1,1]
	s_waitcnt lgkmcnt(0)
	v_cvt_f32_f16_e32 v24, v20
	v_cvt_f32_f16_sdwa v25, v20 dst_sel:DWORD dst_unused:UNUSED_PAD src0_sel:WORD_1
	v_cvt_f32_f16_e32 v20, v21
	v_cvt_f32_f16_sdwa v21, v21 dst_sel:DWORD dst_unused:UNUSED_PAD src0_sel:WORD_1
	v_pk_fma_f32 v[10:11], v[54:55], v[24:25], v[10:11] op_sel_hi:[0,1,1]
	v_pk_fma_f32 v[12:13], v[54:55], v[20:21], v[12:13] op_sel_hi:[0,1,1]
	ds_read2_b32 v[20:21], v1 offset1:1
	v_add_u32_e32 v1, 0x2c00, v136
	s_waitcnt lgkmcnt(0)
	v_cvt_f32_f16_e32 v24, v20
	v_cvt_f32_f16_sdwa v25, v20 dst_sel:DWORD dst_unused:UNUSED_PAD src0_sel:WORD_1
	v_cvt_f32_f16_e32 v20, v21
	v_cvt_f32_f16_sdwa v21, v21 dst_sel:DWORD dst_unused:UNUSED_PAD src0_sel:WORD_1
	v_pk_fma_f32 v[6:7], v[54:55], v[24:25], v[6:7] op_sel_hi:[0,1,1]
	v_pk_fma_f32 v[8:9], v[54:55], v[20:21], v[8:9] op_sel_hi:[0,1,1]
	ds_read2_b32 v[20:21], v1 offset1:1
	s_waitcnt lgkmcnt(0)
	v_cvt_f32_f16_e32 v24, v20
	v_cvt_f32_f16_sdwa v25, v20 dst_sel:DWORD dst_unused:UNUSED_PAD src0_sel:WORD_1
	v_cvt_f32_f16_e32 v20, v21
	v_cvt_f32_f16_sdwa v21, v21 dst_sel:DWORD dst_unused:UNUSED_PAD src0_sel:WORD_1
	v_pk_fma_f32 v[2:3], v[54:55], v[24:25], v[2:3] op_sel_hi:[0,1,1]
	v_pk_fma_f32 v[4:5], v[54:55], v[20:21], v[4:5] op_sel_hi:[0,1,1]
.LBB9_244:                              ;   in Loop: Header=BB9_13 Depth=1
	s_nop 6
	v_add_f32_e32 v1, 0x40051340, v14
	v_max_f32_e32 v18, v55, v55
	v_max_f32_e32 v1, v18, v1
	v_cmp_gt_u32_e64 s[96:97], s46, v112
	v_cndmask_b32_e64 v1, v55, v1, s[96:97]
	v_add_f32_e32 v18, 0x40051340, v15
	v_max_f32_e32 v20, v1, v1
	v_max_f32_e32 v18, v20, v18
	v_cmp_gt_u32_e64 s[94:95], s46, v209
	v_cndmask_b32_e64 v1, v1, v18, s[94:95]
	v_add_f32_e32 v18, 0x40051340, v16
	v_max_f32_e32 v20, v1, v1
	v_max_f32_e32 v18, v20, v18
	v_cmp_gt_u32_e64 s[92:93], s46, v210
	v_cndmask_b32_e64 v1, v1, v18, s[92:93]
	v_add_f32_e32 v18, 0x40051340, v17
	v_max_f32_e32 v20, v1, v1
	v_max_f32_e32 v18, v20, v18
	v_cmp_gt_u32_e64 s[66:67], s46, v117
	v_cndmask_b32_e64 v1, v1, v18, s[66:67]
	v_add_f32_e32 v18, 0x40051340, v10
	v_max_f32_e32 v20, v1, v1
	v_max_f32_e32 v18, v20, v18
	v_cmp_gt_u32_e64 s[90:91], s46, v114
	v_cndmask_b32_e64 v1, v1, v18, s[90:91]
	v_add_f32_e32 v18, 0x40051340, v11
	v_max_f32_e32 v20, v1, v1
	v_max_f32_e32 v18, v20, v18
	v_cmp_gt_u32_e64 s[88:89], s46, v211
	v_cndmask_b32_e64 v1, v1, v18, s[88:89]
	v_add_f32_e32 v18, 0x40051340, v12
	v_max_f32_e32 v20, v1, v1
	v_max_f32_e32 v18, v20, v18
	v_cmp_gt_u32_e64 s[86:87], s46, v206
	v_cndmask_b32_e64 v1, v1, v18, s[86:87]
	v_add_f32_e32 v18, 0x40051340, v13
	v_max_f32_e32 v20, v1, v1
	v_max_f32_e32 v18, v20, v18
	v_cmp_gt_u32_e64 s[68:69], s46, v212
	v_cndmask_b32_e64 v1, v1, v18, s[68:69]
	v_add_f32_e32 v18, 0x40051340, v6
	v_max_f32_e32 v20, v1, v1
	v_max_f32_e32 v18, v20, v18
	v_cmp_gt_u32_e64 s[84:85], s46, v116
	v_cndmask_b32_e64 v1, v1, v18, s[84:85]
	v_add_f32_e32 v18, 0x40051340, v7
	v_max_f32_e32 v20, v1, v1
	v_max_f32_e32 v18, v20, v18
	v_cmp_gt_u32_e64 s[82:83], s46, v213
	v_cndmask_b32_e64 v1, v1, v18, s[82:83]
	v_add_f32_e32 v18, 0x40051340, v8
	v_max_f32_e32 v20, v1, v1
	v_max_f32_e32 v18, v20, v18
	v_cmp_gt_u32_e64 s[80:81], s46, v207
	v_cndmask_b32_e64 v1, v1, v18, s[80:81]
	v_add_f32_e32 v18, 0x40051340, v9
	v_max_f32_e32 v20, v1, v1
	v_max_f32_e32 v18, v20, v18
	v_cmp_gt_u32_e64 s[70:71], s46, v214
	v_cndmask_b32_e64 v1, v1, v18, s[70:71]
	v_add_f32_e32 v18, 0x40051340, v2
	v_max_f32_e32 v20, v1, v1
	v_max_f32_e32 v18, v20, v18
	v_cmp_gt_u32_e64 s[78:79], s46, v133
	v_cndmask_b32_e64 v1, v1, v18, s[78:79]
	v_add_f32_e32 v18, 0x40051340, v3
	v_max_f32_e32 v20, v1, v1
	v_max_f32_e32 v18, v20, v18
	v_cmp_gt_u32_e64 s[76:77], s46, v215
	v_cndmask_b32_e64 v1, v1, v18, s[76:77]
	v_add_f32_e32 v18, 0x40051340, v4
	v_max_f32_e32 v20, v1, v1
	v_max_f32_e32 v18, v20, v18
	v_cmp_gt_u32_e64 s[74:75], s46, v208
	v_cndmask_b32_e64 v1, v1, v18, s[74:75]
	v_add_f32_e32 v18, 0x40051340, v5
	v_max_f32_e32 v20, v1, v1
	v_max_f32_e32 v18, v20, v18
	v_cmp_gt_u32_e64 s[72:73], s46, v216
	v_cndmask_b32_e64 v1, v1, v18, s[72:73]
	v_and_b32_e32 v18, 64, v225
	v_add_u32_e32 v21, 64, v18
	v_xor_b32_e32 v18, 32, v225
	v_cmp_lt_i32_e32 vcc, v18, v21
	v_cndmask_b32_e32 v18, v225, v18, vcc
	v_lshlrev_b32_e32 v20, 2, v18
	ds_bpermute_b32 v18, v20, v1
	v_max_f32_e32 v1, v1, v1
	s_mul_i32 s42, s52, s9
	s_mul_hi_u32 s43, s52, s8
	s_add_i32 s43, s43, s42
	s_waitcnt lgkmcnt(0)
	v_max_f32_e32 v18, v18, v18
	v_max_f32_e32 v18, v1, v18
	v_xor_b32_e32 v1, 16, v225
	v_cmp_lt_i32_e32 vcc, v1, v21
	v_cndmask_b32_e32 v1, v225, v1, vcc
	v_lshlrev_b32_e32 v1, 2, v1
	ds_bpermute_b32 v21, v1, v18
	s_mul_i32 s42, s52, s8
	s_lshl_b64 s[42:43], s[42:43], 2
	s_add_u32 s45, s57, s42
	s_addc_u32 s44, s44, s43
	buffer_store_dword v175, off, s[0:3], 0
	buffer_store_dword v175, off, s[0:3], 0 offset:4
	buffer_store_dword v175, off, s[0:3], 0 offset:8
	;; [unrolled: 1-line block ×3, first 2 shown]
	s_and_saveexec_b64 s[42:43], s[98:99]
	s_cbranch_execz .LBB9_246
; %bb.245:                              ;   in Loop: Header=BB9_13 Depth=1
	v_mov_b32_e32 v22, s44
	v_add_co_u32_e32 v24, vcc, s45, v38
	v_addc_co_u32_e32 v22, vcc, v22, v39, vcc
	v_lshlrev_b32_e32 v25, 2, v32
	v_add_co_u32_e32 v24, vcc, v24, v25
	v_addc_co_u32_e32 v22, vcc, 0, v22, vcc
	v_add_co_u32_e32 v24, vcc, 0x80, v24
	v_addc_co_u32_e32 v22, vcc, 0, v22, vcc
	v_mov_b32_e32 v25, s55
	v_cmp_gt_i32_e32 vcc, s46, v109
	v_cndmask_b32_e32 v25, v25, v22, vcc
	v_mov_b32_e32 v22, s54
	v_cndmask_b32_e32 v24, v22, v24, vcc
	flat_load_dwordx4 v[56:59], v[24:25]
	s_waitcnt vmcnt(0) lgkmcnt(0)
	ds_write_b128 v110, v[56:59]
.LBB9_246:                              ;   in Loop: Header=BB9_13 Depth=1
	s_or_b64 exec, exec, s[42:43]
	s_waitcnt lgkmcnt(0)
	v_max_f32_e32 v21, v21, v21
	v_max_f32_e32 v18, v18, v18
	v_max_f32_e32 v18, v18, v21
	v_sub_f32_e32 v14, v14, v18
	v_mul_f32_e32 v21, 0x3fb8aa3b, v14
	v_fma_f32 v22, v14, s58, -v21
	v_rndne_f32_e32 v24, v21
	v_fmac_f32_e32 v22, 0x32a5705f, v14
	v_sub_f32_e32 v21, v21, v24
	v_add_f32_e32 v21, v21, v22
	v_exp_f32_e32 v21, v21
	v_cvt_i32_f32_e32 v22, v24
	v_cmp_ngt_f32_e32 vcc, s59, v14
	v_sub_f32_e32 v15, v15, v18
	v_cndmask_b32_e64 v16, v16, v16, s[94:95]
	v_ldexp_f32 v21, v21, v22
	v_cndmask_b32_e32 v21, 0, v21, vcc
	v_cmp_nlt_f32_e32 vcc, s49, v14
	v_cndmask_b32_e32 v14, v223, v21, vcc
	v_mul_f32_e32 v21, 0x3fb8aa3b, v15
	v_fma_f32 v22, v15, s58, -v21
	v_rndne_f32_e32 v24, v21
	v_fmac_f32_e32 v22, 0x32a5705f, v15
	v_sub_f32_e32 v21, v21, v24
	v_add_f32_e32 v21, v21, v22
	v_exp_f32_e32 v21, v21
	v_cvt_i32_f32_e32 v22, v24
	v_cmp_ngt_f32_e32 vcc, s59, v15
	v_cndmask_b32_e64 v14, 0, v14, s[96:97]
	v_sub_f32_e32 v16, v16, v18
	v_ldexp_f32 v21, v21, v22
	v_cndmask_b32_e32 v21, 0, v21, vcc
	v_cmp_nlt_f32_e32 vcc, s49, v15
	v_cndmask_b32_e32 v21, v223, v21, vcc
	v_mov_b32_e32 v15, s53
	v_add_f32_e32 v22, v21, v14
	v_cndmask_b32_e64 v25, v15, v21, s[94:95]
	v_mul_f32_e32 v21, 0x3fb8aa3b, v16
	v_cndmask_b32_e64 v15, v14, v22, s[94:95]
	v_fma_f32 v22, v16, s58, -v21
	v_rndne_f32_e32 v24, v21
	v_fmac_f32_e32 v22, 0x32a5705f, v16
	v_sub_f32_e32 v21, v21, v24
	v_add_f32_e32 v21, v21, v22
	v_exp_f32_e32 v21, v21
	v_cvt_i32_f32_e32 v22, v24
	v_cmp_ngt_f32_e32 vcc, s59, v16
	v_cndmask_b32_e64 v17, v17, v17, s[94:95]
	v_sub_f32_e32 v10, v10, v18
	v_ldexp_f32 v21, v21, v22
	v_cndmask_b32_e32 v21, 0, v21, vcc
	v_cmp_nlt_f32_e32 vcc, s49, v16
	v_cndmask_b32_e32 v21, v223, v21, vcc
	v_mov_b32_e32 v16, s53
	v_cndmask_b32_e64 v27, v16, v21, s[92:93]
	v_sub_f32_e32 v16, v17, v18
	v_add_f32_e32 v22, v15, v21
	v_mul_f32_e32 v17, 0x3fb8aa3b, v16
	v_cndmask_b32_e64 v15, v15, v22, s[92:93]
	v_fma_f32 v21, v16, s58, -v17
	v_rndne_f32_e32 v22, v17
	v_fmac_f32_e32 v21, 0x32a5705f, v16
	v_sub_f32_e32 v17, v17, v22
	v_add_f32_e32 v17, v17, v21
	v_exp_f32_e32 v17, v17
	v_cvt_i32_f32_e32 v21, v22
	v_cmp_ngt_f32_e32 vcc, s59, v16
	v_cndmask_b32_e64 v11, v11, v11, s[90:91]
	v_sub_f32_e32 v11, v11, v18
	v_ldexp_f32 v17, v17, v21
	v_cndmask_b32_e32 v17, 0, v17, vcc
	v_cmp_nlt_f32_e32 vcc, s49, v16
	v_cndmask_b32_e32 v29, v223, v17, vcc
	v_add_f32_e32 v16, v15, v29
	v_cndmask_b32_e64 v15, v15, v16, s[66:67]
	v_mul_f32_e32 v16, 0x3fb8aa3b, v10
	v_fma_f32 v17, v10, s58, -v16
	v_rndne_f32_e32 v21, v16
	v_fmac_f32_e32 v17, 0x32a5705f, v10
	v_sub_f32_e32 v16, v16, v21
	v_add_f32_e32 v16, v16, v17
	v_exp_f32_e32 v16, v16
	v_cvt_i32_f32_e32 v17, v21
	v_cmp_ngt_f32_e32 vcc, s59, v10
	v_cndmask_b32_e64 v12, v12, v12, s[90:91]
	v_cndmask_b32_e64 v13, v13, v13, s[90:91]
	v_ldexp_f32 v16, v16, v17
	v_cndmask_b32_e32 v16, 0, v16, vcc
	v_cmp_nlt_f32_e32 vcc, s49, v10
	v_cndmask_b32_e32 v16, v223, v16, vcc
	v_add_f32_e32 v17, v16, v15
	v_mov_b32_e32 v10, s53
	v_cndmask_b32_e64 v31, v10, v16, s[90:91]
	v_cndmask_b32_e64 v10, v15, v17, s[90:91]
	v_mul_f32_e32 v15, 0x3fb8aa3b, v11
	v_fma_f32 v16, v11, s58, -v15
	v_rndne_f32_e32 v17, v15
	v_fmac_f32_e32 v16, 0x32a5705f, v11
	v_sub_f32_e32 v15, v15, v17
	v_add_f32_e32 v15, v15, v16
	v_exp_f32_e32 v15, v15
	v_cvt_i32_f32_e32 v16, v17
	v_cmp_ngt_f32_e32 vcc, s59, v11
	v_sub_f32_e32 v13, v13, v18
	v_sub_f32_e32 v6, v6, v18
	v_ldexp_f32 v15, v15, v16
	v_cndmask_b32_e32 v15, 0, v15, vcc
	v_cmp_nlt_f32_e32 vcc, s49, v11
	v_cndmask_b32_e32 v15, v223, v15, vcc
	v_add_f32_e32 v16, v15, v10
	v_mov_b32_e32 v11, s53
	v_cndmask_b32_e64 v11, v11, v15, s[88:89]
	v_cndmask_b32_e64 v15, v10, v16, s[88:89]
	v_sub_f32_e32 v10, v12, v18
	v_mul_f32_e32 v12, 0x3fb8aa3b, v10
	v_fma_f32 v16, v10, s58, -v12
	v_rndne_f32_e32 v17, v12
	v_fmac_f32_e32 v16, 0x32a5705f, v10
	v_sub_f32_e32 v12, v12, v17
	v_add_f32_e32 v12, v12, v16
	v_exp_f32_e32 v12, v12
	v_cvt_i32_f32_e32 v16, v17
	v_cmp_ngt_f32_e32 vcc, s59, v10
	v_cndmask_b32_e64 v7, v7, v7, s[84:85]
	v_sub_f32_e32 v7, v7, v18
	v_ldexp_f32 v12, v12, v16
	v_cndmask_b32_e32 v12, 0, v12, vcc
	v_cmp_nlt_f32_e32 vcc, s49, v10
	v_cndmask_b32_e32 v12, v223, v12, vcc
	v_add_f32_e32 v16, v12, v15
	v_mov_b32_e32 v10, s53
	v_cndmask_b32_e64 v10, v10, v12, s[86:87]
	v_cndmask_b32_e64 v12, v15, v16, s[86:87]
	v_mul_f32_e32 v15, 0x3fb8aa3b, v13
	v_fma_f32 v16, v13, s58, -v15
	v_rndne_f32_e32 v17, v15
	v_fmac_f32_e32 v16, 0x32a5705f, v13
	v_sub_f32_e32 v15, v15, v17
	v_add_f32_e32 v15, v15, v16
	v_exp_f32_e32 v15, v15
	v_cvt_i32_f32_e32 v16, v17
	v_cmp_ngt_f32_e32 vcc, s59, v13
	v_cndmask_b32_e64 v8, v8, v8, s[84:85]
	v_cndmask_b32_e64 v9, v9, v9, s[84:85]
	v_ldexp_f32 v15, v15, v16
	v_cndmask_b32_e32 v15, 0, v15, vcc
	v_cmp_nlt_f32_e32 vcc, s49, v13
	v_cndmask_b32_e32 v54, v223, v15, vcc
	v_add_f32_e32 v13, v54, v12
	v_cndmask_b32_e64 v12, v12, v13, s[68:69]
	v_mul_f32_e32 v13, 0x3fb8aa3b, v6
	v_fma_f32 v15, v6, s58, -v13
	v_rndne_f32_e32 v16, v13
	v_fmac_f32_e32 v15, 0x32a5705f, v6
	v_sub_f32_e32 v13, v13, v16
	v_add_f32_e32 v13, v13, v15
	v_exp_f32_e32 v13, v13
	v_cvt_i32_f32_e32 v15, v16
	v_cmp_ngt_f32_e32 vcc, s59, v6
	v_sub_f32_e32 v9, v9, v18
	v_sub_f32_e32 v2, v2, v18
	v_ldexp_f32 v13, v13, v15
	v_cndmask_b32_e32 v13, 0, v13, vcc
	v_cmp_nlt_f32_e32 vcc, s49, v6
	v_cndmask_b32_e32 v13, v223, v13, vcc
	v_add_f32_e32 v15, v13, v12
	v_mov_b32_e32 v6, s53
	v_cndmask_b32_e64 v56, v6, v13, s[84:85]
	v_cndmask_b32_e64 v6, v12, v15, s[84:85]
	v_mul_f32_e32 v12, 0x3fb8aa3b, v7
	v_fma_f32 v13, v7, s58, -v12
	v_rndne_f32_e32 v15, v12
	v_fmac_f32_e32 v13, 0x32a5705f, v7
	v_sub_f32_e32 v12, v12, v15
	v_add_f32_e32 v12, v12, v13
	v_exp_f32_e32 v12, v12
	v_cvt_i32_f32_e32 v13, v15
	v_cmp_ngt_f32_e32 vcc, s59, v7
	v_cndmask_b32_e64 v3, v3, v3, s[78:79]
	v_sub_f32_e32 v3, v3, v18
	v_ldexp_f32 v12, v12, v13
	v_cndmask_b32_e32 v12, 0, v12, vcc
	v_cmp_nlt_f32_e32 vcc, s49, v7
	v_cndmask_b32_e32 v12, v223, v12, vcc
	v_add_f32_e32 v13, v12, v6
	v_mov_b32_e32 v7, s53
	v_cndmask_b32_e64 v7, v7, v12, s[82:83]
	v_cndmask_b32_e64 v12, v6, v13, s[82:83]
	v_sub_f32_e32 v6, v8, v18
	v_mul_f32_e32 v8, 0x3fb8aa3b, v6
	v_fma_f32 v13, v6, s58, -v8
	v_rndne_f32_e32 v15, v8
	v_fmac_f32_e32 v13, 0x32a5705f, v6
	v_sub_f32_e32 v8, v8, v15
	v_add_f32_e32 v8, v8, v13
	v_exp_f32_e32 v8, v8
	v_cvt_i32_f32_e32 v13, v15
	v_cmp_ngt_f32_e32 vcc, s59, v6
	v_cndmask_b32_e64 v4, v4, v4, s[78:79]
	v_cndmask_b32_e64 v5, v5, v5, s[78:79]
	v_ldexp_f32 v8, v8, v13
	v_cndmask_b32_e32 v8, 0, v8, vcc
	v_cmp_nlt_f32_e32 vcc, s49, v6
	v_cndmask_b32_e32 v8, v223, v8, vcc
	v_add_f32_e32 v13, v8, v12
	v_mov_b32_e32 v6, s53
	v_cndmask_b32_e64 v6, v6, v8, s[80:81]
	v_cndmask_b32_e64 v8, v12, v13, s[80:81]
	v_mul_f32_e32 v12, 0x3fb8aa3b, v9
	v_fma_f32 v13, v9, s58, -v12
	v_rndne_f32_e32 v15, v12
	v_fmac_f32_e32 v13, 0x32a5705f, v9
	v_sub_f32_e32 v12, v12, v15
	v_add_f32_e32 v12, v12, v13
	v_exp_f32_e32 v12, v12
	v_cvt_i32_f32_e32 v13, v15
	v_cmp_ngt_f32_e32 vcc, s59, v9
	s_mov_b32 s88, 0xc1a00000
	v_readlane_b32 s42, v254, 36
	v_ldexp_f32 v12, v12, v13
	v_cndmask_b32_e32 v12, 0, v12, vcc
	v_cmp_nlt_f32_e32 vcc, s49, v9
	v_cndmask_b32_e32 v57, v223, v12, vcc
	v_add_f32_e32 v9, v57, v8
	v_cndmask_b32_e64 v8, v8, v9, s[70:71]
	v_mul_f32_e32 v9, 0x3fb8aa3b, v2
	v_fma_f32 v12, v2, s58, -v9
	v_rndne_f32_e32 v13, v9
	v_fmac_f32_e32 v12, 0x32a5705f, v2
	v_sub_f32_e32 v9, v9, v13
	v_add_f32_e32 v9, v9, v12
	v_exp_f32_e32 v9, v9
	v_cvt_i32_f32_e32 v12, v13
	v_cmp_ngt_f32_e32 vcc, s59, v2
	v_readlane_b32 s43, v254, 37
	s_cmp_lg_u64 s[42:43], 0
	v_ldexp_f32 v9, v9, v12
	v_cndmask_b32_e32 v9, 0, v9, vcc
	v_cmp_nlt_f32_e32 vcc, s49, v2
	v_cndmask_b32_e32 v9, v223, v9, vcc
	v_add_f32_e32 v12, v9, v8
	v_mov_b32_e32 v2, s53
	v_cndmask_b32_e64 v58, v2, v9, s[78:79]
	v_cndmask_b32_e64 v2, v8, v12, s[78:79]
	v_mul_f32_e32 v8, 0x3fb8aa3b, v3
	v_fma_f32 v9, v3, s58, -v8
	v_rndne_f32_e32 v12, v8
	v_fmac_f32_e32 v9, 0x32a5705f, v3
	v_sub_f32_e32 v8, v8, v12
	v_add_f32_e32 v8, v8, v9
	v_exp_f32_e32 v8, v8
	v_cvt_i32_f32_e32 v9, v12
	v_cmp_ngt_f32_e32 vcc, s59, v3
	v_readlane_b32 s52, v254, 35
	v_ldexp_f32 v8, v8, v9
	v_cndmask_b32_e32 v8, 0, v8, vcc
	v_cmp_nlt_f32_e32 vcc, s49, v3
	v_cndmask_b32_e32 v8, v223, v8, vcc
	v_add_f32_e32 v9, v8, v2
	v_mov_b32_e32 v3, s53
	v_cndmask_b32_e64 v59, v3, v8, s[76:77]
	v_cndmask_b32_e64 v3, v2, v9, s[76:77]
	v_sub_f32_e32 v2, v4, v18
	v_mul_f32_e32 v4, 0x3fb8aa3b, v2
	v_fma_f32 v8, v2, s58, -v4
	v_rndne_f32_e32 v9, v4
	v_fmac_f32_e32 v8, 0x32a5705f, v2
	v_sub_f32_e32 v4, v4, v9
	v_add_f32_e32 v4, v4, v8
	v_exp_f32_e32 v4, v4
	v_cvt_i32_f32_e32 v8, v9
	v_cmp_ngt_f32_e32 vcc, s59, v2
	v_ldexp_f32 v4, v4, v8
	v_cndmask_b32_e32 v4, 0, v4, vcc
	v_cmp_nlt_f32_e32 vcc, s49, v2
	v_cndmask_b32_e32 v4, v223, v4, vcc
	v_add_f32_e32 v8, v4, v3
	v_mov_b32_e32 v2, s53
	v_cndmask_b32_e64 v4, v2, v4, s[74:75]
	v_cndmask_b32_e64 v2, v3, v8, s[74:75]
	v_sub_f32_e32 v3, v5, v18
	v_mul_f32_e32 v5, 0x3fb8aa3b, v3
	v_fma_f32 v8, v3, s58, -v5
	v_rndne_f32_e32 v9, v5
	v_fmac_f32_e32 v8, 0x32a5705f, v3
	v_sub_f32_e32 v5, v5, v9
	v_add_f32_e32 v5, v5, v8
	v_exp_f32_e32 v5, v5
	v_cvt_i32_f32_e32 v8, v9
	v_cmp_ngt_f32_e32 vcc, s59, v3
	v_ldexp_f32 v5, v5, v8
	v_cndmask_b32_e32 v5, 0, v5, vcc
	v_cmp_nlt_f32_e32 vcc, s49, v3
	v_cndmask_b32_e32 v5, v223, v5, vcc
	v_add_f32_e32 v3, v5, v2
	v_cndmask_b32_e64 v21, v2, v3, s[72:73]
	v_sub_f32_e32 v2, v55, v18
	v_mul_f32_e32 v3, 0x3fb8aa3b, v2
	v_fma_f32 v8, v2, s58, -v3
	v_rndne_f32_e32 v9, v3
	v_fmac_f32_e32 v8, 0x32a5705f, v2
	v_sub_f32_e32 v3, v3, v9
	v_add_f32_e32 v3, v3, v8
	v_exp_f32_e32 v3, v3
	v_cvt_i32_f32_e32 v8, v9
	v_cmp_ngt_f32_e32 vcc, s59, v2
	v_ldexp_f32 v3, v3, v8
	v_cndmask_b32_e32 v3, 0, v3, vcc
	v_cmp_nlt_f32_e32 vcc, s49, v2
	v_cndmask_b32_e32 v3, v223, v3, vcc
	v_cmp_le_f32_e32 vcc, s88, v2
	v_cndmask_b32_e32 v2, 0, v3, vcc
	v_fmac_f32_e32 v21, v19, v2
	v_cvt_f16_f32_e32 v2, v2
	v_mov_b32_e32 v3, s53
	v_cndmask_b32_e64 v5, v3, v5, s[72:73]
	v_cndmask_b32_e64 v55, v3, v57, s[70:71]
	v_pk_mul_f16 v9, v2, v233 op_sel_hi:[0,1]
	v_pk_mul_f16 v8, v2, v232 op_sel_hi:[0,1]
	v_pk_mul_f16 v13, v2, v234 op_sel_hi:[0,1]
	v_pk_mul_f16 v12, v2, v235 op_sel_hi:[0,1]
	v_pk_mul_f16 v24, v2, v239 op_sel_hi:[0,1]
	v_pk_mul_f16 v15, v2, v238 op_sel_hi:[0,1]
	v_pk_mul_f16 v17, v2, v241 op_sel_hi:[0,1]
	v_pk_mul_f16 v16, v2, v240 op_sel_hi:[0,1]
	v_pk_mul_f16 v22, v2, v243 op_sel_hi:[0,1]
	v_pk_mul_f16 v19, v2, v242 op_sel_hi:[0,1]
	v_cndmask_b32_e64 v54, v3, v54, s[68:69]
	v_cndmask_b32_e64 v29, v3, v29, s[66:67]
	v_cvt_f16_f32_e32 v2, v58
	v_cvt_f16_f32_e32 v3, v59
	v_pack_b32_f16 v2, v2, v3
	v_cvt_f16_f32_e32 v3, v4
	v_cvt_f16_f32_e32 v4, v5
	;; [unrolled: 1-line block ×5, first 2 shown]
	v_pack_b32_f16 v3, v3, v4
	v_cvt_f16_f32_e32 v4, v56
	v_mov_b32_e32 v25, s44
	v_pack_b32_f16 v4, v4, v5
	v_cvt_f16_f32_e32 v5, v6
	v_cvt_f16_f32_e32 v6, v55
	v_pack_b32_f16 v5, v5, v6
	v_cvt_f16_f32_e32 v6, v31
	v_pack_b32_f16 v6, v6, v7
	v_cvt_f16_f32_e32 v7, v10
	v_cvt_f16_f32_e32 v10, v54
	v_pack_b32_f16 v7, v7, v10
	v_cvt_f16_f32_e32 v10, v14
	v_cvt_f16_f32_e32 v14, v29
	v_mov_b32_e32 v29, s44
	v_pack_b32_f16 v10, v10, v11
	v_cvt_f16_f32_e32 v11, v27
	v_mov_b32_e32 v27, s55
	v_pack_b32_f16 v11, v11, v14
	v_add_co_u32_e32 v14, vcc, s45, v44
	v_addc_co_u32_e32 v25, vcc, v25, v45, vcc
	v_add_co_u32_e32 v14, vcc, v14, v23
	v_addc_co_u32_e32 v25, vcc, 0, v25, vcc
	v_cndmask_b32_e64 v55, v27, v25, s[64:65]
	v_mov_b32_e32 v25, s54
	v_cndmask_b32_e64 v54, v25, v14, s[64:65]
	flat_load_dwordx4 v[54:57], v[54:55]
	v_add_co_u32_e32 v14, vcc, s45, v46
	v_addc_co_u32_e32 v29, vcc, v29, v47, vcc
	v_add_co_u32_e32 v14, vcc, v14, v23
	v_addc_co_u32_e32 v23, vcc, 0, v29, vcc
	s_waitcnt vmcnt(0) lgkmcnt(0)
	ds_write_b128 v126, v[54:57]
	v_cndmask_b32_e64 v55, v27, v23, s[62:63]
	v_cndmask_b32_e64 v54, v25, v14, s[62:63]
	flat_load_dwordx4 v[54:57], v[54:55]
	s_waitcnt vmcnt(0) lgkmcnt(0)
	ds_write_b128 v127, v[54:57]
	s_waitcnt lgkmcnt(0)
	s_barrier
	ds_read_u16 v14, v118 offset:352
	v_cvt_f32_f16_e32 v56, v8
	v_cvt_f32_f16_sdwa v57, v8 dst_sel:DWORD dst_unused:UNUSED_PAD src0_sel:WORD_1
	ds_read_u16 v8, v119
	ds_read_u16 v23, v119 offset:32
	v_cvt_f32_f16_e32 v54, v9
	v_cvt_f32_f16_sdwa v55, v9 dst_sel:DWORD dst_unused:UNUSED_PAD src0_sel:WORD_1
	s_waitcnt lgkmcnt(1)
	v_perm_b32 v9, v8, v14, s56
	ds_read_u16 v8, v138
	ds_read_u16 v14, v138 offset:32
	ds_read_u16 v25, v118 offset:176
	;; [unrolled: 1-line block ×7, first 2 shown]
	s_waitcnt lgkmcnt(5)
	v_perm_b32 v8, v25, v8, s56
	s_nop 1
	v_mfma_f32_16x16x16f16 v[54:57], v[8:9], v[10:11], v[54:57]
	s_nop 7
	s_nop 2
	v_cvt_f16_f32_e32 v8, v54
	v_cvt_f16_f32_e32 v9, v55
	v_cvt_f16_f32_e32 v25, v56
	v_cvt_f16_f32_e32 v29, v57
	v_cvt_f32_f16_e32 v54, v8
	v_cvt_f32_f16_e32 v55, v9
	s_waitcnt lgkmcnt(0)
	v_perm_b32 v9, v60, v59, s56
	v_perm_b32 v8, v58, v31, s56
	v_cvt_f32_f16_e32 v56, v25
	v_cvt_f32_f16_e32 v57, v29
	ds_read_u16 v31, v138 offset:5632
	ds_read_u16 v58, v118 offset:5808
	;; [unrolled: 1-line block ×4, first 2 shown]
	v_mfma_f32_16x16x16f16 v[54:57], v[8:9], v[6:7], v[54:57]
	s_nop 7
	s_nop 2
	v_cvt_f16_f32_e32 v8, v54
	v_cvt_f16_f32_e32 v9, v55
	;; [unrolled: 1-line block ×4, first 2 shown]
	v_cvt_f32_f16_e32 v54, v8
	v_cvt_f32_f16_e32 v55, v9
	s_waitcnt lgkmcnt(0)
	v_perm_b32 v9, v60, v59, s56
	v_perm_b32 v8, v58, v31, s56
	v_cvt_f32_f16_e32 v56, v25
	v_cvt_f32_f16_e32 v57, v29
	ds_read_u16 v31, v138 offset:8448
	ds_read_u16 v58, v118 offset:8624
	;; [unrolled: 1-line block ×4, first 2 shown]
	v_mfma_f32_16x16x16f16 v[54:57], v[8:9], v[4:5], v[54:57]
	s_nop 7
	s_nop 2
	v_cvt_f16_f32_e32 v8, v54
	v_cvt_f16_f32_e32 v9, v55
	;; [unrolled: 1-line block ×4, first 2 shown]
	v_cvt_f32_f16_e32 v54, v8
	v_cvt_f32_f16_e32 v55, v9
	s_waitcnt lgkmcnt(0)
	v_perm_b32 v9, v60, v59, s56
	v_perm_b32 v8, v58, v31, s56
	v_cvt_f32_f16_e32 v56, v25
	v_cvt_f32_f16_e32 v57, v29
	s_nop 1
	v_mfma_f32_16x16x16f16 v[54:57], v[8:9], v[2:3], v[54:57]
	s_nop 7
	s_nop 2
	v_cvt_f16_f32_e32 v8, v54
	v_cvt_f16_f32_e32 v9, v55
	;; [unrolled: 1-line block ×4, first 2 shown]
	v_cvt_f32_f16_e32 v54, v13
	v_pack_b32_f16 v8, v8, v9
	v_cvt_f32_f16_sdwa v55, v13 dst_sel:DWORD dst_unused:UNUSED_PAD src0_sel:WORD_1
	v_pack_b32_f16 v9, v25, v29
	ds_read_u16 v25, v139 offset:352
	v_cvt_f32_f16_e32 v56, v12
	v_cvt_f32_f16_sdwa v57, v12 dst_sel:DWORD dst_unused:UNUSED_PAD src0_sel:WORD_1
	v_perm_b32 v12, v27, v14, s56
	s_waitcnt lgkmcnt(0)
	v_perm_b32 v13, v23, v25, s56
	ds_read_u16 v25, v138 offset:2848
	ds_read_u16 v27, v118 offset:3024
	ds_read_u16 v29, v123 offset:352
	ds_read_u16 v31, v119 offset:2848
	v_mfma_f32_16x16x16f16 v[54:57], v[12:13], v[10:11], v[54:57]
	s_nop 7
	s_nop 2
	v_cvt_f16_f32_e32 v12, v54
	v_cvt_f16_f32_e32 v13, v55
	v_cvt_f16_f32_e32 v14, v56
	v_cvt_f16_f32_e32 v23, v57
	v_cvt_f32_f16_e32 v54, v12
	v_cvt_f32_f16_e32 v55, v13
	s_waitcnt lgkmcnt(0)
	v_perm_b32 v13, v31, v29, s56
	v_perm_b32 v12, v27, v25, s56
	v_cvt_f32_f16_e32 v56, v14
	v_cvt_f32_f16_e32 v57, v23
	ds_read_u16 v25, v138 offset:5664
	ds_read_u16 v27, v118 offset:5840
	ds_read_u16 v29, v124 offset:352
	ds_read_u16 v31, v119 offset:5664
	v_mfma_f32_16x16x16f16 v[54:57], v[12:13], v[6:7], v[54:57]
	s_nop 7
	s_nop 2
	v_cvt_f16_f32_e32 v12, v54
	v_cvt_f16_f32_e32 v13, v55
	v_cvt_f16_f32_e32 v14, v56
	v_cvt_f16_f32_e32 v23, v57
	v_cvt_f32_f16_e32 v54, v12
	v_cvt_f32_f16_e32 v55, v13
	s_waitcnt lgkmcnt(0)
	v_perm_b32 v13, v31, v29, s56
	v_perm_b32 v12, v27, v25, s56
	v_cvt_f32_f16_e32 v56, v14
	v_cvt_f32_f16_e32 v57, v23
	;; [unrolled: 18-line block ×3, first 2 shown]
	s_nop 1
	v_mfma_f32_16x16x16f16 v[54:57], v[12:13], v[2:3], v[54:57]
	s_nop 7
	s_nop 2
	v_cvt_f16_f32_e32 v12, v54
	v_cvt_f16_f32_e32 v13, v55
	v_cvt_f16_f32_e32 v14, v56
	v_cvt_f16_f32_e32 v23, v57
	v_cvt_f32_f16_e32 v56, v15
	v_pack_b32_f16 v12, v12, v13
	v_cvt_f32_f16_sdwa v57, v15 dst_sel:DWORD dst_unused:UNUSED_PAD src0_sel:WORD_1
	v_pack_b32_f16 v13, v14, v23
	ds_read_u16 v14, v138 offset:64
	ds_read_u16 v23, v118 offset:240
	;; [unrolled: 1-line block ×4, first 2 shown]
	v_cvt_f32_f16_e32 v54, v24
	v_cvt_f32_f16_sdwa v55, v24 dst_sel:DWORD dst_unused:UNUSED_PAD src0_sel:WORD_1
	s_waitcnt lgkmcnt(2)
	v_perm_b32 v14, v23, v14, s56
	s_waitcnt lgkmcnt(0)
	v_perm_b32 v15, v27, v25, s56
	ds_read_u16 v25, v138 offset:2880
	ds_read_u16 v27, v118 offset:3056
	ds_read_u16 v29, v130 offset:352
	ds_read_u16 v31, v119 offset:2880
	v_mfma_f32_16x16x16f16 v[54:57], v[14:15], v[10:11], v[54:57]
	s_nop 7
	s_nop 2
	v_cvt_f16_f32_e32 v14, v54
	v_cvt_f16_f32_e32 v15, v55
	v_cvt_f16_f32_e32 v23, v56
	v_cvt_f16_f32_e32 v24, v57
	v_cvt_f32_f16_e32 v54, v14
	v_cvt_f32_f16_e32 v55, v15
	s_waitcnt lgkmcnt(0)
	v_perm_b32 v15, v31, v29, s56
	v_perm_b32 v14, v27, v25, s56
	v_cvt_f32_f16_e32 v56, v23
	v_cvt_f32_f16_e32 v57, v24
	ds_read_u16 v25, v138 offset:5696
	ds_read_u16 v27, v118 offset:5872
	ds_read_u16 v29, v134 offset:352
	ds_read_u16 v31, v119 offset:5696
	v_mfma_f32_16x16x16f16 v[54:57], v[14:15], v[6:7], v[54:57]
	s_nop 7
	s_nop 2
	v_cvt_f16_f32_e32 v14, v54
	v_cvt_f16_f32_e32 v15, v55
	v_cvt_f16_f32_e32 v23, v56
	v_cvt_f16_f32_e32 v24, v57
	v_cvt_f32_f16_e32 v54, v14
	v_cvt_f32_f16_e32 v55, v15
	s_waitcnt lgkmcnt(0)
	v_perm_b32 v15, v31, v29, s56
	v_perm_b32 v14, v27, v25, s56
	v_cvt_f32_f16_e32 v56, v23
	v_cvt_f32_f16_e32 v57, v24
	;; [unrolled: 18-line block ×3, first 2 shown]
	s_nop 1
	v_mfma_f32_16x16x16f16 v[54:57], v[14:15], v[2:3], v[54:57]
	s_nop 7
	s_nop 2
	v_cvt_f16_f32_e32 v14, v54
	v_cvt_f16_f32_e32 v15, v55
	;; [unrolled: 1-line block ×4, first 2 shown]
	v_cvt_f32_f16_e32 v54, v17
	v_pack_b32_f16 v14, v14, v15
	v_cvt_f32_f16_sdwa v55, v17 dst_sel:DWORD dst_unused:UNUSED_PAD src0_sel:WORD_1
	v_pack_b32_f16 v15, v23, v24
	ds_read_u16 v23, v138 offset:96
	ds_read_u16 v24, v118 offset:272
	;; [unrolled: 1-line block ×4, first 2 shown]
	v_cvt_f32_f16_e32 v56, v16
	v_cvt_f32_f16_sdwa v57, v16 dst_sel:DWORD dst_unused:UNUSED_PAD src0_sel:WORD_1
	s_waitcnt lgkmcnt(2)
	v_perm_b32 v16, v24, v23, s56
	s_waitcnt lgkmcnt(0)
	v_perm_b32 v17, v27, v25, s56
	ds_read_u16 v25, v138 offset:2912
	ds_read_u16 v27, v118 offset:3088
	ds_read_u16 v29, v143 offset:352
	ds_read_u16 v31, v119 offset:2912
	v_mfma_f32_16x16x16f16 v[54:57], v[16:17], v[10:11], v[54:57]
	s_nop 7
	s_nop 2
	v_cvt_f16_f32_e32 v16, v54
	v_cvt_f16_f32_e32 v17, v55
	v_cvt_f16_f32_e32 v23, v56
	v_cvt_f16_f32_e32 v24, v57
	v_cvt_f32_f16_e32 v54, v16
	v_cvt_f32_f16_e32 v55, v17
	s_waitcnt lgkmcnt(0)
	v_perm_b32 v17, v31, v29, s56
	v_perm_b32 v16, v27, v25, s56
	v_cvt_f32_f16_e32 v56, v23
	v_cvt_f32_f16_e32 v57, v24
	ds_read_u16 v25, v138 offset:5728
	ds_read_u16 v27, v118 offset:5904
	ds_read_u16 v29, v144 offset:352
	ds_read_u16 v31, v119 offset:5728
	v_mfma_f32_16x16x16f16 v[54:57], v[16:17], v[6:7], v[54:57]
	s_nop 7
	s_nop 2
	v_cvt_f16_f32_e32 v16, v54
	v_cvt_f16_f32_e32 v17, v55
	v_cvt_f16_f32_e32 v23, v56
	v_cvt_f16_f32_e32 v24, v57
	v_cvt_f32_f16_e32 v54, v16
	v_cvt_f32_f16_e32 v55, v17
	s_waitcnt lgkmcnt(0)
	v_perm_b32 v17, v31, v29, s56
	v_perm_b32 v16, v27, v25, s56
	v_cvt_f32_f16_e32 v56, v23
	v_cvt_f32_f16_e32 v57, v24
	;; [unrolled: 18-line block ×3, first 2 shown]
	s_nop 1
	v_mfma_f32_16x16x16f16 v[54:57], v[16:17], v[2:3], v[54:57]
	s_nop 7
	s_nop 2
	v_cvt_f16_f32_e32 v16, v54
	v_cvt_f16_f32_e32 v17, v55
	;; [unrolled: 1-line block ×4, first 2 shown]
	v_cvt_f32_f16_e32 v54, v22
	v_pack_b32_f16 v16, v16, v17
	v_cvt_f32_f16_sdwa v55, v22 dst_sel:DWORD dst_unused:UNUSED_PAD src0_sel:WORD_1
	v_pack_b32_f16 v17, v23, v24
	ds_read_u16 v24, v138 offset:128
	ds_read_u16 v25, v118 offset:304
	;; [unrolled: 1-line block ×4, first 2 shown]
	v_cvt_f32_f16_e32 v56, v19
	v_cvt_f32_f16_sdwa v57, v19 dst_sel:DWORD dst_unused:UNUSED_PAD src0_sel:WORD_1
	s_waitcnt lgkmcnt(2)
	v_perm_b32 v22, v25, v24, s56
	s_waitcnt lgkmcnt(0)
	v_perm_b32 v23, v27, v23, s56
	s_nop 1
	v_mfma_f32_16x16x16f16 v[22:25], v[22:23], v[10:11], v[54:57]
	ds_read_u16 v27, v138 offset:2944
	ds_read_u16 v29, v118 offset:3120
	;; [unrolled: 1-line block ×3, first 2 shown]
	s_nop 3
	ds_read_u16 v54, v119 offset:2944
	s_nop 2
	v_cvt_f16_f32_e32 v10, v22
	v_cvt_f16_f32_e32 v11, v23
	;; [unrolled: 1-line block ×4, first 2 shown]
	v_cvt_f32_f16_e32 v22, v10
	v_cvt_f32_f16_e32 v23, v11
	s_waitcnt lgkmcnt(0)
	v_perm_b32 v11, v54, v31, s56
	v_perm_b32 v10, v29, v27, s56
	v_cvt_f32_f16_e32 v24, v19
	v_cvt_f32_f16_e32 v25, v25
	ds_read_u16 v19, v138 offset:5760
	ds_read_u16 v27, v118 offset:5936
	;; [unrolled: 1-line block ×4, first 2 shown]
	v_mfma_f32_16x16x16f16 v[22:25], v[10:11], v[6:7], v[22:25]
	s_nop 7
	s_nop 2
	v_cvt_f16_f32_e32 v6, v22
	v_cvt_f16_f32_e32 v7, v23
	;; [unrolled: 1-line block ×4, first 2 shown]
	v_cvt_f32_f16_e32 v22, v6
	v_cvt_f32_f16_e32 v23, v7
	s_waitcnt lgkmcnt(0)
	v_perm_b32 v7, v31, v29, s56
	v_perm_b32 v6, v27, v19, s56
	v_cvt_f32_f16_e32 v24, v10
	v_cvt_f32_f16_e32 v25, v11
	s_nop 1
	v_mfma_f32_16x16x16f16 v[22:25], v[6:7], v[4:5], v[22:25]
	s_nop 7
	s_nop 2
	v_cvt_f16_f32_e32 v5, v22
	ds_read_u16 v4, v138 offset:8576
	ds_read_u16 v11, v118 offset:8752
	;; [unrolled: 1-line block ×4, first 2 shown]
	v_cvt_f16_f32_e32 v6, v23
	v_cvt_f16_f32_e32 v7, v24
	;; [unrolled: 1-line block ×3, first 2 shown]
	v_cvt_f32_f16_e32 v54, v5
	s_waitcnt lgkmcnt(0)
	v_perm_b32 v5, v22, v19, s56
	v_perm_b32 v4, v11, v4, s56
	v_cvt_f32_f16_e32 v55, v6
	v_cvt_f32_f16_e32 v56, v7
	;; [unrolled: 1-line block ×3, first 2 shown]
	s_barrier
	s_nop 0
	v_mfma_f32_16x16x16f16 v[2:5], v[4:5], v[2:3], v[54:57]
	s_nop 7
	s_nop 2
	v_cvt_f16_f32_e32 v2, v2
	v_cvt_f16_f32_e32 v3, v3
	;; [unrolled: 1-line block ×4, first 2 shown]
	v_pack_b32_f16 v2, v2, v3
	v_pack_b32_f16 v3, v4, v5
	ds_bpermute_b32 v4, v20, v21
	s_waitcnt lgkmcnt(0)
	v_add_f32_e32 v4, v21, v4
	ds_bpermute_b32 v1, v1, v4
	s_waitcnt lgkmcnt(0)
	v_add_f32_e32 v19, v4, v1
	s_cbranch_scc0 .LBB9_298
; %bb.247:                              ;   in Loop: Header=BB9_13 Depth=1
	global_load_dword v1, v175, s[42:43]
	v_max_f32_e32 v4, v18, v18
	s_waitcnt vmcnt(0)
	v_max_f32_e32 v5, v1, v1
	v_max_f32_e32 v4, v4, v5
	v_sub_f32_e32 v5, v18, v4
	v_sub_f32_e32 v1, v1, v4
	v_mul_f32_e32 v6, 0x3fb8aa3b, v5
	v_mul_f32_e32 v7, 0x3fb8aa3b, v1
	v_fma_f32 v10, v5, s58, -v6
	v_rndne_f32_e32 v11, v6
	v_fma_f32 v20, v1, s58, -v7
	v_rndne_f32_e32 v21, v7
	v_fmac_f32_e32 v10, 0x32a5705f, v5
	v_sub_f32_e32 v6, v6, v11
	v_fmac_f32_e32 v20, 0x32a5705f, v1
	v_sub_f32_e32 v7, v7, v21
	v_add_f32_e32 v6, v6, v10
	v_cvt_i32_f32_e32 v11, v11
	v_add_f32_e32 v7, v7, v20
	v_exp_f32_e32 v6, v6
	v_cvt_i32_f32_e32 v21, v21
	v_exp_f32_e32 v7, v7
	v_cmp_ngt_f32_e32 vcc, s59, v5
	v_ldexp_f32 v6, v6, v11
	v_cndmask_b32_e32 v6, 0, v6, vcc
	v_ldexp_f32 v7, v7, v21
	v_cmp_ngt_f32_e32 vcc, s59, v1
	v_cndmask_b32_e32 v7, 0, v7, vcc
	v_cmp_nlt_f32_e32 vcc, s49, v5
	v_cndmask_b32_e32 v6, v223, v6, vcc
	v_cmp_le_f32_e32 vcc, s88, v5
	v_cndmask_b32_e32 v6, 0, v6, vcc
	v_cvt_f16_f32_e32 v25, v6
	v_cmp_nlt_f32_e32 vcc, s49, v1
	v_cndmask_b32_e32 v5, v223, v7, vcc
	v_fmac_f32_e32 v5, v19, v6
	v_pk_mul_f16 v6, v25, v8 op_sel_hi:[0,1]
	v_pk_mul_f16 v7, v25, v9 op_sel_hi:[0,1]
	;; [unrolled: 1-line block ×10, first 2 shown]
	s_cbranch_execnz .LBB9_249
.LBB9_248:                              ;   in Loop: Header=BB9_13 Depth=1
	v_pk_mov_b32 v[10:11], v[12:13], v[12:13] op_sel:[0,1]
	v_pk_mov_b32 v[6:7], v[8:9], v[8:9] op_sel:[0,1]
	;; [unrolled: 1-line block ×6, first 2 shown]
.LBB9_249:                              ;   in Loop: Header=BB9_13 Depth=1
	s_mov_b64 s[42:43], exec
	v_readlane_b32 s44, v254, 20
	v_readlane_b32 s45, v254, 21
	s_and_b64 s[44:45], s[42:43], s[44:45]
	s_mov_b64 exec, s[44:45]
	s_cbranch_execz .LBB9_251
; %bb.250:                              ;   in Loop: Header=BB9_13 Depth=1
	ds_write2_b32 v174, v4, v5 offset0:40 offset1:41
.LBB9_251:                              ;   in Loop: Header=BB9_13 Depth=1
	s_or_b64 exec, exec, s[42:43]
	v_mov_b32_e32 v1, 50
	s_waitcnt lgkmcnt(0)
	s_barrier
	ds_write2_b32 v107, v6, v7 offset1:1
	ds_write2_b32 v107, v10, v11 offset0:8 offset1:9
	ds_write2_b32 v107, v20, v21 offset0:16 offset1:17
	;; [unrolled: 1-line block ×4, first 2 shown]
	s_waitcnt lgkmcnt(0)
	s_barrier
	s_mov_b64 s[44:45], exec
	v_readlane_b32 s42, v254, 41
	v_readlane_b32 s43, v254, 42
	s_and_b64 s[42:43], s[44:45], s[42:43]
	s_mov_b64 exec, s[42:43]
	s_cbranch_execz .LBB9_253
; %bb.252:                              ;   in Loop: Header=BB9_13 Depth=1
	ds_read_b32 v1, v157 offset:164
	ds_read_b32 v4, v150
	v_readlane_b32 s42, v254, 10
	v_mad_u64_u32 v[2:3], s[42:43], v231, s42, v[42:43]
	v_ashrrev_i32_e32 v3, 31, v2
	v_lshlrev_b64 v[2:3], 3, v[2:3]
	v_readlane_b32 s42, v254, 24
	v_add_co_u32_e32 v2, vcc, s52, v2
	v_mov_b32_e32 v5, s42
	v_addc_co_u32_e32 v3, vcc, v5, v3, vcc
	s_waitcnt lgkmcnt(0)
	v_cvt_f32_f16_sdwa v5, v4 dst_sel:DWORD dst_unused:UNUSED_PAD src0_sel:WORD_1
	v_cvt_f32_f16_e32 v4, v4
	v_pk_add_f32 v[4:5], v[4:5], 0 op_sel_hi:[1,0]
	v_div_scale_f32 v6, s[42:43], v1, v1, v5
	v_rcp_f32_e32 v7, v6
	v_fma_f32 v8, -v6, v7, 1.0
	v_fmac_f32_e32 v7, v8, v7
	v_div_scale_f32 v8, vcc, v5, v1, v5
	v_mul_f32_e32 v9, v8, v7
	v_fma_f32 v10, -v6, v9, v8
	v_fmac_f32_e32 v9, v10, v7
	v_fma_f32 v6, -v6, v9, v8
	v_div_fmas_f32 v6, v6, v7, v9
	v_div_fixup_f32 v5, v6, v1, v5
	v_div_scale_f32 v6, s[42:43], v1, v1, v4
	v_rcp_f32_e32 v7, v6
	v_fma_f32 v8, -v6, v7, 1.0
	v_fmac_f32_e32 v7, v8, v7
	v_div_scale_f32 v8, vcc, v4, v1, v4
	v_mul_f32_e32 v9, v8, v7
	v_fma_f32 v10, -v6, v9, v8
	v_fmac_f32_e32 v9, v10, v7
	v_fma_f32 v6, -v6, v9, v8
	v_div_fmas_f32 v6, v6, v7, v9
	v_div_fixup_f32 v4, v6, v1, v4
	v_mov_b32_e32 v1, 0
	global_store_dwordx2 v[2:3], v[4:5], off
.LBB9_253:                              ;   in Loop: Header=BB9_13 Depth=1
	s_or_b64 exec, exec, s[44:45]
	v_cmp_gt_i32_e32 vcc, 50, v1
	s_mov_b64 s[44:45], -1
	s_and_saveexec_b64 s[42:43], vcc
; %bb.254:                              ;   in Loop: Header=BB9_13 Depth=1
	v_cmp_eq_u32_e32 vcc, 0, v1
	s_orn2_b64 s[44:45], vcc, exec
; %bb.255:                              ;   in Loop: Header=BB9_13 Depth=1
	s_or_b64 exec, exec, s[42:43]
	s_and_saveexec_b64 s[42:43], s[44:45]
	s_cbranch_execz .LBB9_288
; %bb.256:                              ;   in Loop: Header=BB9_13 Depth=1
	v_mov_b32_e32 v1, 50
	s_mov_b64 s[44:45], exec
	v_readlane_b32 s46, v254, 43
	v_readlane_b32 s47, v254, 44
	s_and_b64 s[46:47], s[44:45], s[46:47]
	s_mov_b64 exec, s[46:47]
	s_cbranch_execz .LBB9_258
; %bb.257:                              ;   in Loop: Header=BB9_13 Depth=1
	ds_read_b32 v1, v157 offset:1572
	ds_read_b32 v4, v150 offset:1408
	v_readlane_b32 s46, v254, 10
	v_mad_u64_u32 v[2:3], s[46:47], v230, s46, v[42:43]
	v_ashrrev_i32_e32 v3, 31, v2
	v_lshlrev_b64 v[2:3], 3, v[2:3]
	v_readlane_b32 s46, v254, 24
	v_add_co_u32_e32 v2, vcc, s52, v2
	v_mov_b32_e32 v5, s46
	v_addc_co_u32_e32 v3, vcc, v5, v3, vcc
	s_waitcnt lgkmcnt(0)
	v_cvt_f32_f16_sdwa v5, v4 dst_sel:DWORD dst_unused:UNUSED_PAD src0_sel:WORD_1
	v_cvt_f32_f16_e32 v4, v4
	v_pk_add_f32 v[4:5], v[4:5], 0 op_sel_hi:[1,0]
	v_div_scale_f32 v6, s[46:47], v1, v1, v5
	v_rcp_f32_e32 v7, v6
	v_fma_f32 v8, -v6, v7, 1.0
	v_fmac_f32_e32 v7, v8, v7
	v_div_scale_f32 v8, vcc, v5, v1, v5
	v_mul_f32_e32 v9, v8, v7
	v_fma_f32 v10, -v6, v9, v8
	v_fmac_f32_e32 v9, v10, v7
	v_fma_f32 v6, -v6, v9, v8
	v_div_fmas_f32 v6, v6, v7, v9
	v_div_fixup_f32 v5, v6, v1, v5
	v_div_scale_f32 v6, s[46:47], v1, v1, v4
	v_rcp_f32_e32 v7, v6
	v_fma_f32 v8, -v6, v7, 1.0
	v_fmac_f32_e32 v7, v8, v7
	v_div_scale_f32 v8, vcc, v4, v1, v4
	v_mul_f32_e32 v9, v8, v7
	v_fma_f32 v10, -v6, v9, v8
	v_fmac_f32_e32 v9, v10, v7
	v_fma_f32 v6, -v6, v9, v8
	v_div_fmas_f32 v6, v6, v7, v9
	v_div_fixup_f32 v4, v6, v1, v4
	v_mov_b32_e32 v1, 0
	global_store_dwordx2 v[2:3], v[4:5], off
.LBB9_258:                              ;   in Loop: Header=BB9_13 Depth=1
	s_or_b64 exec, exec, s[44:45]
	v_cmp_gt_i32_e32 vcc, 50, v1
	s_mov_b64 s[44:45], -1
	s_and_saveexec_b64 s[62:63], vcc
; %bb.259:                              ;   in Loop: Header=BB9_13 Depth=1
	v_cmp_eq_u32_e32 vcc, 0, v1
	s_orn2_b64 s[44:45], vcc, exec
; %bb.260:                              ;   in Loop: Header=BB9_13 Depth=1
	s_or_b64 exec, exec, s[62:63]
	s_and_b64 exec, exec, s[44:45]
	s_cbranch_execz .LBB9_288
; %bb.261:                              ;   in Loop: Header=BB9_13 Depth=1
	v_mov_b32_e32 v1, 50
	s_mov_b64 s[44:45], exec
	v_readlane_b32 s46, v254, 45
	v_readlane_b32 s47, v254, 46
	s_and_b64 s[46:47], s[44:45], s[46:47]
	s_mov_b64 exec, s[46:47]
	s_cbranch_execz .LBB9_263
; %bb.262:                              ;   in Loop: Header=BB9_13 Depth=1
	ds_read_b32 v1, v158 offset:164
	ds_read_b32 v4, v152
	v_readlane_b32 s46, v254, 10
	v_mad_u64_u32 v[2:3], s[46:47], v229, s46, v[42:43]
	v_ashrrev_i32_e32 v3, 31, v2
	v_lshlrev_b64 v[2:3], 3, v[2:3]
	v_readlane_b32 s46, v254, 24
	v_add_co_u32_e32 v2, vcc, s52, v2
	v_mov_b32_e32 v5, s46
	v_addc_co_u32_e32 v3, vcc, v5, v3, vcc
	s_waitcnt lgkmcnt(0)
	v_cvt_f32_f16_sdwa v5, v4 dst_sel:DWORD dst_unused:UNUSED_PAD src0_sel:WORD_1
	v_cvt_f32_f16_e32 v4, v4
	v_pk_add_f32 v[4:5], v[4:5], 0 op_sel_hi:[1,0]
	v_div_scale_f32 v6, s[46:47], v1, v1, v5
	v_rcp_f32_e32 v7, v6
	v_fma_f32 v8, -v6, v7, 1.0
	v_fmac_f32_e32 v7, v8, v7
	v_div_scale_f32 v8, vcc, v5, v1, v5
	v_mul_f32_e32 v9, v8, v7
	v_fma_f32 v10, -v6, v9, v8
	v_fmac_f32_e32 v9, v10, v7
	v_fma_f32 v6, -v6, v9, v8
	v_div_fmas_f32 v6, v6, v7, v9
	v_div_fixup_f32 v5, v6, v1, v5
	v_div_scale_f32 v6, s[46:47], v1, v1, v4
	v_rcp_f32_e32 v7, v6
	v_fma_f32 v8, -v6, v7, 1.0
	v_fmac_f32_e32 v7, v8, v7
	v_div_scale_f32 v8, vcc, v4, v1, v4
	v_mul_f32_e32 v9, v8, v7
	v_fma_f32 v10, -v6, v9, v8
	v_fmac_f32_e32 v9, v10, v7
	v_fma_f32 v6, -v6, v9, v8
	v_div_fmas_f32 v6, v6, v7, v9
	v_div_fixup_f32 v4, v6, v1, v4
	v_mov_b32_e32 v1, 0
	global_store_dwordx2 v[2:3], v[4:5], off
.LBB9_263:                              ;   in Loop: Header=BB9_13 Depth=1
	s_or_b64 exec, exec, s[44:45]
	v_cmp_gt_i32_e32 vcc, 50, v1
	s_mov_b64 s[44:45], -1
	s_and_saveexec_b64 s[62:63], vcc
; %bb.264:                              ;   in Loop: Header=BB9_13 Depth=1
	v_cmp_eq_u32_e32 vcc, 0, v1
	s_orn2_b64 s[44:45], vcc, exec
; %bb.265:                              ;   in Loop: Header=BB9_13 Depth=1
	s_or_b64 exec, exec, s[62:63]
	s_and_b64 exec, exec, s[44:45]
	s_cbranch_execz .LBB9_288
; %bb.266:                              ;   in Loop: Header=BB9_13 Depth=1
	v_mov_b32_e32 v1, 50
	s_mov_b64 s[44:45], exec
	v_readlane_b32 s46, v254, 47
	v_readlane_b32 s47, v254, 48
	s_and_b64 s[46:47], s[44:45], s[46:47]
	s_mov_b64 exec, s[46:47]
	s_cbranch_execz .LBB9_268
; %bb.267:                              ;   in Loop: Header=BB9_13 Depth=1
	ds_read_b32 v1, v157 offset:4388
	ds_read_b32 v4, v150 offset:4224
	v_readlane_b32 s46, v254, 10
	v_mad_u64_u32 v[2:3], s[46:47], v228, s46, v[42:43]
	v_ashrrev_i32_e32 v3, 31, v2
	v_lshlrev_b64 v[2:3], 3, v[2:3]
	v_readlane_b32 s46, v254, 24
	v_add_co_u32_e32 v2, vcc, s52, v2
	v_mov_b32_e32 v5, s46
	v_addc_co_u32_e32 v3, vcc, v5, v3, vcc
	s_waitcnt lgkmcnt(0)
	v_cvt_f32_f16_sdwa v5, v4 dst_sel:DWORD dst_unused:UNUSED_PAD src0_sel:WORD_1
	v_cvt_f32_f16_e32 v4, v4
	v_pk_add_f32 v[4:5], v[4:5], 0 op_sel_hi:[1,0]
	v_div_scale_f32 v6, s[46:47], v1, v1, v5
	v_rcp_f32_e32 v7, v6
	v_fma_f32 v8, -v6, v7, 1.0
	v_fmac_f32_e32 v7, v8, v7
	v_div_scale_f32 v8, vcc, v5, v1, v5
	v_mul_f32_e32 v9, v8, v7
	v_fma_f32 v10, -v6, v9, v8
	v_fmac_f32_e32 v9, v10, v7
	v_fma_f32 v6, -v6, v9, v8
	v_div_fmas_f32 v6, v6, v7, v9
	v_div_fixup_f32 v5, v6, v1, v5
	v_div_scale_f32 v6, s[46:47], v1, v1, v4
	v_rcp_f32_e32 v7, v6
	v_fma_f32 v8, -v6, v7, 1.0
	v_fmac_f32_e32 v7, v8, v7
	v_div_scale_f32 v8, vcc, v4, v1, v4
	v_mul_f32_e32 v9, v8, v7
	v_fma_f32 v10, -v6, v9, v8
	v_fmac_f32_e32 v9, v10, v7
	v_fma_f32 v6, -v6, v9, v8
	v_div_fmas_f32 v6, v6, v7, v9
	v_div_fixup_f32 v4, v6, v1, v4
	v_mov_b32_e32 v1, 0
	global_store_dwordx2 v[2:3], v[4:5], off
.LBB9_268:                              ;   in Loop: Header=BB9_13 Depth=1
	s_or_b64 exec, exec, s[44:45]
	v_cmp_gt_i32_e32 vcc, 50, v1
	s_mov_b64 s[44:45], -1
	s_and_saveexec_b64 s[62:63], vcc
; %bb.269:                              ;   in Loop: Header=BB9_13 Depth=1
	v_cmp_eq_u32_e32 vcc, 0, v1
	s_orn2_b64 s[44:45], vcc, exec
; %bb.270:                              ;   in Loop: Header=BB9_13 Depth=1
	s_or_b64 exec, exec, s[62:63]
	s_and_b64 exec, exec, s[44:45]
	s_cbranch_execz .LBB9_288
; %bb.271:                              ;   in Loop: Header=BB9_13 Depth=1
	v_mov_b32_e32 v1, 50
	s_mov_b64 s[44:45], exec
	v_readlane_b32 s46, v254, 49
	v_readlane_b32 s47, v254, 50
	s_and_b64 s[46:47], s[44:45], s[46:47]
	s_mov_b64 exec, s[46:47]
	s_cbranch_execz .LBB9_273
; %bb.272:                              ;   in Loop: Header=BB9_13 Depth=1
	buffer_load_dword v1, off, s[0:3], 0 offset:16 ; 4-byte Folded Reload
	v_readlane_b32 s46, v254, 10
	v_mad_u64_u32 v[2:3], s[46:47], v227, s46, v[42:43]
	v_ashrrev_i32_e32 v3, 31, v2
	v_lshlrev_b64 v[2:3], 3, v[2:3]
	v_readlane_b32 s46, v254, 24
	v_add_co_u32_e32 v2, vcc, s52, v2
	v_mov_b32_e32 v5, s46
	v_addc_co_u32_e32 v3, vcc, v5, v3, vcc
	s_waitcnt vmcnt(0)
	ds_read_b32 v1, v1 offset:164
	ds_read_b32 v4, v154
	s_waitcnt lgkmcnt(0)
	v_cvt_f32_f16_sdwa v5, v4 dst_sel:DWORD dst_unused:UNUSED_PAD src0_sel:WORD_1
	v_cvt_f32_f16_e32 v4, v4
	v_pk_add_f32 v[4:5], v[4:5], 0 op_sel_hi:[1,0]
	v_div_scale_f32 v6, s[46:47], v1, v1, v5
	v_rcp_f32_e32 v7, v6
	v_fma_f32 v8, -v6, v7, 1.0
	v_fmac_f32_e32 v7, v8, v7
	v_div_scale_f32 v8, vcc, v5, v1, v5
	v_mul_f32_e32 v9, v8, v7
	v_fma_f32 v10, -v6, v9, v8
	v_fmac_f32_e32 v9, v10, v7
	v_fma_f32 v6, -v6, v9, v8
	v_div_fmas_f32 v6, v6, v7, v9
	v_div_fixup_f32 v5, v6, v1, v5
	v_div_scale_f32 v6, s[46:47], v1, v1, v4
	v_rcp_f32_e32 v7, v6
	v_fma_f32 v8, -v6, v7, 1.0
	v_fmac_f32_e32 v7, v8, v7
	v_div_scale_f32 v8, vcc, v4, v1, v4
	v_mul_f32_e32 v9, v8, v7
	v_fma_f32 v10, -v6, v9, v8
	v_fmac_f32_e32 v9, v10, v7
	v_fma_f32 v6, -v6, v9, v8
	v_div_fmas_f32 v6, v6, v7, v9
	v_div_fixup_f32 v4, v6, v1, v4
	v_mov_b32_e32 v1, 0
	global_store_dwordx2 v[2:3], v[4:5], off
.LBB9_273:                              ;   in Loop: Header=BB9_13 Depth=1
	s_or_b64 exec, exec, s[44:45]
	v_cmp_gt_i32_e32 vcc, 50, v1
	s_mov_b64 s[44:45], -1
	s_and_saveexec_b64 s[62:63], vcc
; %bb.274:                              ;   in Loop: Header=BB9_13 Depth=1
	v_cmp_eq_u32_e32 vcc, 0, v1
	s_orn2_b64 s[44:45], vcc, exec
; %bb.275:                              ;   in Loop: Header=BB9_13 Depth=1
	s_or_b64 exec, exec, s[62:63]
	s_and_b64 exec, exec, s[44:45]
	s_cbranch_execz .LBB9_288
; %bb.276:                              ;   in Loop: Header=BB9_13 Depth=1
	v_mov_b32_e32 v1, 50
	s_mov_b64 s[44:45], exec
	v_readlane_b32 s46, v254, 51
	v_readlane_b32 s47, v254, 52
	s_and_b64 s[46:47], s[44:45], s[46:47]
	s_mov_b64 exec, s[46:47]
	s_cbranch_execz .LBB9_278
; %bb.277:                              ;   in Loop: Header=BB9_13 Depth=1
	ds_read_b32 v1, v157 offset:7204
	ds_read_b32 v4, v150 offset:7040
	v_readlane_b32 s46, v254, 10
	v_mad_u64_u32 v[2:3], s[46:47], v73, s46, v[42:43]
	v_ashrrev_i32_e32 v3, 31, v2
	v_lshlrev_b64 v[2:3], 3, v[2:3]
	v_readlane_b32 s46, v254, 24
	v_add_co_u32_e32 v2, vcc, s52, v2
	v_mov_b32_e32 v5, s46
	v_addc_co_u32_e32 v3, vcc, v5, v3, vcc
	s_waitcnt lgkmcnt(0)
	v_cvt_f32_f16_sdwa v5, v4 dst_sel:DWORD dst_unused:UNUSED_PAD src0_sel:WORD_1
	v_cvt_f32_f16_e32 v4, v4
	v_pk_add_f32 v[4:5], v[4:5], 0 op_sel_hi:[1,0]
	v_div_scale_f32 v6, s[46:47], v1, v1, v5
	v_rcp_f32_e32 v7, v6
	v_fma_f32 v8, -v6, v7, 1.0
	v_fmac_f32_e32 v7, v8, v7
	v_div_scale_f32 v8, vcc, v5, v1, v5
	v_mul_f32_e32 v9, v8, v7
	v_fma_f32 v10, -v6, v9, v8
	v_fmac_f32_e32 v9, v10, v7
	v_fma_f32 v6, -v6, v9, v8
	v_div_fmas_f32 v6, v6, v7, v9
	v_div_fixup_f32 v5, v6, v1, v5
	v_div_scale_f32 v6, s[46:47], v1, v1, v4
	v_rcp_f32_e32 v7, v6
	v_fma_f32 v8, -v6, v7, 1.0
	v_fmac_f32_e32 v7, v8, v7
	v_div_scale_f32 v8, vcc, v4, v1, v4
	v_mul_f32_e32 v9, v8, v7
	v_fma_f32 v10, -v6, v9, v8
	v_fmac_f32_e32 v9, v10, v7
	v_fma_f32 v6, -v6, v9, v8
	v_div_fmas_f32 v6, v6, v7, v9
	v_div_fixup_f32 v4, v6, v1, v4
	v_mov_b32_e32 v1, 0
	global_store_dwordx2 v[2:3], v[4:5], off
.LBB9_278:                              ;   in Loop: Header=BB9_13 Depth=1
	s_or_b64 exec, exec, s[44:45]
	v_cmp_gt_i32_e32 vcc, 50, v1
	s_mov_b64 s[44:45], -1
	s_and_saveexec_b64 s[62:63], vcc
; %bb.279:                              ;   in Loop: Header=BB9_13 Depth=1
	v_cmp_eq_u32_e32 vcc, 0, v1
	s_orn2_b64 s[44:45], vcc, exec
; %bb.280:                              ;   in Loop: Header=BB9_13 Depth=1
	s_or_b64 exec, exec, s[62:63]
	s_and_b64 exec, exec, s[44:45]
	s_cbranch_execz .LBB9_288
; %bb.281:                              ;   in Loop: Header=BB9_13 Depth=1
	v_mov_b32_e32 v1, 50
	s_mov_b64 s[44:45], exec
	v_readlane_b32 s46, v254, 53
	v_readlane_b32 s47, v254, 54
	s_and_b64 s[46:47], s[44:45], s[46:47]
	s_mov_b64 exec, s[46:47]
	s_cbranch_execz .LBB9_283
; %bb.282:                              ;   in Loop: Header=BB9_13 Depth=1
	buffer_load_dword v1, off, s[0:3], 0 offset:24 ; 4-byte Folded Reload
	buffer_load_dword v2, off, s[0:3], 0 offset:20 ; 4-byte Folded Reload
	v_readlane_b32 s46, v254, 10
	s_waitcnt vmcnt(1)
	ds_read_b32 v1, v1 offset:164
	s_waitcnt vmcnt(0)
	ds_read_b32 v4, v2
	v_mad_u64_u32 v[2:3], s[46:47], v71, s46, v[42:43]
	v_ashrrev_i32_e32 v3, 31, v2
	v_lshlrev_b64 v[2:3], 3, v[2:3]
	v_readlane_b32 s46, v254, 24
	v_add_co_u32_e32 v2, vcc, s52, v2
	v_mov_b32_e32 v5, s46
	v_addc_co_u32_e32 v3, vcc, v5, v3, vcc
	s_waitcnt lgkmcnt(0)
	v_cvt_f32_f16_sdwa v5, v4 dst_sel:DWORD dst_unused:UNUSED_PAD src0_sel:WORD_1
	v_cvt_f32_f16_e32 v4, v4
	v_pk_add_f32 v[4:5], v[4:5], 0 op_sel_hi:[1,0]
	v_div_scale_f32 v6, s[46:47], v1, v1, v5
	v_rcp_f32_e32 v7, v6
	v_fma_f32 v8, -v6, v7, 1.0
	v_fmac_f32_e32 v7, v8, v7
	v_div_scale_f32 v8, vcc, v5, v1, v5
	v_mul_f32_e32 v9, v8, v7
	v_fma_f32 v10, -v6, v9, v8
	v_fmac_f32_e32 v9, v10, v7
	v_fma_f32 v6, -v6, v9, v8
	v_div_fmas_f32 v6, v6, v7, v9
	v_div_fixup_f32 v5, v6, v1, v5
	v_div_scale_f32 v6, s[46:47], v1, v1, v4
	v_rcp_f32_e32 v7, v6
	v_fma_f32 v8, -v6, v7, 1.0
	v_fmac_f32_e32 v7, v8, v7
	v_div_scale_f32 v8, vcc, v4, v1, v4
	v_mul_f32_e32 v9, v8, v7
	v_fma_f32 v10, -v6, v9, v8
	v_fmac_f32_e32 v9, v10, v7
	v_fma_f32 v6, -v6, v9, v8
	v_div_fmas_f32 v6, v6, v7, v9
	v_div_fixup_f32 v4, v6, v1, v4
	v_mov_b32_e32 v1, 0
	global_store_dwordx2 v[2:3], v[4:5], off
.LBB9_283:                              ;   in Loop: Header=BB9_13 Depth=1
	s_or_b64 exec, exec, s[44:45]
	v_cmp_gt_i32_e32 vcc, 50, v1
	s_mov_b64 s[44:45], -1
	s_and_saveexec_b64 s[62:63], vcc
; %bb.284:                              ;   in Loop: Header=BB9_13 Depth=1
	v_cmp_eq_u32_e32 vcc, 0, v1
	s_orn2_b64 s[44:45], vcc, exec
; %bb.285:                              ;   in Loop: Header=BB9_13 Depth=1
	s_or_b64 exec, exec, s[62:63]
	s_and_b64 exec, exec, s[44:45]
	s_cbranch_execz .LBB9_288
; %bb.286:                              ;   in Loop: Header=BB9_13 Depth=1
	v_readlane_b32 s44, v254, 55
	v_readlane_b32 s45, v254, 56
	s_and_b64 exec, exec, s[44:45]
	s_cbranch_execz .LBB9_288
; %bb.287:                              ;   in Loop: Header=BB9_13 Depth=1
	ds_read_b32 v1, v157 offset:10020
	ds_read_b32 v4, v150 offset:9856
	v_readlane_b32 s44, v254, 10
	v_mad_u64_u32 v[2:3], s[44:45], v67, s44, v[42:43]
	v_ashrrev_i32_e32 v3, 31, v2
	v_lshlrev_b64 v[2:3], 3, v[2:3]
	v_readlane_b32 s44, v254, 24
	v_add_co_u32_e32 v2, vcc, s52, v2
	v_mov_b32_e32 v5, s44
	v_addc_co_u32_e32 v3, vcc, v5, v3, vcc
	s_waitcnt lgkmcnt(0)
	v_cvt_f32_f16_sdwa v5, v4 dst_sel:DWORD dst_unused:UNUSED_PAD src0_sel:WORD_1
	v_cvt_f32_f16_e32 v4, v4
	v_pk_add_f32 v[4:5], v[4:5], 0 op_sel_hi:[1,0]
	v_div_scale_f32 v6, s[44:45], v1, v1, v5
	v_rcp_f32_e32 v7, v6
	v_fma_f32 v8, -v6, v7, 1.0
	v_fmac_f32_e32 v7, v8, v7
	v_div_scale_f32 v8, vcc, v5, v1, v5
	v_mul_f32_e32 v9, v8, v7
	v_fma_f32 v10, -v6, v9, v8
	v_fmac_f32_e32 v9, v10, v7
	v_fma_f32 v6, -v6, v9, v8
	v_div_fmas_f32 v6, v6, v7, v9
	v_div_fixup_f32 v5, v6, v1, v5
	v_div_scale_f32 v6, s[44:45], v1, v1, v4
	v_rcp_f32_e32 v7, v6
	v_fma_f32 v8, -v6, v7, 1.0
	v_fmac_f32_e32 v7, v8, v7
	v_div_scale_f32 v8, vcc, v4, v1, v4
	v_mul_f32_e32 v9, v8, v7
	v_fma_f32 v10, -v6, v9, v8
	v_fmac_f32_e32 v9, v10, v7
	v_fma_f32 v6, -v6, v9, v8
	v_div_fmas_f32 v6, v6, v7, v9
	v_div_fixup_f32 v4, v6, v1, v4
	global_store_dwordx2 v[2:3], v[4:5], off
.LBB9_288:                              ;   in Loop: Header=BB9_13 Depth=1
	s_or_b64 exec, exec, s[42:43]
	v_mov_b32_e32 v1, 50
	s_mov_b64 s[42:43], exec
	v_readlane_b32 s44, v254, 57
	v_readlane_b32 s45, v254, 58
	s_and_b64 s[44:45], s[42:43], s[44:45]
	s_mov_b64 exec, s[44:45]
	s_cbranch_execz .LBB9_290
; %bb.289:                              ;   in Loop: Header=BB9_13 Depth=1
	ds_read_b32 v6, v161 offset:164
	ds_read_b32 v4, v128 offset:128
	v_readlane_b32 s44, v254, 10
	v_mul_lo_u32 v1, v65, s44
	v_ashrrev_i32_e32 v3, 31, v1
	v_add_co_u32_e32 v2, vcc, v1, v28
	s_waitcnt lgkmcnt(0)
	v_cvt_f32_f16_sdwa v5, v4 dst_sel:DWORD dst_unused:UNUSED_PAD src0_sel:WORD_1
	v_cvt_f32_f16_e32 v4, v4
	v_addc_co_u32_e32 v3, vcc, 0, v3, vcc
	v_lshlrev_b64 v[2:3], 3, v[2:3]
	v_readlane_b32 s44, v254, 24
	v_add_co_u32_e32 v2, vcc, s52, v2
	v_mov_b32_e32 v1, s44
	v_pk_add_f32 v[4:5], v[4:5], 0 op_sel_hi:[1,0]
	v_addc_co_u32_e32 v3, vcc, v1, v3, vcc
	v_div_scale_f32 v1, s[44:45], v6, v6, v5
	v_rcp_f32_e32 v7, v1
	v_fma_f32 v8, -v1, v7, 1.0
	v_fmac_f32_e32 v7, v8, v7
	v_div_scale_f32 v8, vcc, v5, v6, v5
	v_mul_f32_e32 v9, v8, v7
	v_fma_f32 v10, -v1, v9, v8
	v_fmac_f32_e32 v9, v10, v7
	v_fma_f32 v1, -v1, v9, v8
	v_div_fmas_f32 v1, v1, v7, v9
	v_div_fixup_f32 v5, v1, v6, v5
	v_div_scale_f32 v1, s[44:45], v6, v6, v4
	v_rcp_f32_e32 v7, v1
	v_fma_f32 v8, -v1, v7, 1.0
	v_fmac_f32_e32 v7, v8, v7
	v_div_scale_f32 v8, vcc, v4, v6, v4
	v_mul_f32_e32 v9, v8, v7
	v_fma_f32 v10, -v1, v9, v8
	v_fmac_f32_e32 v9, v10, v7
	v_fma_f32 v1, -v1, v9, v8
	v_div_fmas_f32 v1, v1, v7, v9
	v_div_fixup_f32 v4, v1, v6, v4
	v_mov_b32_e32 v1, 0
	global_store_dwordx2 v[2:3], v[4:5], off offset:256
.LBB9_290:                              ;   in Loop: Header=BB9_13 Depth=1
	s_or_b64 exec, exec, s[42:43]
	v_cmp_gt_i32_e32 vcc, 50, v1
	s_mov_b64 s[44:45], -1
	s_and_saveexec_b64 s[42:43], vcc
; %bb.291:                              ;   in Loop: Header=BB9_13 Depth=1
	v_cmp_eq_u32_e32 vcc, 0, v1
	s_orn2_b64 s[44:45], vcc, exec
; %bb.292:                              ;   in Loop: Header=BB9_13 Depth=1
	s_or_b64 exec, exec, s[42:43]
                                        ; implicit-def: $vgpr2_vgpr3
	s_and_saveexec_b64 s[42:43], s[44:45]
	v_readlane_b32 s64, v254, 39
	v_readlane_b32 s65, v254, 40
	s_cbranch_execz .LBB9_296
; %bb.293:                              ;   in Loop: Header=BB9_13 Depth=1
	s_mov_b64 s[62:63], s[64:65]
                                        ; implicit-def: $vgpr2_vgpr3
	s_mov_b64 s[44:45], exec
	v_readlane_b32 s46, v254, 59
	v_readlane_b32 s47, v254, 60
	s_and_b64 s[46:47], s[44:45], s[46:47]
	s_mov_b64 exec, s[46:47]
	s_cbranch_execz .LBB9_295
; %bb.294:                              ;   in Loop: Header=BB9_13 Depth=1
	ds_read_b32 v1, v161 offset:5796
	ds_read_b32 v2, v129 offset:128
	v_readlane_b32 s64, v254, 39
	v_readlane_b32 s65, v254, 40
	s_or_b64 s[62:63], s[64:65], exec
	s_waitcnt lgkmcnt(0)
	v_cvt_f32_f16_sdwa v3, v2 dst_sel:DWORD dst_unused:UNUSED_PAD src0_sel:WORD_1
	v_cvt_f32_f16_e32 v2, v2
	v_pk_add_f32 v[2:3], v[2:3], 0 op_sel_hi:[1,0]
	v_div_scale_f32 v4, s[46:47], v1, v1, v3
	v_rcp_f32_e32 v5, v4
	v_fma_f32 v6, -v4, v5, 1.0
	v_fmac_f32_e32 v5, v6, v5
	v_div_scale_f32 v6, vcc, v3, v1, v3
	v_mul_f32_e32 v7, v6, v5
	v_fma_f32 v8, -v4, v7, v6
	v_fmac_f32_e32 v7, v8, v5
	v_fma_f32 v4, -v4, v7, v6
	v_div_fmas_f32 v4, v4, v5, v7
	v_div_fixup_f32 v3, v4, v1, v3
	v_div_scale_f32 v4, s[46:47], v1, v1, v2
	v_rcp_f32_e32 v5, v4
	v_fma_f32 v6, -v4, v5, 1.0
	v_fmac_f32_e32 v5, v6, v5
	v_div_scale_f32 v6, vcc, v2, v1, v2
	v_mul_f32_e32 v7, v6, v5
	v_fma_f32 v8, -v4, v7, v6
	v_fmac_f32_e32 v7, v8, v5
	v_fma_f32 v4, -v4, v7, v6
	v_div_fmas_f32 v4, v4, v5, v7
	v_div_fixup_f32 v2, v4, v1, v2
.LBB9_295:                              ;   in Loop: Header=BB9_13 Depth=1
	s_or_b64 exec, exec, s[44:45]
	s_andn2_b64 s[44:45], s[64:65], exec
	s_and_b64 s[46:47], s[62:63], exec
	s_or_b64 s[64:65], s[44:45], s[46:47]
.LBB9_296:                              ;   in Loop: Header=BB9_13 Depth=1
	s_or_b64 exec, exec, s[42:43]
	s_and_saveexec_b64 s[42:43], s[64:65]
	s_cbranch_execz .LBB9_12
.LBB9_297:                              ;   in Loop: Header=BB9_13 Depth=1
	v_readlane_b32 s44, v254, 10
	v_mul_lo_u32 v1, v226, s44
	v_ashrrev_i32_e32 v5, 31, v1
	v_add_co_u32_e32 v4, vcc, v1, v28
	v_addc_co_u32_e32 v5, vcc, 0, v5, vcc
	v_lshlrev_b64 v[4:5], 3, v[4:5]
	v_readlane_b32 s44, v254, 24
	v_mov_b32_e32 v1, s44
	v_add_co_u32_e32 v4, vcc, s52, v4
	v_addc_co_u32_e32 v5, vcc, v1, v5, vcc
	global_store_dwordx2 v[4:5], v[2:3], off offset:256
	s_branch .LBB9_12
.LBB9_298:                              ;   in Loop: Header=BB9_13 Depth=1
                                        ; implicit-def: $vgpr4_vgpr5
                                        ; implicit-def: $vgpr24_vgpr25
                                        ; implicit-def: $vgpr22_vgpr23
                                        ; implicit-def: $vgpr20_vgpr21
                                        ; implicit-def: $vgpr6_vgpr7
                                        ; implicit-def: $vgpr10_vgpr11
	s_branch .LBB9_248
.LBB9_299:
	v_writelane_b32 v253, s44, 61
	v_writelane_b32 v253, s45, 62
	s_andn2_b64 vcc, exec, s[42:43]
	s_cbranch_vccz .LBB9_302
.LBB9_300:
	s_endpgm
.LBB9_301:
	v_readlane_b32 s33, v253, 63
	s_andn2_b64 vcc, exec, s[42:43]
	s_cbranch_vccnz .LBB9_300
.LBB9_302:
	v_readlane_b32 s11, v253, 7
	s_abs_i32 s4, s11
	v_cvt_f32_u32_e32 v1, s4
	v_readlane_b32 s6, v253, 12
	v_readlane_b32 s7, v253, 13
	s_sub_i32 s7, 0, s4
	v_rcp_iflag_f32_e32 v1, v1
	s_mov_b32 s14, s6
	s_xor_b32 s5, s6, s11
	s_abs_i32 s6, s6
	v_mul_f32_e32 v1, 0x4f7ffffe, v1
	v_cvt_u32_f32_e32 v1, v1
	s_ashr_i32 s5, s5, 31
	v_readlane_b32 s15, v253, 6
	v_readlane_b32 s16, v253, 35
	v_readfirstlane_b32 s9, v1
	s_mul_i32 s7, s7, s9
	s_mul_hi_u32 s7, s9, s7
	s_add_i32 s9, s9, s7
	s_mul_hi_u32 s7, s6, s9
	s_mul_i32 s9, s7, s4
	s_sub_i32 s6, s6, s9
	s_add_i32 s10, s7, 1
	s_sub_i32 s9, s6, s4
	s_cmp_ge_u32 s6, s4
	s_cselect_b32 s7, s10, s7
	s_cselect_b32 s6, s9, s6
	s_add_i32 s9, s7, 1
	s_cmp_ge_u32 s6, s4
	s_cselect_b32 s4, s9, s7
	s_abs_i32 s6, s15
	v_cvt_f32_u32_e32 v1, s6
	s_xor_b32 s4, s4, s5
	s_sub_i32 s7, 0, s6
	s_sub_i32 s12, s4, s5
	v_rcp_iflag_f32_e32 v1, v1
	s_mul_i32 s4, s12, s11
	s_sub_i32 s4, s14, s4
	s_abs_i32 s9, s4
	v_mul_f32_e32 v1, 0x4f7ffffe, v1
	v_cvt_u32_f32_e32 v1, v1
	s_xor_b32 s5, s4, s15
	s_ashr_i32 s5, s5, 31
	v_readlane_b32 s14, v253, 3
	v_readfirstlane_b32 s10, v1
	s_mul_i32 s7, s7, s10
	s_mul_hi_u32 s7, s10, s7
	s_add_i32 s10, s10, s7
	s_mul_hi_u32 s7, s9, s10
	s_mul_i32 s10, s7, s6
	s_sub_i32 s9, s9, s10
	s_add_i32 s11, s7, 1
	s_sub_i32 s10, s9, s6
	s_cmp_ge_u32 s9, s6
	s_cselect_b32 s7, s11, s7
	s_cselect_b32 s9, s10, s9
	s_add_i32 s10, s7, 1
	s_cmp_ge_u32 s9, s6
	s_cselect_b32 s6, s10, s7
	s_abs_i32 s7, s14
	v_cvt_f32_u32_e32 v1, s7
	s_xor_b32 s6, s6, s5
	s_sub_i32 s9, 0, s7
	s_sub_i32 s13, s6, s5
	v_rcp_iflag_f32_e32 v1, v1
	s_mul_i32 s5, s13, s15
	s_sub_i32 s5, s4, s5
	s_abs_i32 s6, s5
	v_mul_f32_e32 v1, 0x4f7ffffe, v1
	v_cvt_u32_f32_e32 v1, v1
	s_xor_b32 s4, s5, s14
	s_ashr_i32 s4, s4, 31
	v_readlane_b32 s22, v253, 41
	v_readfirstlane_b32 s10, v1
	s_mul_i32 s9, s9, s10
	s_mul_hi_u32 s9, s10, s9
	s_add_i32 s10, s10, s9
	s_mul_hi_u32 s9, s6, s10
	s_mul_i32 s10, s9, s7
	s_sub_i32 s6, s6, s10
	s_add_i32 s11, s9, 1
	s_sub_i32 s10, s6, s7
	s_cmp_ge_u32 s6, s7
	s_cselect_b32 s9, s11, s9
	s_cselect_b32 s6, s10, s6
	s_add_i32 s10, s9, 1
	s_cmp_ge_u32 s6, s7
	s_cselect_b32 s6, s10, s9
	s_xor_b32 s6, s6, s4
	s_sub_i32 s4, s6, s4
	s_mul_i32 s6, s4, s14
	s_sub_i32 s5, s5, s6
	s_abs_i32 s15, s5
	v_readlane_b32 s6, v253, 33
	s_ashr_i32 s14, s12, 31
	v_readlane_b32 s23, v253, 42
	s_mul_hi_u32 s9, s15, s6
	s_cmp_eq_u64 s[22:23], 0
	s_mov_b64 s[44:45], 0
	v_readlane_b32 s17, v253, 36
	v_readlane_b32 s18, v253, 37
	;; [unrolled: 1-line block ×13, first 2 shown]
	s_cbranch_scc1 .LBB9_304
; %bb.303:
	v_readlane_b32 s6, v253, 59
	s_abs_i32 s6, s6
	v_cvt_f32_u32_e32 v1, s6
	s_sub_i32 s10, 0, s6
	v_readlane_b32 s7, v253, 60
	s_abs_i32 s7, s12
	v_rcp_iflag_f32_e32 v1, v1
	v_readlane_b32 s16, v253, 23
	v_readlane_b32 s17, v253, 24
	v_mul_f32_e32 v1, 0x4f7ffffe, v1
	v_cvt_u32_f32_e32 v1, v1
	v_readfirstlane_b32 s11, v1
	s_mul_i32 s10, s10, s11
	s_mul_hi_u32 s10, s11, s10
	s_add_i32 s11, s11, s10
	s_mul_hi_u32 s10, s7, s11
	s_mul_i32 s10, s10, s6
	s_sub_i32 s7, s7, s10
	s_sub_i32 s10, s7, s6
	s_cmp_ge_u32 s7, s6
	s_cselect_b32 s7, s10, s7
	s_sub_i32 s10, s7, s6
	s_cmp_ge_u32 s7, s6
	s_cselect_b32 s6, s10, s7
	s_xor_b32 s6, s6, s14
	s_sub_i32 s6, s6, s14
	s_ashr_i32 s7, s6, 31
	s_mul_i32 s10, s6, s17
	s_mul_hi_u32 s11, s6, s16
	s_add_i32 s10, s11, s10
	s_mul_i32 s7, s7, s16
	s_add_i32 s10, s10, s7
	s_mul_i32 s6, s6, s16
	s_add_u32 s44, s22, s6
	s_addc_u32 s45, s23, s10
.LBB9_304:
	s_ashr_i32 s17, s5, 31
	v_readlane_b32 s5, v253, 2
	v_readlane_b32 s20, v253, 55
	s_mul_i32 s16, s13, s5
	v_readlane_b32 s21, v253, 56
	s_add_i32 s16, s16, s4
	v_cmp_le_f32_e64 s[4:5], s21, 0
	v_readlane_b32 s22, v253, 57
	v_readlane_b32 s23, v253, 58
	s_and_b64 vcc, exec, s[4:5]
	v_mov_b32_e32 v40, 1.0
	s_cbranch_vccnz .LBB9_306
; %bb.305:
	v_readlane_b32 s5, v253, 20
	s_sub_i32 s4, s16, s5
	s_lshl_b32 s4, s4, 1
	s_add_i32 s6, s16, 1
	s_or_b32 s7, s4, 1
	s_cmp_lt_u32 s16, s5
	s_cselect_b64 vcc, -1, 0
	s_and_b64 s[4:5], vcc, exec
	v_mov_b32_e32 v1, s23
	v_mov_b32_e32 v2, s22
	s_cselect_b32 s4, s6, s7
	v_cndmask_b32_e32 v18, v1, v2, vcc
	v_cvt_f32_i32_e32 v1, s4
	v_cmp_neq_f32_e32 vcc, 1.0, v18
	s_mov_b32 s4, 0x3f2aaaab
	s_movk_i32 s6, 0x204
	v_cndmask_b32_e32 v19, 1.0, v1, vcc
	v_cmp_eq_f32_e32 vcc, 0, v19
	v_cndmask_b32_e64 v20, |v18|, 1.0, vcc
	v_frexp_mant_f32_e32 v1, v20
	v_cmp_gt_f32_e64 s[4:5], s4, v1
	v_cndmask_b32_e64 v2, 1.0, 2.0, s[4:5]
	v_mul_f32_e32 v1, v1, v2
	v_add_f32_e32 v2, 1.0, v1
	v_rcp_f32_e32 v10, v2
	v_add_f32_e32 v3, -1.0, v2
	v_sub_f32_e32 v5, v1, v3
	v_add_f32_e32 v3, -1.0, v1
	v_mul_f32_e32 v1, v3, v10
	v_mul_f32_e32 v4, v2, v1
	v_fma_f32 v6, v1, v2, -v4
	v_fmac_f32_e32 v6, v1, v5
	v_add_f32_e32 v2, v4, v6
	v_sub_f32_e32 v5, v3, v2
	v_pk_add_f32 v[8:9], v[2:3], v[4:5] neg_lo:[0,1] neg_hi:[0,1]
	v_mov_b32_e32 v7, v2
	v_pk_add_f32 v[2:3], v[8:9], v[6:7] neg_lo:[0,1] neg_hi:[0,1]
	v_add_f32_e32 v2, v2, v3
	v_add_f32_e32 v2, v5, v2
	v_mul_f32_e32 v3, v10, v2
	v_add_f32_e32 v2, v1, v3
	v_sub_f32_e32 v1, v2, v1
	v_sub_f32_e32 v1, v3, v1
	v_mul_f32_e32 v3, v2, v2
	v_fma_f32 v5, v2, v2, -v3
	v_add_f32_e32 v4, v1, v1
	v_fmac_f32_e32 v5, v2, v4
	v_add_f32_e32 v4, v3, v5
	v_mov_b32_e32 v6, 0x3e91f4c4
	v_fmac_f32_e32 v6, 0x3e76c4e1, v4
	v_mov_b32_e32 v7, 0x3ecccdef
	v_fmac_f32_e32 v7, v4, v6
	v_sub_f32_e32 v3, v4, v3
	v_sub_f32_e32 v12, v5, v3
	v_mul_f32_e32 v3, v4, v7
	v_fma_f32 v5, v4, v7, -v3
	v_fmac_f32_e32 v5, v12, v7
	v_add_f32_e32 v6, v3, v5
	v_add_f32_e32 v7, 0x3f2aaaaa, v6
	v_sub_f32_e32 v3, v6, v3
	v_sub_f32_e32 v3, v5, v3
	v_add_f32_e32 v5, 0xbf2aaaaa, v7
	v_add_f32_e32 v3, 0x31739010, v3
	v_sub_f32_e32 v5, v6, v5
	v_pk_mul_f32 v[8:9], v[2:3], v[4:5]
	v_fma_f32 v6, v4, v2, -v8
	v_pk_add_f32 v[10:11], v[2:3], v[4:5]
	v_fmac_f32_e32 v6, v4, v1
	v_mov_b32_e32 v9, v11
	v_fmac_f32_e32 v6, v12, v2
	v_pk_add_f32 v[4:5], v[8:9], v[6:7]
	v_sub_f32_e32 v3, v4, v8
	v_sub_f32_e32 v3, v6, v3
	;; [unrolled: 1-line block ×3, first 2 shown]
	v_add_f32_e32 v9, v11, v6
	v_mov_b32_e32 v6, v5
	v_pk_mul_f32 v[6:7], v[4:5], v[6:7]
	v_cvt_f64_f32_e32 v[10:11], v20
	v_frexp_exp_i32_f64_e32 v7, v[10:11]
	v_subbrev_co_u32_e64 v7, s[4:5], 0, v7, s[4:5]
	v_cvt_f32_i32_e32 v7, v7
	v_fma_f32 v8, v4, v5, -v6
	v_fmac_f32_e32 v8, v4, v9
	s_mov_b32 s4, 0x3f317218
	v_mul_f32_e32 v4, 0x3f317218, v7
	v_fmac_f32_e32 v8, v3, v5
	v_fma_f32 v10, v7, s4, -v4
	v_fmac_f32_e32 v10, 0xb102e308, v7
	v_ldexp_f32 v11, v2, 1
	v_add_f32_e32 v5, v6, v8
	v_pk_add_f32 v[2:3], v[4:5], v[10:11]
	v_mov_b32_e32 v12, v5
	v_mov_b32_e32 v13, v3
	;; [unrolled: 1-line block ×3, first 2 shown]
	v_pk_add_f32 v[6:7], v[12:13], v[6:7] neg_lo:[0,1] neg_hi:[0,1]
	v_mov_b32_e32 v9, v5
	v_ldexp_f32 v1, v1, 1
	v_pk_add_f32 v[6:7], v[8:9], v[6:7] neg_lo:[0,1] neg_hi:[0,1]
	v_add_f32_e32 v1, v1, v6
	v_add_f32_e32 v5, v1, v7
	v_pk_add_f32 v[6:7], v[2:3], v[4:5] neg_lo:[0,1] neg_hi:[0,1]
	v_pk_add_f32 v[8:9], v[2:3], v[4:5]
	v_mov_b32_e32 v12, v6
	v_mov_b32_e32 v13, v9
	;; [unrolled: 1-line block ×3, first 2 shown]
	v_pk_add_f32 v[12:13], v[10:11], v[12:13]
	v_mov_b32_e32 v4, v13
	v_pk_add_f32 v[14:15], v[4:5], v[2:3] neg_lo:[0,1] neg_hi:[0,1]
	v_mov_b32_e32 v1, v14
	v_mov_b32_e32 v12, v9
	;; [unrolled: 1-line block ×4, first 2 shown]
	v_pk_add_f32 v[6:7], v[10:11], v[6:7] neg_lo:[0,1] neg_hi:[0,1]
	v_pk_add_f32 v[16:17], v[8:9], v[0:1] neg_lo:[0,1] neg_hi:[0,1]
	;; [unrolled: 1-line block ×3, first 2 shown]
	v_mov_b32_e32 v10, v5
	v_pk_add_f32 v[2:3], v[10:11], v[2:3] neg_lo:[0,1] neg_hi:[0,1]
	v_mov_b32_e32 v16, v6
	v_pk_add_f32 v[8:9], v[16:17], v[2:3]
	v_mov_b32_e32 v10, v9
	v_pk_add_f32 v[10:11], v[8:9], v[10:11]
	v_pk_add_f32 v[4:5], v[4:5], v[10:11]
	v_mov_b32_e32 v7, v13
	v_mov_b32_e32 v9, v4
	v_pk_add_f32 v[12:13], v[8:9], v[6:7] neg_lo:[0,1] neg_hi:[0,1]
	v_mov_b32_e32 v3, v10
	v_sub_f32_e32 v1, v8, v12
	v_pk_add_f32 v[2:3], v[2:3], v[12:13] neg_lo:[0,1] neg_hi:[0,1]
	v_sub_f32_e32 v1, v6, v1
	v_add_f32_e32 v1, v2, v1
	v_add_f32_e32 v1, v1, v3
	;; [unrolled: 1-line block ×3, first 2 shown]
	v_sub_f32_e32 v3, v2, v4
	v_sub_f32_e32 v1, v1, v3
	v_mul_f32_e32 v3, v19, v2
	v_fma_f32 v2, v19, v2, -v3
	v_fmac_f32_e32 v2, v19, v1
	v_add_f32_e32 v1, v3, v2
	v_cmp_class_f32_e64 s[4:5], v3, s6
	v_sub_f32_e32 v4, v1, v3
	v_cndmask_b32_e64 v1, v1, v3, s[4:5]
	s_mov_b32 s10, 0x42b17218
	v_mov_b32_e32 v3, 0x37000000
	v_cmp_eq_f32_e64 s[4:5], s10, v1
	v_cndmask_b32_e64 v3, 0, v3, s[4:5]
	v_sub_f32_e32 v2, v2, v4
	v_sub_f32_e32 v4, v1, v3
	s_mov_b32 s4, 0x3fb8aa3b
	v_mul_f32_e32 v5, 0x3fb8aa3b, v4
	v_fma_f32 v6, v4, s4, -v5
	v_rndne_f32_e32 v7, v5
	v_fmac_f32_e32 v6, 0x32a5705f, v4
	v_sub_f32_e32 v5, v5, v7
	v_add_f32_e32 v5, v5, v6
	v_exp_f32_e32 v5, v5
	v_cvt_i32_f32_e32 v6, v7
	s_mov_b32 s7, 0x7f800000
	v_cmp_neq_f32_e64 s[4:5], |v1|, s7
	v_cndmask_b32_e64 v1, 0, v2, s[4:5]
	s_mov_b32 s4, 0xc2ce8ed0
	v_ldexp_f32 v2, v5, v6
	v_cmp_ngt_f32_e64 s[4:5], s4, v4
	v_add_f32_e32 v1, v3, v1
	v_cndmask_b32_e64 v2, 0, v2, s[4:5]
	v_mov_b32_e32 v3, 0x7f800000
	v_cmp_nlt_f32_e64 s[4:5], s10, v4
	v_cndmask_b32_e64 v2, v3, v2, s[4:5]
	v_fma_f32 v1, v2, v1, v2
	v_cmp_class_f32_e64 s[4:5], v2, s6
	v_trunc_f32_e32 v4, v19
	v_cndmask_b32_e64 v1, v1, v2, s[4:5]
	v_cndmask_b32_e64 v2, v18, 1.0, vcc
	v_cmp_eq_f32_e32 vcc, v4, v19
	v_mul_f32_e32 v4, 0.5, v19
	v_trunc_f32_e32 v6, v4
	v_cmp_neq_f32_e64 s[4:5], v6, v4
	s_and_b64 s[4:5], vcc, s[4:5]
	v_cndmask_b32_e64 v4, 1.0, v2, s[4:5]
	s_brev_b32 s18, -2
	v_mov_b32_e32 v5, 0x7fc00000
	v_bfi_b32 v1, s18, v1, v4
	v_cndmask_b32_e32 v4, v5, v1, vcc
	v_cmp_gt_f32_e32 vcc, 0, v2
	v_cndmask_b32_e32 v1, v1, v4, vcc
	v_cmp_eq_f32_e32 vcc, s7, v20
	v_cmp_eq_f32_e64 s[6:7], 0, v2
	v_cmp_gt_f32_e64 s[10:11], 0, v19
	s_xor_b64 s[10:11], s[10:11], s[6:7]
	v_cndmask_b32_e64 v3, v3, 0, s[10:11]
	v_cndmask_b32_e64 v4, 0, v2, s[4:5]
	v_bfi_b32 v3, s18, v3, v4
	s_or_b64 vcc, vcc, s[6:7]
	v_cndmask_b32_e32 v1, v1, v3, vcc
	v_cmp_o_f32_e32 vcc, v2, v2
	v_cndmask_b32_e32 v40, v5, v1, vcc
.LBB9_306:
	v_readlane_b32 s10, v253, 34
	s_mul_i32 s5, s9, s10
	v_readlane_b32 s4, v253, 32
	s_sub_i32 s5, s15, s5
	s_xor_b32 s4, s17, s4
	s_add_i32 s6, s9, 1
	s_sub_i32 s7, s5, s10
	s_cmp_ge_u32 s5, s10
	s_cselect_b32 s6, s6, s9
	s_cselect_b32 s5, s7, s5
	s_add_i32 s7, s6, 1
	s_cmp_ge_u32 s5, s10
	s_cselect_b32 s5, s7, s6
	s_xor_b32 s5, s5, s4
	v_readlane_b32 s52, v253, 35
	s_sub_i32 s4, s5, s4
	v_readlane_b32 s62, v253, 45
	v_readlane_b32 s63, v253, 46
	;; [unrolled: 1-line block ×3, first 2 shown]
	s_cmp_eq_u64 s[62:63], 0
	v_mov_b32_e32 v8, s33
	v_readlane_b32 s54, v253, 37
	v_readlane_b32 s55, v253, 38
	;; [unrolled: 1-line block ×12, first 2 shown]
	s_cbranch_scc1 .LBB9_308
; %bb.307:
	v_readlane_b32 s5, v253, 0
	s_mul_i32 s5, s12, s5
	s_add_i32 s6, s4, s5
	s_ashr_i32 s7, s6, 31
	s_lshl_b64 s[6:7], s[6:7], 2
	s_add_u32 s6, s62, s6
	s_addc_u32 s7, s63, s7
	v_mov_b32_e32 v1, 0
	global_load_dword v1, v1, s[6:7]
	s_waitcnt vmcnt(0)
	v_ashrrev_i32_e32 v2, 31, v1
	v_lshrrev_b32_e32 v2, 26, v2
	v_add_u32_e32 v1, v1, v2
	v_ashrrev_i32_e32 v1, 6, v1
	v_min_i32_e32 v8, s33, v1
.LBB9_308:
	v_readlane_b32 s10, v253, 10
	v_readlane_b32 s11, v253, 11
	s_mul_i32 s5, s12, s11
	s_ashr_i32 s6, s5, 31
	s_add_u32 s5, s52, s5
	s_mul_i32 s16, s16, s10
	s_addc_u32 s7, s53, s6
	s_ashr_i32 s9, s16, 31
	v_and_b32_e32 v93, 0x3ff, v0
	s_add_u32 s6, s5, s16
	v_lshrrev_b32_e32 v0, 5, v93
	s_addc_u32 s7, s7, s9
	s_lshl_b32 s48, s4, 6
	v_lshl_add_u32 v90, v35, 1, v0
	v_and_b32_e32 v34, 31, v93
	v_add_u32_e32 v0, s48, v90
	v_readlane_b32 s16, v253, 51
	v_cmp_le_i32_e32 vcc, s16, v0
	v_mad_u32_u24 v88, v90, 44, v34
	v_readlane_b32 s17, v253, 52
	v_readlane_b32 s18, v253, 53
	;; [unrolled: 1-line block ×3, first 2 shown]
	s_and_saveexec_b64 s[4:5], vcc
	s_xor_b64 s[4:5], exec, s[4:5]
	s_cbranch_execz .LBB9_310
; %bb.309:
	v_lshl_add_u32 v0, v88, 2, 0
	v_mov_b32_e32 v1, 0
	ds_write_b32 v0, v1
                                        ; implicit-def: $vgpr0
.LBB9_310:
	s_andn2_saveexec_b64 s[4:5], s[4:5]
	s_cbranch_execz .LBB9_312
; %bb.311:
	v_readlane_b32 s9, v253, 25
	v_mad_u64_u32 v[0:1], s[10:11], v0, s9, v[34:35]
	v_ashrrev_i32_e32 v1, 31, v0
	v_lshlrev_b64 v[0:1], 3, v[0:1]
	v_mov_b32_e32 v2, s7
	v_add_co_u32_e32 v0, vcc, s6, v0
	v_addc_co_u32_e32 v1, vcc, v2, v1, vcc
	global_load_dwordx2 v[0:1], v[0:1], off
	s_waitcnt vmcnt(0)
	v_cvt_f16_f32_e32 v0, v0
	v_cvt_f16_f32_e32 v1, v1
	v_pack_b32_f16 v0, v0, v1
	v_pk_mul_f16 v0, v33, v0
	v_lshl_add_u32 v1, v88, 2, 0
	ds_write_b32 v1, v0
.LBB9_312:
	s_or_b64 exec, exec, s[4:5]
	v_add_u32_e32 v89, 8, v90
	v_add_u32_e32 v0, s48, v89
	v_readlane_b32 s16, v253, 51
	v_cmp_le_i32_e32 vcc, s16, v0
	v_readlane_b32 s17, v253, 52
	v_readlane_b32 s18, v253, 53
	v_readlane_b32 s19, v253, 54
	s_and_saveexec_b64 s[4:5], vcc
	s_xor_b64 s[4:5], exec, s[4:5]
	s_cbranch_execz .LBB9_314
; %bb.313:
	v_mad_u32_u24 v0, v89, 44, v34
	v_lshl_add_u32 v0, v0, 2, 0
	v_mov_b32_e32 v1, 0
	ds_write_b32 v0, v1
                                        ; implicit-def: $vgpr0
.LBB9_314:
	s_andn2_saveexec_b64 s[4:5], s[4:5]
	s_cbranch_execz .LBB9_316
; %bb.315:
	v_readlane_b32 s9, v253, 25
	v_mad_u64_u32 v[0:1], s[10:11], v0, s9, v[34:35]
	v_ashrrev_i32_e32 v1, 31, v0
	v_lshlrev_b64 v[0:1], 3, v[0:1]
	v_mov_b32_e32 v2, s7
	v_add_co_u32_e32 v0, vcc, s6, v0
	v_addc_co_u32_e32 v1, vcc, v2, v1, vcc
	global_load_dwordx2 v[0:1], v[0:1], off
	v_mad_u32_u24 v2, v89, 44, v34
	s_waitcnt vmcnt(0)
	v_cvt_f16_f32_e32 v0, v0
	v_cvt_f16_f32_e32 v1, v1
	v_pack_b32_f16 v0, v0, v1
	v_pk_mul_f16 v0, v33, v0
	v_lshl_add_u32 v1, v2, 2, 0
	ds_write_b32 v1, v0
.LBB9_316:
	s_or_b64 exec, exec, s[4:5]
	v_add_u32_e32 v92, 16, v90
	v_add_u32_e32 v0, s48, v92
	v_readlane_b32 s16, v253, 51
	v_cmp_le_i32_e32 vcc, s16, v0
	v_readlane_b32 s17, v253, 52
	v_readlane_b32 s18, v253, 53
	v_readlane_b32 s19, v253, 54
	s_and_saveexec_b64 s[4:5], vcc
	s_xor_b64 s[4:5], exec, s[4:5]
	s_cbranch_execz .LBB9_318
; %bb.317:
	v_mad_u32_u24 v0, v92, 44, v34
	v_lshl_add_u32 v0, v0, 2, 0
	v_mov_b32_e32 v1, 0
	ds_write_b32 v0, v1
                                        ; implicit-def: $vgpr0
.LBB9_318:
	s_andn2_saveexec_b64 s[4:5], s[4:5]
	s_cbranch_execz .LBB9_320
; %bb.319:
	v_readlane_b32 s9, v253, 25
	v_mad_u64_u32 v[0:1], s[10:11], v0, s9, v[34:35]
	v_ashrrev_i32_e32 v1, 31, v0
	v_lshlrev_b64 v[0:1], 3, v[0:1]
	v_mov_b32_e32 v2, s7
	v_add_co_u32_e32 v0, vcc, s6, v0
	v_addc_co_u32_e32 v1, vcc, v2, v1, vcc
	global_load_dwordx2 v[0:1], v[0:1], off
	v_mad_u32_u24 v2, v92, 44, v34
	s_waitcnt vmcnt(0)
	v_cvt_f16_f32_e32 v0, v0
	v_cvt_f16_f32_e32 v1, v1
	v_pack_b32_f16 v0, v0, v1
	v_pk_mul_f16 v0, v33, v0
	v_lshl_add_u32 v1, v2, 2, 0
	ds_write_b32 v1, v0
.LBB9_320:
	;; [unrolled: 38-line block ×7, first 2 shown]
	s_or_b64 exec, exec, s[4:5]
	v_lshrrev_b32_e32 v9, 3, v93
	v_lshl_add_u32 v99, v35, 3, v9
	v_add_u32_e32 v0, s48, v99
	v_readlane_b32 s16, v253, 51
	v_and_b32_e32 v98, 7, v93
	v_cmp_le_i32_e32 vcc, s16, v0
	v_readlane_b32 s17, v253, 52
	v_readlane_b32 s18, v253, 53
	;; [unrolled: 1-line block ×3, first 2 shown]
	s_and_saveexec_b64 s[4:5], vcc
	s_xor_b64 s[4:5], exec, s[4:5]
	s_cbranch_execz .LBB9_342
; %bb.341:
	v_mad_u32_u24 v0, v99, 44, v98
	v_lshl_add_u32 v0, v0, 2, 0
	v_mov_b32_e32 v1, 0
	ds_write_b32 v0, v1 offset:128
                                        ; implicit-def: $vgpr0
.LBB9_342:
	s_andn2_saveexec_b64 s[4:5], s[4:5]
	s_cbranch_execz .LBB9_344
; %bb.343:
	v_readlane_b32 s9, v253, 25
	v_mul_lo_u32 v0, v0, s9
	v_ashrrev_i32_e32 v1, 31, v0
	v_add_co_u32_e32 v0, vcc, v0, v98
	v_addc_co_u32_e32 v1, vcc, 0, v1, vcc
	v_lshlrev_b64 v[0:1], 3, v[0:1]
	v_mov_b32_e32 v2, s7
	v_add_co_u32_e32 v0, vcc, s6, v0
	v_addc_co_u32_e32 v1, vcc, v2, v1, vcc
	global_load_dwordx2 v[0:1], v[0:1], off offset:256
	v_mad_u32_u24 v2, v99, 44, v98
	s_waitcnt vmcnt(0)
	v_cvt_f16_f32_e32 v0, v0
	v_cvt_f16_f32_e32 v1, v1
	v_pack_b32_f16 v0, v0, v1
	v_pk_mul_f16 v0, v33, v0
	v_lshl_add_u32 v1, v2, 2, 0
	ds_write_b32 v1, v0 offset:128
.LBB9_344:
	s_or_b64 exec, exec, s[4:5]
	v_add_u32_e32 v17, 32, v99
	v_add_u32_e32 v0, s48, v17
	v_readlane_b32 s16, v253, 51
	v_cmp_le_i32_e32 vcc, s16, v0
	v_readlane_b32 s17, v253, 52
	v_readlane_b32 s18, v253, 53
	;; [unrolled: 1-line block ×3, first 2 shown]
	s_and_saveexec_b64 s[4:5], vcc
	s_xor_b64 s[4:5], exec, s[4:5]
	s_cbranch_execz .LBB9_346
; %bb.345:
	v_mad_u32_u24 v0, v17, 44, v98
	v_lshl_add_u32 v0, v0, 2, 0
	v_mov_b32_e32 v1, 0
	ds_write_b32 v0, v1 offset:128
                                        ; implicit-def: $vgpr0
                                        ; implicit-def: $vgpr33
.LBB9_346:
	s_andn2_saveexec_b64 s[4:5], s[4:5]
	s_cbranch_execz .LBB9_348
; %bb.347:
	v_readlane_b32 s9, v253, 25
	v_mul_lo_u32 v0, v0, s9
	v_ashrrev_i32_e32 v1, 31, v0
	v_add_co_u32_e32 v0, vcc, v0, v98
	v_addc_co_u32_e32 v1, vcc, 0, v1, vcc
	v_lshlrev_b64 v[0:1], 3, v[0:1]
	v_mov_b32_e32 v2, s7
	v_add_co_u32_e32 v0, vcc, s6, v0
	v_addc_co_u32_e32 v1, vcc, v2, v1, vcc
	global_load_dwordx2 v[0:1], v[0:1], off offset:256
	v_mad_u32_u24 v2, v17, 44, v98
	s_waitcnt vmcnt(0)
	v_cvt_f16_f32_e32 v0, v0
	v_cvt_f16_f32_e32 v1, v1
	v_pack_b32_f16 v0, v0, v1
	v_pk_mul_f16 v0, v33, v0
	v_lshl_add_u32 v1, v2, 2, 0
	ds_write_b32 v1, v0 offset:128
.LBB9_348:
	s_or_b64 exec, exec, s[4:5]
	v_readlane_b32 s6, v253, 21
	v_readlane_b32 s7, v253, 22
	s_mul_i32 s4, s12, s7
	s_mul_hi_u32 s5, s12, s6
	s_add_i32 s4, s5, s4
	s_mul_i32 s5, s14, s6
	v_readlane_b32 s16, v253, 35
	s_add_i32 s4, s4, s5
	s_mul_i32 s5, s12, s6
	v_readlane_b32 s20, v253, 39
	v_readlane_b32 s21, v253, 40
	;; [unrolled: 1-line block ×4, first 2 shown]
	s_add_u32 s5, s20, s5
	s_addc_u32 s4, s21, s4
	v_readlane_b32 s20, v253, 28
	v_readlane_b32 s23, v253, 31
	s_mul_i32 s6, s13, s23
	s_ashr_i32 s7, s6, 31
	v_readlane_b32 s21, v253, 29
	s_add_u32 s9, s5, s6
	s_addc_u32 s33, s4, s7
	s_mul_i32 s4, s12, s21
	s_mul_hi_u32 s5, s12, s20
	s_add_i32 s4, s5, s4
	s_mul_i32 s14, s14, s20
	v_readlane_b32 s6, v253, 26
	v_readlane_b32 s18, v253, 37
	s_add_i32 s4, s4, s14
	s_mul_i32 s12, s12, s20
	v_readlane_b32 s7, v253, 27
	v_readlane_b32 s19, v253, 38
	s_add_u32 s5, s18, s12
	s_mul_i32 s13, s13, s7
	s_addc_u32 s4, s19, s4
	s_ashr_i32 s6, s13, 31
	s_add_u32 s49, s5, s13
	s_addc_u32 s51, s4, s6
	s_movk_i32 s4, 0xb00
	v_and_b32_e32 v100, 15, v93
	v_and_b32_e32 v101, 0x7e, v9
	v_mad_u32_u24 v10, v35, s4, 0
	v_mul_u32_u24_e32 v33, 0xb0, v100
	v_lshlrev_b32_e32 v114, 2, v101
	v_add3_u32 v11, v10, v33, v114
	s_waitcnt lgkmcnt(0)
	s_barrier
	ds_read2_b64 v[4:7], v11 offset1:4
	ds_read2_b64 v[0:3], v11 offset0:8 offset1:12
	ds_read_b64 v[30:31], v11 offset:128
	v_add_u32_e32 v121, -1, v8
	v_cmp_ge_i32_e32 vcc, s68, v121
	v_mul_lo_u32 v28, s50, v99
	v_mul_lo_u32 v36, s8, v17
	v_mul_lo_u32 v38, s8, v99
	s_movk_i32 s10, 0xb0
	s_mov_b32 s56, 0
	s_and_b64 vcc, exec, vcc
	v_mov_b32_e32 v102, 0
	v_lshlrev_b32_e32 v120, 1, v93
	v_lshrrev_b32_e32 v118, 1, v93
	v_ashrrev_i32_e32 v29, 31, v28
	v_lshl_add_u32 v26, s50, 5, v28
	v_lshrrev_b32_e32 v111, 2, v93
	v_lshl_or_b32 v113, v35, 4, v100
	v_lshl_or_b32 v112, v9, 2, 4
	v_ashrrev_i32_e32 v37, 31, v36
	v_ashrrev_i32_e32 v39, 31, v38
	v_lshlrev_b32_e32 v109, 1, v100
	v_readlane_b32 s17, v253, 36
	v_readlane_b32 s24, v253, 43
	;; [unrolled: 1-line block ×10, first 2 shown]
	s_waitcnt lgkmcnt(0)
	s_barrier
	s_cbranch_vccnz .LBB9_368
; %bb.349:
	v_add_u32_e32 v16, s48, v35
	v_readlane_b32 s14, v253, 15
	v_add_u32_e32 v27, 32, v16
	v_mul_hi_u32 v32, s14, v27
	v_readlane_b32 s15, v253, 16
	v_add_u32_e32 v32, v27, v32
	v_readlane_b32 s16, v253, 51
	v_lshrrev_b32_e32 v32, s15, v32
	v_readlane_b32 s18, v253, 53
	v_readlane_b32 s19, v253, 54
	v_mul_lo_u32 v32, v32, s16
	v_readlane_b32 s18, v253, 61
	v_sub_u32_e32 v27, v27, v32
	v_mad_i64_i32 v[60:61], s[12:13], v27, s18, 0
	v_add_u32_e32 v27, 36, v16
	v_mul_hi_u32 v32, s14, v27
	v_add_u32_e32 v32, v27, v32
	v_lshrrev_b32_e32 v32, s15, v32
	v_mul_lo_u32 v32, v32, s16
	v_sub_u32_e32 v27, v27, v32
	v_mad_i64_i32 v[62:63], s[12:13], v27, s18, 0
	v_add_u32_e32 v27, 40, v16
	v_mul_hi_u32 v32, s14, v27
	v_add_u32_e32 v32, v27, v32
	v_lshrrev_b32_e32 v32, s15, v32
	v_mul_lo_u32 v32, v32, s16
	;; [unrolled: 7-line block ×5, first 2 shown]
	v_sub_u32_e32 v27, v27, v32
	v_mov_b32_e32 v8, s45
	v_add_co_u32_e32 v123, vcc, s44, v120
	v_mad_i64_i32 v[70:71], s[12:13], v27, s18, 0
	v_add_u32_e32 v27, 56, v16
	v_addc_co_u32_e32 v124, vcc, 0, v8, vcc
	v_mul_hi_u32 v8, s14, v16
	v_mul_hi_u32 v32, s14, v27
	v_add_u32_e32 v8, v16, v8
	v_add_u32_e32 v32, v27, v32
	v_lshrrev_b32_e32 v8, s15, v8
	v_lshrrev_b32_e32 v32, s15, v32
	v_mul_lo_u32 v8, v8, s16
	v_mul_i32_i24_e32 v11, 0xfffff590, v35
	v_mul_lo_u32 v32, v32, s16
	v_sub_u32_e32 v8, v16, v8
	v_add3_u32 v125, v10, v11, v120
	v_add_u32_e32 v10, 4, v16
	v_add_u32_e32 v12, 8, v16
	;; [unrolled: 1-line block ×7, first 2 shown]
	v_sub_u32_e32 v27, v27, v32
	v_add_u32_e32 v16, 60, v16
	v_mul_hi_u32 v11, s14, v10
	v_mul_hi_u32 v13, s14, v12
	;; [unrolled: 1-line block ×7, first 2 shown]
	v_mad_i64_i32 v[72:73], s[12:13], v27, s18, 0
	v_mul_hi_u32 v27, s14, v16
	s_movk_i32 s14, 0x90
	v_and_b32_e32 v43, 0xfc, v111
	v_mad_u32_u24 v44, v113, s14, 0
	v_lshl_add_u32 v145, v43, 1, v44
	v_add_u32_e32 v146, v44, v112
	v_mul_u32_u24_e32 v44, 0x58, v43
	s_cmp_lg_u64 s[44:45], 0
	v_add_u32_e32 v27, v16, v27
	v_or_b32_e32 v44, v44, v100
	s_cselect_b64 s[46:47], -1, 0
	v_lshrrev_b32_e32 v27, s15, v27
	v_lshlrev_b32_e32 v44, 1, v44
	s_add_i32 s40, 0, 0xb00
	v_mul_lo_u32 v27, v27, s16
	v_add_u32_e32 v150, s40, v44
	s_add_i32 s40, 0, 0x1600
	v_sub_u32_e32 v16, v16, v27
	v_add_u32_e32 v151, s40, v44
	s_add_i32 s40, 0, 0x2100
	v_mad_i64_i32 v[74:75], s[12:13], v16, s18, 0
	v_mbcnt_hi_u32_b32 v16, -1, v106
	v_add_u32_e32 v152, s40, v44
	s_add_i32 s40, 0, 0xb20
	v_and_b32_e32 v27, 64, v16
	v_add_u32_e32 v154, s40, v44
	s_add_i32 s40, 0, 0x1620
	v_add_u32_e32 v27, 64, v27
	v_xor_b32_e32 v32, 32, v16
	v_add_u32_e32 v155, s40, v44
	s_add_i32 s40, 0, 0x2120
	v_cmp_lt_i32_e32 vcc, v32, v27
	v_add_u32_e32 v156, s40, v44
	s_add_i32 s40, 0, 0xb40
	v_cndmask_b32_e32 v32, v16, v32, vcc
	v_add_u32_e32 v158, s40, v44
	s_add_i32 s40, 0, 0x1640
	v_lshlrev_b32_e32 v141, 2, v32
	v_xor_b32_e32 v32, 16, v16
	v_add_u32_e32 v159, s40, v44
	s_add_i32 s40, 0, 0x2140
	v_cmp_lt_i32_e32 vcc, v32, v27
	v_add_u32_e32 v160, s40, v44
	s_add_i32 s40, 0, 0x60
	v_cndmask_b32_e32 v16, v16, v32, vcc
	v_add_u32_e32 v161, s40, v44
	s_add_i32 s40, 0, 0xb60
	v_lshlrev_b32_e32 v142, 2, v16
	v_lshl_add_u32 v16, v35, 5, v118
	v_add_u32_e32 v162, s40, v44
	s_add_i32 s40, 0, 0x1660
	v_add_u32_e32 v11, v10, v11
	v_add_u32_e32 v13, v12, v13
	;; [unrolled: 1-line block ×7, first 2 shown]
	v_cmp_gt_u32_e64 s[42:43], 64, v16
	v_mad_u32_u24 v27, v16, s10, 0
	v_mul_lo_u32 v76, s50, v16
	v_lshlrev_b32_e32 v41, 2, v93
	v_mul_lo_u32 v82, s8, v16
	v_or_b32_e32 v16, 3, v111
	v_add_u32_e32 v163, s40, v44
	s_add_i32 s40, 0, 0x2160
	v_lshrrev_b32_e32 v11, s15, v11
	v_lshrrev_b32_e32 v13, s15, v13
	;; [unrolled: 1-line block ×7, first 2 shown]
	v_and_b32_e32 v32, 4, v41
	v_mul_u32_u24_e32 v16, 0xb0, v16
	v_add_u32_e32 v164, s40, v44
	s_add_i32 s40, 0, 0x80
	v_mul_lo_u32 v11, v11, s16
	v_mul_lo_u32 v13, v13, s16
	v_mul_lo_u32 v15, v15, s16
	v_mul_lo_u32 v19, v19, s16
	v_mul_lo_u32 v21, v21, s16
	v_mul_lo_u32 v23, v23, s16
	v_mul_lo_u32 v25, v25, s16
	v_lshlrev_b32_e32 v42, 2, v32
	s_movk_i32 s24, 0x80
	v_add3_u32 v149, 0, v16, v109
	v_add_u32_e32 v165, s40, v44
	s_add_i32 s40, 0, 0xb80
	v_and_b32_e32 v16, 28, v41
	v_readlane_b32 s19, v253, 62
	v_sub_u32_e32 v10, v10, v11
	v_sub_u32_e32 v12, v12, v13
	;; [unrolled: 1-line block ×7, first 2 shown]
	v_add3_u32 v143, v27, v42, s24
	v_mul_u32_u24_e32 v42, 0xb0, v99
	v_add_u32_e32 v166, s40, v44
	s_add_i32 s40, 0, 0x1680
	v_lshlrev_b32_e32 v41, 2, v16
	v_readlane_b32 s17, v253, 52
	v_mad_i64_i32 v[8:9], s[12:13], v8, s18, 0
	v_mad_i64_i32 v[10:11], s[12:13], v10, s18, 0
	;; [unrolled: 1-line block ×8, first 2 shown]
	s_mov_b64 s[52:53], src_private_base
	v_ashrrev_i32_e32 v77, 31, v76
	v_ashrrev_i32_e32 v27, 31, v26
	v_add_u32_e32 v84, 32, v145
	v_add_u32_e32 v85, 64, v145
	;; [unrolled: 1-line block ×3, first 2 shown]
	s_movk_i32 s14, 0x100
	s_movk_i32 s16, 0xc0
	v_cmp_gt_u32_e64 s[18:19], 47, v43
	v_cmp_gt_u32_e64 s[20:21], 46, v43
	;; [unrolled: 1-line block ×9, first 2 shown]
	v_ashrrev_i32_e32 v83, 31, v82
	v_mul_u32_u24_e32 v43, 0xb0, v43
	v_add_u32_e32 v167, s40, v44
	s_add_i32 s40, 0, 0x2180
	v_add3_u32 v169, 0, v42, v41
	v_cmp_gt_u32_e64 s[4:5], 64, v93
	v_cmp_lt_u32_e64 s[6:7], 63, v93
	v_mov_b32_e32 v122, 0
	v_add_u32_e32 v126, 0x240, v125
	v_add_u32_e32 v127, 0x480, v125
	;; [unrolled: 1-line block ×15, first 2 shown]
	s_mov_b32 s52, 0
	v_cmp_gt_u32_e64 s[10:11], 64, v99
	v_cmp_gt_u32_e64 s[12:13], 32, v99
	v_add3_u32 v144, 0, v33, v114
	v_cmp_gt_u32_e64 s[14:15], s14, v93
	v_cmp_gt_u32_e64 s[16:17], s16, v93
	v_cmp_gt_u32_e64 s[24:25], s24, v93
	v_add_u32_e32 v147, 0, v44
	v_add3_u32 v148, 0, v43, v109
	v_add3_u32 v153, 0, 32, v44
	;; [unrolled: 1-line block ×3, first 2 shown]
	v_add_u32_e32 v168, s40, v44
	v_add_u32_e32 v170, 0x1600, v169
	v_mov_b32_e32 v42, v40
	v_mov_b32_e32 v43, v40
	s_lshl_b32 s54, s68, 6
	v_mov_b32_e32 v119, 0xfeffffff
	v_lshlrev_b64 v[44:45], 1, v[8:9]
	v_lshlrev_b64 v[46:47], 1, v[10:11]
	;; [unrolled: 1-line block ×18, first 2 shown]
	v_lshlrev_b32_e32 v171, 2, v16
	v_lshlrev_b64 v[80:81], 2, v[26:27]
	v_add_u32_e32 v27, 0x2c00, v84
	v_add_u32_e32 v172, 0x2c00, v85
	;; [unrolled: 1-line block ×3, first 2 shown]
	v_lshlrev_b64 v[82:83], 2, v[82:83]
	s_mov_b32 s57, 0x3fb8aa3b
	s_mov_b32 s58, 0xc2ce8ed0
	;; [unrolled: 1-line block ×4, first 2 shown]
	v_lshlrev_b64 v[84:85], 2, v[38:39]
	v_lshlrev_b64 v[86:87], 2, v[36:37]
	s_mov_b32 s63, 0x5040100
	v_mov_b32_e32 v174, 0x7f800000
	v_mov_b32_e32 v175, 0
	;; [unrolled: 1-line block ×12, first 2 shown]
.LBB9_350:                              ; =>This Inner Loop Header: Depth=1
	s_nop 0
	v_cndmask_b32_e64 v8, 0, 1, s[46:47]
	v_cmp_ne_u32_e64 s[40:41], 1, v8
	s_andn2_b64 vcc, exec, s[46:47]
	s_ashr_i32 s55, s54, 31
	s_cbranch_vccnz .LBB9_360
; %bb.351:                              ;   in Loop: Header=BB9_350 Depth=1
                                        ; implicit-def: $sgpr64
	s_and_saveexec_b64 s[60:61], s[6:7]
	s_xor_b64 s[60:61], exec, s[60:61]
	s_cbranch_execz .LBB9_353
; %bb.352:                              ;   in Loop: Header=BB9_350 Depth=1
	ds_write_b16 v125, v122 offset:11264
	ds_write_b16 v126, v122 offset:11264
	;; [unrolled: 1-line block ×4, first 2 shown]
	s_mov_b32 s64, 0
.LBB9_353:                              ;   in Loop: Header=BB9_350 Depth=1
	s_or_saveexec_b64 s[60:61], s[60:61]
	s_lshl_b64 s[66:67], s[54:55], 1
	v_mov_b32_e32 v9, s67
	v_add_co_u32_e32 v8, vcc, s66, v123
	v_addc_co_u32_e32 v9, vcc, v124, v9, vcc
	v_mov_b32_e32 v10, s64
	v_mov_b32_e32 v11, s64
	;; [unrolled: 1-line block ×4, first 2 shown]
	s_xor_b64 exec, exec, s[60:61]
	s_cbranch_execz .LBB9_355
; %bb.354:                              ;   in Loop: Header=BB9_350 Depth=1
	v_add_co_u32_e32 v10, vcc, v8, v44
	v_addc_co_u32_e32 v11, vcc, v9, v45, vcc
	v_add_co_u32_e32 v12, vcc, v8, v46
	v_addc_co_u32_e32 v13, vcc, v9, v47, vcc
	;; [unrolled: 2-line block ×3, first 2 shown]
	flat_load_ushort v16, v[10:11]
	flat_load_ushort v22, v[12:13]
	;; [unrolled: 1-line block ×3, first 2 shown]
	v_add_co_u32_e32 v10, vcc, v8, v50
	v_addc_co_u32_e32 v11, vcc, v9, v51, vcc
	v_add_co_u32_e32 v12, vcc, v8, v52
	v_addc_co_u32_e32 v13, vcc, v9, v53, vcc
	;; [unrolled: 2-line block ×4, first 2 shown]
	v_add_co_u32_e32 v20, vcc, v8, v58
	flat_load_ushort v24, v[10:11]
	v_addc_co_u32_e32 v21, vcc, v9, v59, vcc
	s_waitcnt vmcnt(0) lgkmcnt(0)
	ds_write_b16 v125, v16 offset:11264
	ds_write_b16 v126, v22 offset:11264
	;; [unrolled: 1-line block ×3, first 2 shown]
	flat_load_ushort v10, v[12:13]
	flat_load_ushort v11, v[14:15]
	s_nop 0
	flat_load_ushort v12, v[18:19]
	flat_load_ushort v13, v[20:21]
	ds_write_b16 v128, v24 offset:11264
.LBB9_355:                              ;   in Loop: Header=BB9_350 Depth=1
	s_or_b64 exec, exec, s[60:61]
	s_waitcnt vmcnt(0) lgkmcnt(0)
	ds_write_b16 v129, v10 offset:11264
	ds_write_b16 v130, v11 offset:11264
	;; [unrolled: 1-line block ×4, first 2 shown]
                                        ; implicit-def: $sgpr55
	s_and_saveexec_b64 s[60:61], s[6:7]
	s_xor_b64 s[60:61], exec, s[60:61]
	s_cbranch_execz .LBB9_357
; %bb.356:                              ;   in Loop: Header=BB9_350 Depth=1
	ds_write_b16 v133, v122 offset:11264
	ds_write_b16 v134, v122 offset:11264
	;; [unrolled: 1-line block ×4, first 2 shown]
	s_mov_b32 s55, 0
                                        ; implicit-def: $vgpr8
                                        ; implicit-def: $vgpr9
.LBB9_357:                              ;   in Loop: Header=BB9_350 Depth=1
	s_or_saveexec_b64 s[60:61], s[60:61]
	v_mov_b32_e32 v10, s55
	v_mov_b32_e32 v11, s55
	;; [unrolled: 1-line block ×4, first 2 shown]
	s_xor_b64 exec, exec, s[60:61]
	s_cbranch_execz .LBB9_359
; %bb.358:                              ;   in Loop: Header=BB9_350 Depth=1
	v_add_co_u32_e32 v10, vcc, v8, v60
	v_addc_co_u32_e32 v11, vcc, v9, v61, vcc
	v_add_co_u32_e32 v12, vcc, v8, v62
	v_addc_co_u32_e32 v13, vcc, v9, v63, vcc
	;; [unrolled: 2-line block ×8, first 2 shown]
	flat_load_ushort v16, v[10:11]
	flat_load_ushort v41, v[12:13]
	s_nop 0
	flat_load_ushort v14, v[14:15]
	s_nop 0
	flat_load_ushort v15, v[18:19]
	flat_load_ushort v10, v[20:21]
	;; [unrolled: 1-line block ×5, first 2 shown]
	s_waitcnt vmcnt(0) lgkmcnt(0)
	ds_write_b16 v133, v16 offset:11264
	ds_write_b16 v134, v41 offset:11264
	;; [unrolled: 1-line block ×4, first 2 shown]
.LBB9_359:                              ;   in Loop: Header=BB9_350 Depth=1
	s_or_b64 exec, exec, s[60:61]
	ds_write_b16 v137, v10 offset:11264
	ds_write_b16 v138, v11 offset:11264
	;; [unrolled: 1-line block ×4, first 2 shown]
.LBB9_360:                              ;   in Loop: Header=BB9_350 Depth=1
	s_mul_hi_i32 s61, s54, s50
	s_mul_i32 s60, s54, s50
	s_lshl_b64 s[60:61], s[60:61], 2
	s_add_u32 s55, s49, s60
	s_addc_u32 s64, s51, s61
	buffer_store_dword v122, off, s[0:3], 0
	buffer_store_dword v122, off, s[0:3], 0 offset:4
	buffer_store_dword v122, off, s[0:3], 0 offset:8
	;; [unrolled: 1-line block ×3, first 2 shown]
	s_and_saveexec_b64 s[60:61], s[42:43]
	s_cbranch_execz .LBB9_362
; %bb.361:                              ;   in Loop: Header=BB9_350 Depth=1
	v_mov_b32_e32 v8, s64
	v_add_co_u32_e32 v9, vcc, s55, v76
	v_addc_co_u32_e32 v10, vcc, v8, v77, vcc
	v_lshlrev_b32_e32 v8, 2, v32
	v_add_co_u32_e32 v8, vcc, v9, v8
	v_addc_co_u32_e32 v9, vcc, 0, v10, vcc
	global_load_dwordx4 v[8:11], v[8:9], off offset:128
	s_waitcnt vmcnt(0)
	ds_write_b128 v143, v[8:11]
.LBB9_362:                              ;   in Loop: Header=BB9_350 Depth=1
	s_or_b64 exec, exec, s[60:61]
	v_mov_b32_e32 v8, s64
	v_add_co_u32_e32 v9, vcc, s55, v78
	v_addc_co_u32_e32 v8, vcc, v8, v79, vcc
	v_add_co_u32_e32 v10, vcc, v9, v171
	v_addc_co_u32_e32 v8, vcc, 0, v8, vcc
	v_mov_b32_e32 v13, s53
	v_mov_b32_e32 v12, s52
	v_cndmask_b32_e64 v9, v13, v8, s[10:11]
	v_cndmask_b32_e64 v8, v12, v10, s[10:11]
	flat_load_dwordx4 v[8:11], v[8:9]
	v_mov_b32_e32 v14, s64
	v_add_co_u32_e32 v15, vcc, s55, v80
	v_addc_co_u32_e32 v14, vcc, v14, v81, vcc
	v_add_co_u32_e32 v15, vcc, v15, v171
	v_addc_co_u32_e32 v14, vcc, 0, v14, vcc
	v_cndmask_b32_e64 v12, v12, v15, s[12:13]
	v_cndmask_b32_e64 v13, v13, v14, s[12:13]
	v_add_u32_e32 v16, 0x800, v144
	v_add_u32_e32 v41, 0x1000, v144
	;; [unrolled: 1-line block ×3, first 2 shown]
	s_and_b64 vcc, exec, s[40:41]
	s_waitcnt vmcnt(0) lgkmcnt(0)
	ds_write_b128 v169, v[8:11]
	flat_load_dwordx4 v[8:11], v[12:13]
	s_waitcnt vmcnt(0) lgkmcnt(0)
	ds_write_b128 v170, v[8:11]
	s_waitcnt lgkmcnt(0)
	s_barrier
	ds_read2_b64 v[8:11], v144 offset1:4
	ds_read2_b64 v[18:21], v16 offset0:96 offset1:100
	ds_read2_b64 v[176:179], v41 offset0:192 offset1:196
	;; [unrolled: 1-line block ×3, first 2 shown]
	s_waitcnt lgkmcnt(3)
	v_mfma_f32_16x16x16f16 v[12:15], v[8:9], v[4:5], 0
	s_waitcnt lgkmcnt(2)
	v_mfma_f32_16x16x16f16 v[22:25], v[18:19], v[4:5], 0
	;; [unrolled: 2-line block ×4, first 2 shown]
	v_mfma_f32_16x16x16f16 v[8:11], v[10:11], v[6:7], v[12:15]
	v_mfma_f32_16x16x16f16 v[12:15], v[20:21], v[6:7], v[22:25]
	;; [unrolled: 1-line block ×3, first 2 shown]
	ds_read2_b64 v[176:179], v144 offset0:8 offset1:12
	v_mfma_f32_16x16x16f16 v[22:25], v[186:187], v[6:7], v[188:191]
	s_nop 4
	ds_read2_b64 v[180:183], v16 offset0:104 offset1:108
	ds_read2_b64 v[184:187], v41 offset0:200 offset1:204
	;; [unrolled: 1-line block ×3, first 2 shown]
	s_waitcnt lgkmcnt(3)
	v_mfma_f32_16x16x16f16 v[8:11], v[176:177], v[0:1], v[8:11]
	s_waitcnt lgkmcnt(2)
	v_mfma_f32_16x16x16f16 v[12:15], v[180:181], v[0:1], v[12:15]
	;; [unrolled: 2-line block ×4, first 2 shown]
	v_mfma_f32_16x16x16f16 v[8:11], v[178:179], v[2:3], v[8:11]
	v_mfma_f32_16x16x16f16 v[12:15], v[182:183], v[2:3], v[12:15]
	;; [unrolled: 1-line block ×3, first 2 shown]
	s_nop 6
	ds_read_b64 v[18:19], v144 offset:128
	ds_read_b64 v[20:21], v144 offset:2944
	ds_read_b64 v[184:185], v144 offset:5760
	ds_read_b64 v[186:187], v144 offset:8576
	s_waitcnt lgkmcnt(0)
	s_barrier
	v_mfma_f32_16x16x16f16 v[180:183], v[190:191], v[2:3], v[22:25]
	v_mfma_f32_16x16x16f16 v[22:25], v[18:19], v[30:31], v[8:11]
	;; [unrolled: 1-line block ×5, first 2 shown]
	s_cbranch_vccnz .LBB9_364
; %bb.363:                              ;   in Loop: Header=BB9_350 Depth=1
	ds_read_b32 v16, v145 offset:11264
	ds_read_b32 v41, v146 offset:11264
	s_nop 2
	ds_read2_b32 v[176:177], v27 offset1:1
	ds_read2_b32 v[178:179], v172 offset1:1
	s_waitcnt lgkmcnt(3)
	v_cvt_f32_f16_sdwa v181, v16 dst_sel:DWORD dst_unused:UNUSED_PAD src0_sel:WORD_1
	v_cvt_f32_f16_e32 v180, v16
	s_waitcnt lgkmcnt(1)
	v_cvt_f32_f16_e32 v184, v176
	v_cvt_f32_f16_e32 v186, v177
	v_cvt_f32_f16_sdwa v187, v177 dst_sel:DWORD dst_unused:UNUSED_PAD src0_sel:WORD_1
	v_cvt_f32_f16_sdwa v185, v176 dst_sel:DWORD dst_unused:UNUSED_PAD src0_sel:WORD_1
	ds_read2_b32 v[176:177], v173 offset1:1
	v_cvt_f32_f16_sdwa v183, v41 dst_sel:DWORD dst_unused:UNUSED_PAD src0_sel:WORD_1
	v_cvt_f32_f16_e32 v182, v41
	v_mov_b32_e32 v41, v40
	v_pk_fma_f32 v[22:23], v[42:43], v[180:181], v[22:23]
	v_pk_fma_f32 v[18:19], v[42:43], v[184:185], v[18:19]
	;; [unrolled: 1-line block ×3, first 2 shown]
	s_waitcnt lgkmcnt(1)
	v_cvt_f32_f16_e32 v180, v178
	v_cvt_f32_f16_sdwa v181, v178 dst_sel:DWORD dst_unused:UNUSED_PAD src0_sel:WORD_1
	v_cvt_f32_f16_e32 v178, v179
	v_cvt_f32_f16_sdwa v179, v179 dst_sel:DWORD dst_unused:UNUSED_PAD src0_sel:WORD_1
	s_waitcnt lgkmcnt(0)
	v_cvt_f32_f16_e32 v182, v176
	v_cvt_f32_f16_e32 v184, v177
	v_cvt_f32_f16_sdwa v185, v177 dst_sel:DWORD dst_unused:UNUSED_PAD src0_sel:WORD_1
	v_cvt_f32_f16_sdwa v183, v176 dst_sel:DWORD dst_unused:UNUSED_PAD src0_sel:WORD_1
	v_pk_fma_f32 v[20:21], v[40:41], v[186:187], v[20:21]
	v_pk_fma_f32 v[14:15], v[40:41], v[178:179], v[14:15]
	;; [unrolled: 1-line block ×5, first 2 shown]
.LBB9_364:                              ;   in Loop: Header=BB9_350 Depth=1
	s_nop 6
	v_add_f32_e32 v16, 0x40051340, v22
	v_max_f32_e32 v41, v119, v119
	v_max_f32_e32 v16, v41, v16
	v_cndmask_b32_e64 v16, v119, v16, s[14:15]
	v_add_f32_e32 v41, 0x40051340, v23
	v_max_f32_e32 v16, v16, v16
	v_max_f32_e32 v16, v16, v41
	v_cndmask_b32_e64 v16, v119, v16, s[14:15]
	;; [unrolled: 4-line block ×16, first 2 shown]
	ds_bpermute_b32 v41, v141, v16
	v_max_f32_e32 v16, v16, v16
	s_mul_hi_i32 s41, s54, s8
	s_mul_i32 s40, s54, s8
	s_lshl_b64 s[40:41], s[40:41], 2
	s_waitcnt lgkmcnt(0)
	v_max_f32_e32 v41, v41, v41
	v_max_f32_e32 v16, v16, v41
	ds_bpermute_b32 v41, v142, v16
	s_add_u32 s55, s9, s40
	s_addc_u32 s60, s33, s41
	buffer_store_dword v122, off, s[0:3], 0
	buffer_store_dword v122, off, s[0:3], 0 offset:4
	buffer_store_dword v122, off, s[0:3], 0 offset:8
	;; [unrolled: 1-line block ×3, first 2 shown]
	s_and_saveexec_b64 s[40:41], s[42:43]
	s_cbranch_execz .LBB9_366
; %bb.365:                              ;   in Loop: Header=BB9_350 Depth=1
	v_mov_b32_e32 v176, s60
	v_add_co_u32_e32 v177, vcc, s55, v82
	v_addc_co_u32_e32 v178, vcc, v176, v83, vcc
	v_lshlrev_b32_e32 v176, 2, v32
	v_add_co_u32_e32 v176, vcc, v177, v176
	v_addc_co_u32_e32 v177, vcc, 0, v178, vcc
	global_load_dwordx4 v[176:179], v[176:177], off offset:128
	s_waitcnt vmcnt(0)
	ds_write_b128 v143, v[176:179]
.LBB9_366:                              ;   in Loop: Header=BB9_350 Depth=1
	s_or_b64 exec, exec, s[40:41]
	s_waitcnt lgkmcnt(0)
	v_max_f32_e32 v41, v41, v41
	v_max_f32_e32 v16, v16, v16
	;; [unrolled: 1-line block ×3, first 2 shown]
	v_sub_f32_e32 v16, v22, v41
	v_mul_f32_e32 v22, 0x3fb8aa3b, v16
	v_fma_f32 v176, v16, s57, -v22
	v_rndne_f32_e32 v177, v22
	v_fmac_f32_e32 v176, 0x32a5705f, v16
	v_sub_f32_e32 v22, v22, v177
	v_add_f32_e32 v22, v22, v176
	v_exp_f32_e32 v22, v22
	v_cvt_i32_f32_e32 v176, v177
	v_sub_f32_e32 v23, v23, v41
	v_cmp_ngt_f32_e32 vcc, s58, v16
	v_cndmask_b32_e64 v25, v25, v25, s[14:15]
	v_ldexp_f32 v22, v22, v176
	v_mul_f32_e32 v176, 0x3fb8aa3b, v23
	v_fma_f32 v177, v23, s57, -v176
	v_rndne_f32_e32 v178, v176
	v_fmac_f32_e32 v177, 0x32a5705f, v23
	v_sub_f32_e32 v176, v176, v178
	v_add_f32_e32 v176, v176, v177
	v_exp_f32_e32 v176, v176
	v_cvt_i32_f32_e32 v177, v178
	v_cndmask_b32_e32 v22, 0, v22, vcc
	v_cmp_nlt_f32_e32 vcc, s59, v16
	v_cndmask_b32_e32 v22, v174, v22, vcc
	v_ldexp_f32 v176, v176, v177
	v_cmp_ngt_f32_e32 vcc, s58, v23
	v_cndmask_b32_e32 v176, 0, v176, vcc
	v_cmp_nlt_f32_e32 vcc, s59, v23
	v_cndmask_b32_e64 v23, v24, v24, s[14:15]
	v_sub_f32_e32 v24, v23, v41
	v_mul_f32_e32 v23, 0x3fb8aa3b, v24
	v_fma_f32 v177, v24, s57, -v23
	v_rndne_f32_e32 v178, v23
	v_fmac_f32_e32 v177, 0x32a5705f, v24
	v_sub_f32_e32 v23, v23, v178
	v_add_f32_e32 v23, v23, v177
	v_exp_f32_e32 v179, v23
	v_cvt_i32_f32_e32 v178, v178
	v_cndmask_b32_e32 v176, v174, v176, vcc
	v_mov_b32_e32 v23, s56
	v_cndmask_b32_e64 v177, v23, v176, s[14:15]
	v_ldexp_f32 v23, v179, v178
	v_cmp_ngt_f32_e32 vcc, s58, v24
	v_cndmask_b32_e32 v23, 0, v23, vcc
	v_cmp_nlt_f32_e32 vcc, s59, v24
	v_sub_f32_e32 v24, v25, v41
	v_mul_f32_e32 v25, 0x3fb8aa3b, v24
	v_cndmask_b32_e64 v16, 0, v22, s[14:15]
	v_add_f32_e32 v22, v22, v176
	v_fma_f32 v176, v24, s57, -v25
	v_rndne_f32_e32 v178, v25
	v_fmac_f32_e32 v176, 0x32a5705f, v24
	v_sub_f32_e32 v25, v25, v178
	v_add_f32_e32 v25, v25, v176
	v_exp_f32_e32 v25, v25
	v_cvt_i32_f32_e32 v176, v178
	v_cndmask_b32_e32 v23, v174, v23, vcc
	v_add_f32_e32 v178, v22, v23
	v_mov_b32_e32 v22, s56
	v_sub_f32_e32 v18, v18, v41
	v_cndmask_b32_e64 v179, v22, v23, s[14:15]
	v_mul_f32_e32 v23, 0x3fb8aa3b, v18
	v_ldexp_f32 v22, v25, v176
	v_fma_f32 v25, v18, s57, -v23
	v_rndne_f32_e32 v176, v23
	v_fmac_f32_e32 v25, 0x32a5705f, v18
	v_sub_f32_e32 v23, v23, v176
	v_add_f32_e32 v23, v23, v25
	v_exp_f32_e32 v23, v23
	v_cvt_i32_f32_e32 v25, v176
	v_cmp_ngt_f32_e32 vcc, s58, v24
	v_cndmask_b32_e64 v19, v19, v19, s[16:17]
	v_cndmask_b32_e32 v22, 0, v22, vcc
	v_cmp_nlt_f32_e32 vcc, s59, v24
	v_sub_f32_e32 v19, v19, v41
	v_cndmask_b32_e32 v184, v174, v22, vcc
	v_ldexp_f32 v23, v23, v25
	v_mul_f32_e32 v25, 0x3fb8aa3b, v19
	v_add_f32_e32 v22, v178, v184
	v_fma_f32 v176, v19, s57, -v25
	v_rndne_f32_e32 v178, v25
	v_fmac_f32_e32 v176, 0x32a5705f, v19
	v_sub_f32_e32 v25, v25, v178
	v_add_f32_e32 v25, v25, v176
	v_cmp_ngt_f32_e32 vcc, s58, v18
	v_exp_f32_e32 v25, v25
	v_cvt_i32_f32_e32 v176, v178
	v_cndmask_b32_e32 v23, 0, v23, vcc
	v_cmp_nlt_f32_e32 vcc, s59, v18
	v_cndmask_b32_e64 v22, 0, v22, s[14:15]
	v_cndmask_b32_e32 v23, v174, v23, vcc
	v_add_f32_e32 v24, v23, v22
	v_mov_b32_e32 v18, s56
	v_cndmask_b32_e64 v20, v20, v20, s[16:17]
	v_cndmask_b32_e64 v185, v18, v23, s[16:17]
	;; [unrolled: 1-line block ×3, first 2 shown]
	v_ldexp_f32 v22, v25, v176
	v_cmp_ngt_f32_e32 vcc, s58, v19
	v_sub_f32_e32 v20, v20, v41
	v_cndmask_b32_e32 v22, 0, v22, vcc
	v_cmp_nlt_f32_e32 vcc, s59, v19
	v_mul_f32_e32 v19, 0x3fb8aa3b, v20
	v_fma_f32 v24, v20, s57, -v19
	v_rndne_f32_e32 v25, v19
	v_fmac_f32_e32 v24, 0x32a5705f, v20
	v_sub_f32_e32 v19, v19, v25
	v_add_f32_e32 v19, v19, v24
	v_exp_f32_e32 v24, v19
	v_cvt_i32_f32_e32 v25, v25
	v_cndmask_b32_e32 v22, v174, v22, vcc
	v_add_f32_e32 v23, v22, v18
	v_mov_b32_e32 v19, s56
	v_cndmask_b32_e64 v21, v21, v21, s[16:17]
	v_cndmask_b32_e64 v186, v19, v22, s[18:19]
	;; [unrolled: 1-line block ×3, first 2 shown]
	v_ldexp_f32 v18, v24, v25
	v_cmp_ngt_f32_e32 vcc, s58, v20
	v_cndmask_b32_e32 v18, 0, v18, vcc
	v_cmp_nlt_f32_e32 vcc, s59, v20
	v_sub_f32_e32 v21, v21, v41
	v_cndmask_b32_e32 v20, v174, v18, vcc
	v_mul_f32_e32 v18, 0x3fb8aa3b, v21
	v_fma_f32 v23, v21, s57, -v18
	v_rndne_f32_e32 v24, v18
	v_fmac_f32_e32 v23, 0x32a5705f, v21
	v_sub_f32_e32 v18, v18, v24
	v_add_f32_e32 v18, v18, v23
	v_exp_f32_e32 v23, v18
	v_cvt_i32_f32_e32 v24, v24
	v_mov_b32_e32 v18, s56
	v_sub_f32_e32 v12, v12, v41
	v_add_f32_e32 v22, v20, v19
	v_cndmask_b32_e64 v187, v18, v20, s[20:21]
	v_mul_f32_e32 v20, 0x3fb8aa3b, v12
	v_cndmask_b32_e64 v18, v19, v22, s[20:21]
	v_ldexp_f32 v19, v23, v24
	v_fma_f32 v22, v12, s57, -v20
	v_rndne_f32_e32 v23, v20
	v_fmac_f32_e32 v22, 0x32a5705f, v12
	v_sub_f32_e32 v20, v20, v23
	v_add_f32_e32 v20, v20, v22
	v_exp_f32_e32 v20, v20
	v_cvt_i32_f32_e32 v22, v23
	v_cmp_ngt_f32_e32 vcc, s58, v21
	v_cndmask_b32_e32 v19, 0, v19, vcc
	v_cmp_nlt_f32_e32 vcc, s59, v21
	v_cndmask_b32_e32 v178, v174, v19, vcc
	v_ldexp_f32 v20, v20, v22
	v_cmp_ngt_f32_e32 vcc, s58, v12
	v_cndmask_b32_e32 v22, 0, v20, vcc
	v_mov_b32_e32 v20, s60
	v_add_co_u32_e32 v21, vcc, s55, v84
	v_addc_co_u32_e32 v20, vcc, v20, v85, vcc
	v_add_co_u32_e32 v23, vcc, v21, v171
	v_addc_co_u32_e32 v20, vcc, 0, v20, vcc
	v_mov_b32_e32 v24, s53
	v_mov_b32_e32 v25, s52
	v_cndmask_b32_e64 v21, v24, v20, s[10:11]
	v_cndmask_b32_e64 v20, v25, v23, s[10:11]
	flat_load_dwordx4 v[180:183], v[20:21]
	v_cndmask_b32_e64 v13, v13, v13, s[24:25]
	v_sub_f32_e32 v13, v13, v41
	v_cmp_nlt_f32_e32 vcc, s59, v12
	v_mul_f32_e32 v21, 0x3fb8aa3b, v13
	v_cndmask_b32_e32 v20, v174, v22, vcc
	v_fma_f32 v22, v13, s57, -v21
	v_rndne_f32_e32 v23, v21
	v_fmac_f32_e32 v22, 0x32a5705f, v13
	v_sub_f32_e32 v21, v21, v23
	v_add_f32_e32 v21, v21, v22
	v_exp_f32_e32 v21, v21
	v_cvt_i32_f32_e32 v22, v23
	v_cndmask_b32_e64 v14, v14, v14, s[24:25]
	v_sub_f32_e32 v14, v14, v41
	v_mov_b32_e32 v12, s56
	v_cndmask_b32_e64 v23, v15, v15, s[24:25]
	v_mul_f32_e32 v15, 0x3fb8aa3b, v14
	v_cndmask_b32_e64 v188, v12, v20, s[24:25]
	v_ldexp_f32 v12, v21, v22
	v_fma_f32 v21, v14, s57, -v15
	v_rndne_f32_e32 v22, v15
	v_fmac_f32_e32 v21, 0x32a5705f, v14
	v_sub_f32_e32 v15, v15, v22
	v_add_f32_e32 v15, v15, v21
	v_cmp_ngt_f32_e32 vcc, s58, v13
	v_exp_f32_e32 v21, v15
	v_cvt_i32_f32_e32 v22, v22
	v_cndmask_b32_e32 v12, 0, v12, vcc
	v_cmp_nlt_f32_e32 vcc, s59, v13
	v_cndmask_b32_e32 v15, v174, v12, vcc
	v_mov_b32_e32 v13, s56
	v_cndmask_b32_e64 v189, v13, v15, s[26:27]
	v_sub_f32_e32 v13, v23, v41
	v_ldexp_f32 v12, v21, v22
	v_mul_f32_e32 v21, 0x3fb8aa3b, v13
	v_fma_f32 v22, v13, s57, -v21
	v_rndne_f32_e32 v23, v21
	v_fmac_f32_e32 v22, 0x32a5705f, v13
	v_sub_f32_e32 v21, v21, v23
	v_add_f32_e32 v21, v21, v22
	v_exp_f32_e32 v22, v21
	v_cvt_i32_f32_e32 v23, v23
	v_cmp_ngt_f32_e32 vcc, s58, v14
	v_cndmask_b32_e32 v12, 0, v12, vcc
	v_cmp_nlt_f32_e32 vcc, s59, v14
	v_sub_f32_e32 v8, v8, v41
	v_cndmask_b32_e32 v21, v174, v12, vcc
	v_mov_b32_e32 v12, s56
	v_mul_f32_e32 v14, 0x3fb8aa3b, v8
	v_cndmask_b32_e64 v190, v12, v21, s[28:29]
	v_ldexp_f32 v12, v22, v23
	v_fma_f32 v22, v8, s57, -v14
	v_rndne_f32_e32 v23, v14
	v_fmac_f32_e32 v22, 0x32a5705f, v8
	v_sub_f32_e32 v14, v14, v23
	v_add_f32_e32 v14, v14, v22
	v_exp_f32_e32 v14, v14
	v_cvt_i32_f32_e32 v22, v23
	v_cmp_ngt_f32_e32 vcc, s58, v13
	v_cndmask_b32_e32 v12, 0, v12, vcc
	v_cmp_nlt_f32_e32 vcc, s59, v13
	v_cndmask_b32_e64 v9, v9, v9, s[4:5]
	v_cndmask_b32_e32 v23, v174, v12, vcc
	v_ldexp_f32 v12, v14, v22
	v_cmp_ngt_f32_e32 vcc, s58, v8
	v_sub_f32_e32 v9, v9, v41
	v_cndmask_b32_e32 v12, 0, v12, vcc
	v_cmp_nlt_f32_e32 vcc, s59, v8
	v_cndmask_b32_e64 v176, v10, v10, s[4:5]
	v_mul_f32_e32 v10, 0x3fb8aa3b, v9
	v_cndmask_b32_e32 v14, v174, v12, vcc
	v_cndmask_b32_e64 v22, v11, v11, s[4:5]
	v_fma_f32 v11, v9, s57, -v10
	v_rndne_f32_e32 v12, v10
	v_fmac_f32_e32 v11, 0x32a5705f, v9
	v_sub_f32_e32 v10, v10, v12
	v_add_f32_e32 v10, v10, v11
	v_exp_f32_e32 v191, v10
	v_mov_b32_e32 v10, s60
	v_add_co_u32_e32 v11, vcc, s55, v86
	v_addc_co_u32_e32 v10, vcc, v10, v87, vcc
	v_cvt_i32_f32_e32 v192, v12
	v_add_co_u32_e32 v12, vcc, v11, v171
	v_addc_co_u32_e32 v10, vcc, 0, v10, vcc
	s_waitcnt vmcnt(0) lgkmcnt(0)
	ds_write_b128 v169, v[180:183]
	v_cndmask_b32_e64 v11, v24, v10, s[12:13]
	v_cndmask_b32_e64 v10, v25, v12, s[12:13]
	flat_load_dwordx4 v[10:13], v[10:11]
	v_sub_f32_e32 v25, v176, v41
	v_mul_f32_e32 v24, 0x3fb8aa3b, v25
	v_fma_f32 v176, v25, s57, -v24
	v_rndne_f32_e32 v180, v24
	v_fmac_f32_e32 v176, 0x32a5705f, v25
	v_sub_f32_e32 v24, v24, v180
	v_add_f32_e32 v24, v24, v176
	v_exp_f32_e32 v176, v24
	v_cvt_i32_f32_e32 v180, v180
	v_mov_b32_e32 v8, s56
	v_cndmask_b32_e64 v181, v8, v14, s[4:5]
	v_ldexp_f32 v8, v191, v192
	v_cmp_ngt_f32_e32 vcc, s58, v9
	v_cndmask_b32_e32 v8, 0, v8, vcc
	v_cmp_nlt_f32_e32 vcc, s59, v9
	v_cndmask_b32_e32 v24, v174, v8, vcc
	v_mov_b32_e32 v9, s56
	v_ldexp_f32 v8, v176, v180
	v_cmp_ngt_f32_e32 vcc, s58, v25
	v_cndmask_b32_e64 v182, v9, v24, s[34:35]
	v_cndmask_b32_e32 v8, 0, v8, vcc
	v_cmp_nlt_f32_e32 vcc, s59, v25
	v_sub_f32_e32 v9, v22, v41
	v_cndmask_b32_e32 v25, v174, v8, vcc
	v_mul_f32_e32 v8, 0x3fb8aa3b, v9
	v_fma_f32 v22, v9, s57, -v8
	v_rndne_f32_e32 v176, v8
	v_fmac_f32_e32 v22, 0x32a5705f, v9
	v_sub_f32_e32 v8, v8, v176
	v_add_f32_e32 v8, v8, v22
	v_sub_f32_e32 v119, v119, v41
	v_exp_f32_e32 v22, v8
	v_mul_f32_e32 v8, 0x3fb8aa3b, v119
	v_fma_f32 v180, v119, s57, -v8
	v_rndne_f32_e32 v183, v8
	v_fmac_f32_e32 v180, 0x32a5705f, v119
	v_sub_f32_e32 v8, v8, v183
	v_add_f32_e32 v8, v8, v180
	v_cvt_i32_f32_e32 v176, v176
	v_exp_f32_e32 v180, v8
	v_cvt_i32_f32_e32 v183, v183
	v_cmp_ngt_f32_e32 vcc, s58, v119
	v_ldexp_f32 v191, v22, v176
	v_mov_b32_e32 v8, s56
	v_ldexp_f32 v22, v180, v183
	v_cndmask_b32_e32 v22, 0, v22, vcc
	v_cmp_nlt_f32_e32 vcc, s59, v119
	v_cndmask_b32_e32 v22, v174, v22, vcc
	v_cmp_le_f32_e32 vcc, s62, v119
	v_cndmask_b32_e32 v176, 0, v22, vcc
	v_cvt_f16_f32_e32 v22, v176
	v_cmp_ngt_f32_e32 vcc, s58, v9
	v_cndmask_b32_e32 v119, 0, v191, vcc
	v_cmp_nlt_f32_e32 vcc, s59, v9
	v_cndmask_b32_e32 v119, v174, v119, vcc
	v_mov_b32_e32 v9, s56
	v_cndmask_b32_e64 v8, v8, v25, s[36:37]
	v_pk_mul_f16 v183, v22, v116 op_sel_hi:[0,1]
	v_cndmask_b32_e64 v180, v9, v119, s[38:39]
	v_cndmask_b32_e64 v192, v9, v23, s[30:31]
	;; [unrolled: 1-line block ×4, first 2 shown]
	v_cvt_f16_f32_e32 v116, v181
	v_cvt_f16_f32_e32 v181, v188
	;; [unrolled: 1-line block ×4, first 2 shown]
	v_add_f32_e32 v19, v178, v18
	v_pk_mul_f16 v191, v22, v115 op_sel_hi:[0,1]
	v_pk_mul_f16 v115, v22, v117 op_sel_hi:[0,1]
	v_cvt_f16_f32_e32 v117, v182
	v_cvt_f16_f32_e32 v178, v8
	;; [unrolled: 1-line block ×9, first 2 shown]
	v_cvt_f32_f16_e32 v8, v183
	s_waitcnt vmcnt(0) lgkmcnt(0)
	ds_write_b128 v170, v[10:13]
	s_waitcnt lgkmcnt(0)
	s_barrier
	ds_read_u16 v190, v149 offset:2848
	ds_read_u16 v11, v149
	ds_read_u16 v194, v149 offset:32
	ds_read_u16 v195, v149 offset:64
	;; [unrolled: 1-line block ×14, first 2 shown]
	v_cvt_f32_f16_sdwa v9, v183 dst_sel:DWORD dst_unused:UNUSED_PAD src0_sel:WORD_1
	s_waitcnt lgkmcnt(4)
	v_perm_b32 v183, v11, v12, s63
	ds_read_u16 v207, v147 offset:2848
	ds_read_u16 v208, v147 offset:2880
	ds_read_u16 v11, v147
	ds_read_u16 v209, v147 offset:32
	ds_read_u16 v210, v147 offset:64
	;; [unrolled: 1-line block ×13, first 2 shown]
	s_waitcnt lgkmcnt(9)
	v_perm_b32 v182, v12, v11, s63
	v_cvt_f32_f16_e32 v10, v191
	v_cvt_f32_f16_sdwa v11, v191 dst_sel:DWORD dst_unused:UNUSED_PAD src0_sel:WORD_1
	v_pack_b32_f16 v12, v16, v177
	v_pack_b32_f16 v13, v179, v187
	v_cvt_f16_f32_e32 v191, v193
	ds_read_u16 v16, v150 offset:352
	ds_read_u16 v177, v151 offset:352
	;; [unrolled: 1-line block ×8, first 2 shown]
	v_mfma_f32_16x16x16f16 v[8:11], v[182:183], v[12:13], v[8:11]
	s_waitcnt lgkmcnt(7)
	v_perm_b32 v183, v204, v16, s63
	v_perm_b32 v182, v197, v218, s63
	v_pack_b32_f16 v184, v184, v185
	v_pack_b32_f16 v185, v186, v191
	v_cvt_f16_f32_e32 v16, v192
	v_pack_b32_f16 v186, v181, v188
	s_waitcnt lgkmcnt(4)
	v_perm_b32 v181, v193, v179, s63
	s_nop 1
	v_cvt_f16_f32_e32 v8, v8
	v_cvt_f16_f32_e32 v9, v9
	;; [unrolled: 1-line block ×4, first 2 shown]
	v_cvt_f32_f16_e32 v8, v8
	v_cvt_f32_f16_e32 v9, v9
	v_cvt_f32_f16_e32 v10, v10
	v_cvt_f32_f16_e32 v11, v11
	v_pack_b32_f16 v187, v189, v16
	v_pack_b32_f16 v188, v116, v117
	v_mfma_f32_16x16x16f16 v[8:11], v[182:183], v[184:185], v[8:11]
	ds_read_u16 v191, v149 offset:2880
	ds_read_u16 v192, v149 offset:2912
	ds_read_u16 v182, v149 offset:5632
	ds_read_u16 v197, v149 offset:5664
	ds_read_u16 v204, v149 offset:5696
	ds_read_u16 v218, v149 offset:5728
	ds_read_u16 v225, v149 offset:5760
	ds_read_u16 v226, v149 offset:2944
	s_waitcnt lgkmcnt(5)
	v_perm_b32 v183, v182, v177, s63
	ds_read_u16 v227, v147 offset:2912
	ds_read_u16 v177, v147 offset:5632
	;; [unrolled: 1-line block ×8, first 2 shown]
	s_waitcnt lgkmcnt(6)
	v_perm_b32 v182, v201, v177, s63
	v_cvt_f16_f32_e32 v177, v180
	v_cvt_f32_f16_sdwa v179, v115 dst_sel:DWORD dst_unused:UNUSED_PAD src0_sel:WORD_1
	v_perm_b32 v116, v212, v209, s63
	v_cvt_f16_f32_e32 v8, v8
	v_cvt_f16_f32_e32 v9, v9
	v_cvt_f16_f32_e32 v10, v10
	v_cvt_f16_f32_e32 v11, v11
	v_cvt_f32_f16_e32 v8, v8
	v_cvt_f32_f16_e32 v9, v9
	;; [unrolled: 1-line block ×4, first 2 shown]
	v_pack_b32_f16 v189, v178, v177
	v_cvt_f32_f16_e32 v178, v115
	v_mfma_f32_16x16x16f16 v[8:11], v[182:183], v[186:187], v[8:11]
	ds_read_u16 v182, v148 offset:5840
	ds_read_u16 v183, v148 offset:5872
	;; [unrolled: 1-line block ×8, first 2 shown]
	s_waitcnt lgkmcnt(4)
	v_perm_b32 v180, v16, v231, s63
	v_pk_mul_f16 v16, v22, v110 op_sel_hi:[0,1]
	ds_read_u16 v110, v153 offset:352
	ds_read_u16 v115, v154 offset:352
	;; [unrolled: 1-line block ×8, first 2 shown]
	s_waitcnt lgkmcnt(7)
	v_perm_b32 v117, v194, v110, s63
	v_cndmask_b32_e64 v110, v18, v19, s[22:23]
	v_pk_mul_f16 v103, v22, v103 op_sel_hi:[0,1]
	v_cvt_f16_f32_e32 v8, v8
	v_cvt_f16_f32_e32 v9, v9
	;; [unrolled: 1-line block ×4, first 2 shown]
	v_cvt_f32_f16_e32 v8, v8
	v_cvt_f32_f16_e32 v9, v9
	;; [unrolled: 1-line block ×4, first 2 shown]
	v_pk_mul_f16 v102, v22, v102 op_sel_hi:[0,1]
	s_add_i32 s68, s68, 1
	v_mfma_f32_16x16x16f16 v[8:11], v[180:181], v[188:189], v[8:11]
	v_cvt_f32_f16_e32 v180, v16
	v_cvt_f32_f16_sdwa v181, v16 dst_sel:DWORD dst_unused:UNUSED_PAD src0_sel:WORD_1
	v_add_f32_e32 v16, v20, v110
	v_cndmask_b32_e64 v16, v110, v16, s[24:25]
	v_add_f32_e32 v15, v15, v16
	v_cndmask_b32_e64 v15, v16, v15, s[26:27]
	v_cmp_lt_i32_e32 vcc, s68, v121
	v_mfma_f32_16x16x16f16 v[178:181], v[116:117], v[12:13], v[178:181]
	s_waitcnt lgkmcnt(4)
	v_perm_b32 v117, v221, v231, s63
	s_nop 0
	v_cvt_f16_f32_e32 v110, v8
	s_and_b64 vcc, exec, vcc
	s_add_i32 s54, s54, 64
	s_nop 4
	v_cvt_f16_f32_e32 v18, v178
	v_cvt_f16_f32_e32 v19, v179
	;; [unrolled: 1-line block ×4, first 2 shown]
	v_cvt_f32_f16_e32 v178, v18
	v_cvt_f32_f16_e32 v179, v19
	v_perm_b32 v19, v190, v115, s63
	v_perm_b32 v18, v198, v207, s63
	v_cvt_f32_f16_e32 v180, v20
	v_cvt_f32_f16_e32 v181, v116
	v_perm_b32 v116, v201, v215, s63
	v_cvt_f16_f32_e32 v115, v10
	v_mfma_f32_16x16x16f16 v[178:181], v[18:19], v[184:185], v[178:181]
	s_nop 7
	s_nop 2
	v_cvt_f16_f32_e32 v18, v179
	v_cvt_f16_f32_e32 v19, v180
	v_cvt_f16_f32_e32 v16, v178
	v_cvt_f16_f32_e32 v20, v181
	v_cvt_f32_f16_e32 v179, v18
	v_cvt_f32_f16_e32 v180, v19
	v_perm_b32 v19, v197, v177, s63
	v_perm_b32 v18, v182, v228, s63
	v_cvt_f32_f16_e32 v178, v16
	v_cvt_f32_f16_e32 v181, v20
	v_add_f32_e32 v16, v21, v15
	v_cndmask_b32_e64 v15, v15, v16, s[28:29]
	v_mfma_f32_16x16x16f16 v[18:21], v[18:19], v[186:187], v[178:181]
	v_add_f32_e32 v16, v23, v15
	v_cndmask_b32_e64 v15, v15, v16, s[30:31]
	v_pk_mul_f16 v16, v22, v108 op_sel_hi:[0,1]
	v_pk_mul_f16 v23, v22, v107 op_sel_hi:[0,1]
	s_nop 2
	v_cvt_f32_f16_e32 v178, v16
	v_cvt_f32_f16_sdwa v179, v16 dst_sel:DWORD dst_unused:UNUSED_PAD src0_sel:WORD_1
	v_cvt_f32_f16_e32 v180, v23
	s_nop 0
	v_cvt_f16_f32_e32 v18, v18
	v_cvt_f16_f32_e32 v19, v19
	;; [unrolled: 1-line block ×4, first 2 shown]
	v_cvt_f32_f16_e32 v18, v18
	v_cvt_f32_f16_e32 v19, v19
	;; [unrolled: 1-line block ×4, first 2 shown]
	v_cvt_f32_f16_sdwa v181, v23 dst_sel:DWORD dst_unused:UNUSED_PAD src0_sel:WORD_1
	v_add_f32_e32 v14, v14, v15
	v_mfma_f32_16x16x16f16 v[18:21], v[116:117], v[188:189], v[18:21]
	s_waitcnt lgkmcnt(3)
	v_perm_b32 v117, v195, v237, s63
	v_perm_b32 v116, v213, v210, s63
	v_cndmask_b32_e64 v16, v15, v14, s[4:5]
	s_nop 0
	v_mfma_f32_16x16x16f16 v[178:181], v[116:117], v[12:13], v[178:181]
	v_cvt_f16_f32_e32 v117, v11
	v_pack_b32_f16 v115, v115, v117
	s_nop 7
	s_nop 0
	v_cvt_f16_f32_e32 v14, v178
	v_cvt_f16_f32_e32 v15, v179
	;; [unrolled: 1-line block ×4, first 2 shown]
	v_cvt_f32_f16_e32 v178, v14
	v_cvt_f32_f16_e32 v179, v15
	s_waitcnt lgkmcnt(2)
	v_perm_b32 v15, v191, v238, s63
	v_perm_b32 v14, v199, v208, s63
	v_cvt_f32_f16_e32 v180, v23
	v_cvt_f32_f16_e32 v181, v107
	v_add_f32_e32 v23, v24, v16
	v_cndmask_b32_e64 v16, v16, v23, s[34:35]
	v_mfma_f32_16x16x16f16 v[178:181], v[14:15], v[184:185], v[178:181]
	v_add_f32_e32 v23, v25, v16
	v_cndmask_b32_e64 v16, v16, v23, s[36:37]
	v_add_f32_e32 v23, v119, v16
	v_cndmask_b32_e64 v119, v16, v23, s[38:39]
	v_fmac_f32_e32 v119, v175, v176
	s_nop 5
	v_cvt_f16_f32_e32 v14, v178
	v_cvt_f16_f32_e32 v15, v179
	;; [unrolled: 1-line block ×4, first 2 shown]
	v_cvt_f32_f16_e32 v178, v14
	v_cvt_f32_f16_e32 v179, v15
	s_waitcnt lgkmcnt(1)
	v_perm_b32 v15, v204, v239, s63
	v_perm_b32 v14, v183, v229, s63
	v_cvt_f32_f16_e32 v180, v24
	v_cvt_f32_f16_e32 v181, v25
	s_nop 1
	v_mfma_f32_16x16x16f16 v[178:181], v[14:15], v[186:187], v[178:181]
	s_nop 7
	s_nop 2
	v_cvt_f16_f32_e32 v14, v178
	v_cvt_f16_f32_e32 v15, v179
	;; [unrolled: 1-line block ×4, first 2 shown]
	v_cvt_f32_f16_e32 v178, v14
	v_cvt_f32_f16_e32 v179, v15
	s_waitcnt lgkmcnt(0)
	v_perm_b32 v15, v222, v240, s63
	v_perm_b32 v14, v234, v216, s63
	v_cvt_f32_f16_e32 v180, v16
	v_cvt_f32_f16_e32 v181, v23
	v_pk_mul_f16 v16, v22, v105 op_sel_hi:[0,1]
	v_pk_mul_f16 v23, v22, v104 op_sel_hi:[0,1]
	v_mfma_f32_16x16x16f16 v[176:179], v[14:15], v[188:189], v[178:181]
	v_cvt_f32_f16_e32 v182, v23
	v_cvt_f32_f16_sdwa v183, v23 dst_sel:DWORD dst_unused:UNUSED_PAD src0_sel:WORD_1
	s_nop 4
	v_cvt_f32_f16_e32 v180, v16
	v_cvt_f32_f16_sdwa v181, v16 dst_sel:DWORD dst_unused:UNUSED_PAD src0_sel:WORD_1
	ds_read_u16 v14, v161 offset:352
	ds_read_u16 v16, v162 offset:352
	;; [unrolled: 1-line block ×8, first 2 shown]
	s_waitcnt lgkmcnt(7)
	v_perm_b32 v15, v196, v14, s63
	v_perm_b32 v14, v214, v211, s63
	s_waitcnt lgkmcnt(0)
	s_barrier
	v_mfma_f32_16x16x16f16 v[22:25], v[14:15], v[12:13], v[180:183]
	s_nop 7
	s_nop 2
	v_cvt_f16_f32_e32 v14, v23
	v_cvt_f16_f32_e32 v15, v24
	;; [unrolled: 1-line block ×4, first 2 shown]
	v_cvt_f32_f16_e32 v23, v14
	v_cvt_f32_f16_e32 v24, v15
	v_perm_b32 v15, v192, v16, s63
	v_perm_b32 v14, v200, v227, s63
	v_cvt_f32_f16_e32 v22, v8
	v_cvt_f32_f16_e32 v25, v25
	v_cvt_f16_f32_e32 v16, v9
	v_pack_b32_f16 v116, v110, v16
	v_mfma_f32_16x16x16f16 v[8:11], v[14:15], v[184:185], v[22:25]
	v_perm_b32 v15, v218, v104, s63
	v_perm_b32 v14, v193, v230, s63
	v_cvt_f16_f32_e32 v16, v18
	v_cvt_f32_f16_e32 v18, v103
	s_nop 2
	v_cvt_f16_f32_e32 v22, v19
	s_nop 2
	v_cvt_f16_f32_e32 v8, v8
	v_cvt_f16_f32_e32 v9, v9
	;; [unrolled: 1-line block ×4, first 2 shown]
	v_cvt_f32_f16_e32 v8, v8
	v_cvt_f32_f16_e32 v9, v9
	;; [unrolled: 1-line block ×4, first 2 shown]
	v_cvt_f16_f32_e32 v23, v20
	v_cvt_f16_f32_e32 v24, v21
	v_mfma_f32_16x16x16f16 v[8:11], v[14:15], v[186:187], v[8:11]
	v_perm_b32 v15, v223, v105, s63
	v_perm_b32 v14, v235, v217, s63
	v_cvt_f32_f16_sdwa v19, v103 dst_sel:DWORD dst_unused:UNUSED_PAD src0_sel:WORD_1
	v_cvt_f32_f16_e32 v20, v102
	v_cvt_f32_f16_sdwa v21, v102 dst_sel:DWORD dst_unused:UNUSED_PAD src0_sel:WORD_1
	v_pack_b32_f16 v117, v16, v22
	v_cvt_f16_f32_e32 v16, v176
	s_nop 3
	v_cvt_f16_f32_e32 v8, v8
	v_cvt_f16_f32_e32 v9, v9
	;; [unrolled: 1-line block ×4, first 2 shown]
	v_cvt_f32_f16_e32 v8, v8
	v_cvt_f32_f16_e32 v9, v9
	;; [unrolled: 1-line block ×4, first 2 shown]
	v_cvt_f16_f32_e32 v22, v179
	v_pack_b32_f16 v110, v23, v24
	v_mfma_f32_16x16x16f16 v[8:11], v[14:15], v[188:189], v[8:11]
	v_perm_b32 v15, v205, v107, s63
	v_perm_b32 v14, v203, v219, s63
	s_nop 1
	v_mfma_f32_16x16x16f16 v[12:15], v[14:15], v[12:13], v[18:21]
	s_nop 6
	v_perm_b32 v19, v226, v108, s63
	s_nop 2
	v_cvt_f16_f32_e32 v12, v12
	v_cvt_f16_f32_e32 v13, v13
	;; [unrolled: 1-line block ×4, first 2 shown]
	v_perm_b32 v18, v202, v233, s63
	v_cvt_f32_f16_e32 v12, v12
	v_cvt_f32_f16_e32 v13, v13
	;; [unrolled: 1-line block ×4, first 2 shown]
	v_cvt_f16_f32_e32 v20, v177
	v_cvt_f16_f32_e32 v21, v178
	v_mfma_f32_16x16x16f16 v[12:15], v[18:19], v[184:185], v[12:15]
	v_perm_b32 v19, v225, v175, s63
	v_perm_b32 v18, v236, v232, s63
	v_pack_b32_f16 v108, v16, v20
	v_cvt_f16_f32_e32 v16, v8
	v_pack_b32_f16 v107, v21, v22
	v_cvt_f16_f32_e32 v20, v9
	v_cvt_f16_f32_e32 v21, v10
	s_nop 3
	v_cvt_f16_f32_e32 v12, v12
	v_cvt_f16_f32_e32 v13, v13
	;; [unrolled: 1-line block ×4, first 2 shown]
	v_cvt_f32_f16_e32 v12, v12
	v_cvt_f32_f16_e32 v13, v13
	;; [unrolled: 1-line block ×4, first 2 shown]
	v_cvt_f16_f32_e32 v22, v11
	v_pack_b32_f16 v105, v16, v20
	v_mfma_f32_16x16x16f16 v[12:15], v[18:19], v[186:187], v[12:15]
	v_perm_b32 v19, v224, v190, s63
	v_perm_b32 v18, v206, v220, s63
	v_pack_b32_f16 v104, v21, v22
	s_nop 7
	v_cvt_f16_f32_e32 v8, v12
	v_cvt_f16_f32_e32 v13, v13
	;; [unrolled: 1-line block ×4, first 2 shown]
	v_cvt_f32_f16_e32 v12, v8
	v_cvt_f32_f16_e32 v13, v13
	;; [unrolled: 1-line block ×4, first 2 shown]
	s_nop 1
	v_mfma_f32_16x16x16f16 v[8:11], v[18:19], v[188:189], v[12:15]
	s_nop 7
	s_nop 2
	v_cvt_f16_f32_e32 v8, v8
	v_cvt_f16_f32_e32 v9, v9
	;; [unrolled: 1-line block ×4, first 2 shown]
	v_pack_b32_f16 v103, v8, v9
	v_pack_b32_f16 v102, v10, v11
	s_cbranch_vccz .LBB9_369
; %bb.367:                              ;   in Loop: Header=BB9_350 Depth=1
	v_mov_b32_e32 v175, v119
	v_mov_b32_e32 v119, v41
	s_branch .LBB9_350
.LBB9_368:
	v_mov_b32_e32 v119, 0
	v_mov_b32_e32 v41, 0xfeffffff
	;; [unrolled: 1-line block ×11, first 2 shown]
.LBB9_369:
	s_lshl_b32 s46, s68, 6
	v_readlane_b32 s4, v253, 4
	s_sub_i32 s52, s4, s46
	s_cmp_lg_u64 s[44:45], 0
	v_readlane_b32 s12, v253, 35
	s_cselect_b64 s[6:7], -1, 0
	s_ashr_i32 s47, s46, 31
	v_readlane_b32 s26, v253, 49
	v_readlane_b32 s27, v253, 50
	s_cmp_eq_u64 s[44:45], 0
	v_readlane_b32 s53, v253, 14
	s_mov_b64 s[54:55], s[26:27]
	v_readlane_b32 s5, v253, 5
	v_readlane_b32 s13, v253, 36
	;; [unrolled: 1-line block ×14, first 2 shown]
	s_cbranch_scc1 .LBB9_403
; %bb.370:
	s_lshl_b64 s[4:5], s[46:47], 1
	s_add_u32 s4, s44, s4
	s_addc_u32 s5, s45, s5
	v_mov_b32_e32 v9, s5
	v_add_co_u32_e64 v8, s[4:5], s4, v120
	v_cmp_gt_i32_e32 vcc, s52, v93
	v_mov_b32_e32 v10, 0
	v_addc_co_u32_e64 v9, s[4:5], 0, v9, s[4:5]
	v_mov_b32_e32 v12, 0
	s_and_saveexec_b64 s[10:11], vcc
	v_readlane_b32 s16, v253, 61
	v_readlane_b32 s17, v253, 62
	s_cbranch_execz .LBB9_372
; %bb.371:
	v_add_u32_e32 v11, s48, v35
	v_readlane_b32 s4, v253, 15
	v_mul_hi_u32 v12, s4, v11
	v_readlane_b32 s5, v253, 16
	v_add_u32_e32 v12, v11, v12
	v_lshrrev_b32_e32 v12, s5, v12
	v_readlane_b32 s12, v253, 51
	v_mul_lo_u32 v12, v12, s12
	v_sub_u32_e32 v11, v11, v12
	v_mad_i64_i32 v[12:13], s[4:5], v11, s16, 0
	v_lshlrev_b64 v[12:13], 1, v[12:13]
	v_add_co_u32_e64 v12, s[4:5], v8, v12
	v_addc_co_u32_e64 v13, s[4:5], v9, v13, s[4:5]
	flat_load_ushort v12, v[12:13]
	v_readlane_b32 s13, v253, 52
	v_readlane_b32 s14, v253, 53
	;; [unrolled: 1-line block ×3, first 2 shown]
.LBB9_372:
	s_or_b64 exec, exec, s[10:11]
	s_movk_i32 s4, 0x90
	v_mad_u32_u24 v11, v35, s4, 0
	v_lshl_add_u32 v13, v93, 1, v11
	s_waitcnt vmcnt(0) lgkmcnt(0)
	ds_write_b16 v13, v12 offset:11264
	s_and_saveexec_b64 s[10:11], vcc
	s_cbranch_execz .LBB9_374
; %bb.373:
	v_add3_u32 v10, v35, s48, 4
	v_readlane_b32 s4, v253, 15
	v_mul_hi_u32 v12, s4, v10
	v_readlane_b32 s5, v253, 16
	v_add_u32_e32 v12, v10, v12
	v_lshrrev_b32_e32 v12, s5, v12
	v_readlane_b32 s12, v253, 51
	v_mul_lo_u32 v12, v12, s12
	v_sub_u32_e32 v10, v10, v12
	v_mad_i64_i32 v[12:13], s[4:5], v10, s16, 0
	v_lshlrev_b64 v[12:13], 1, v[12:13]
	v_add_co_u32_e64 v12, s[4:5], v8, v12
	v_addc_co_u32_e64 v13, s[4:5], v9, v13, s[4:5]
	flat_load_ushort v10, v[12:13]
	v_readlane_b32 s13, v253, 52
	v_readlane_b32 s14, v253, 53
	v_readlane_b32 s15, v253, 54
.LBB9_374:
	s_or_b64 exec, exec, s[10:11]
	v_add_u32_e32 v11, 0x240, v11
	v_lshl_add_u32 v12, v93, 1, v11
	s_waitcnt vmcnt(0) lgkmcnt(0)
	ds_write_b16 v12, v10 offset:11264
	v_mov_b32_e32 v10, 0
	v_mov_b32_e32 v12, 0
	s_and_saveexec_b64 s[10:11], vcc
	s_cbranch_execz .LBB9_376
; %bb.375:
	v_add3_u32 v12, v35, s48, 8
	v_readlane_b32 s4, v253, 15
	v_mul_hi_u32 v13, s4, v12
	v_readlane_b32 s5, v253, 16
	v_add_u32_e32 v13, v12, v13
	v_lshrrev_b32_e32 v13, s5, v13
	v_readlane_b32 s12, v253, 51
	v_mul_lo_u32 v13, v13, s12
	v_sub_u32_e32 v12, v12, v13
	v_mad_i64_i32 v[12:13], s[4:5], v12, s16, 0
	v_lshlrev_b64 v[12:13], 1, v[12:13]
	v_add_co_u32_e64 v12, s[4:5], v8, v12
	v_addc_co_u32_e64 v13, s[4:5], v9, v13, s[4:5]
	flat_load_ushort v12, v[12:13]
	v_readlane_b32 s13, v253, 52
	v_readlane_b32 s14, v253, 53
	v_readlane_b32 s15, v253, 54
.LBB9_376:
	s_or_b64 exec, exec, s[10:11]
	v_add_u32_e32 v11, 0x240, v11
	v_lshl_add_u32 v13, v93, 1, v11
	s_waitcnt vmcnt(0) lgkmcnt(0)
	ds_write_b16 v13, v12 offset:11264
	s_and_saveexec_b64 s[10:11], vcc
	s_cbranch_execz .LBB9_378
; %bb.377:
	v_add3_u32 v10, v35, s48, 12
	v_readlane_b32 s4, v253, 15
	v_mul_hi_u32 v12, s4, v10
	v_readlane_b32 s5, v253, 16
	v_add_u32_e32 v12, v10, v12
	v_lshrrev_b32_e32 v12, s5, v12
	v_readlane_b32 s12, v253, 51
	v_mul_lo_u32 v12, v12, s12
	v_sub_u32_e32 v10, v10, v12
	v_mad_i64_i32 v[12:13], s[4:5], v10, s16, 0
	v_lshlrev_b64 v[12:13], 1, v[12:13]
	v_add_co_u32_e64 v12, s[4:5], v8, v12
	v_addc_co_u32_e64 v13, s[4:5], v9, v13, s[4:5]
	flat_load_ushort v10, v[12:13]
	v_readlane_b32 s13, v253, 52
	v_readlane_b32 s14, v253, 53
	v_readlane_b32 s15, v253, 54
.LBB9_378:
	s_or_b64 exec, exec, s[10:11]
	v_add_u32_e32 v11, 0x240, v11
	v_lshl_add_u32 v12, v93, 1, v11
	s_waitcnt vmcnt(0) lgkmcnt(0)
	ds_write_b16 v12, v10 offset:11264
	v_mov_b32_e32 v10, 0
	v_mov_b32_e32 v12, 0
	s_and_saveexec_b64 s[10:11], vcc
	s_cbranch_execz .LBB9_380
; %bb.379:
	v_add3_u32 v12, v35, s48, 16
	v_readlane_b32 s4, v253, 15
	v_mul_hi_u32 v13, s4, v12
	v_readlane_b32 s5, v253, 16
	v_add_u32_e32 v13, v12, v13
	v_lshrrev_b32_e32 v13, s5, v13
	v_readlane_b32 s12, v253, 51
	v_mul_lo_u32 v13, v13, s12
	v_sub_u32_e32 v12, v12, v13
	v_mad_i64_i32 v[12:13], s[4:5], v12, s16, 0
	v_lshlrev_b64 v[12:13], 1, v[12:13]
	v_add_co_u32_e64 v12, s[4:5], v8, v12
	v_addc_co_u32_e64 v13, s[4:5], v9, v13, s[4:5]
	flat_load_ushort v12, v[12:13]
	v_readlane_b32 s13, v253, 52
	v_readlane_b32 s14, v253, 53
	v_readlane_b32 s15, v253, 54
.LBB9_380:
	s_or_b64 exec, exec, s[10:11]
	v_add_u32_e32 v11, 0x240, v11
	;; [unrolled: 54-line block ×7, first 2 shown]
	v_lshl_add_u32 v11, v93, 1, v11
	s_waitcnt vmcnt(0) lgkmcnt(0)
	ds_write_b16 v11, v12 offset:11264
	s_and_saveexec_b64 s[4:5], vcc
	s_cbranch_execz .LBB9_402
; %bb.401:
	v_add3_u32 v10, v35, s48, 60
	v_readlane_b32 s10, v253, 15
	v_mul_hi_u32 v12, s10, v10
	v_readlane_b32 s11, v253, 16
	v_add_u32_e32 v12, v10, v12
	v_lshrrev_b32_e32 v12, s11, v12
	v_readlane_b32 s12, v253, 51
	v_mul_lo_u32 v12, v12, s12
	v_sub_u32_e32 v10, v10, v12
	v_mad_i64_i32 v[12:13], s[10:11], v10, s16, 0
	v_lshlrev_b64 v[12:13], 1, v[12:13]
	v_add_co_u32_e32 v8, vcc, v8, v12
	v_addc_co_u32_e32 v9, vcc, v9, v13, vcc
	flat_load_ushort v10, v[8:9]
	v_readlane_b32 s13, v253, 52
	v_readlane_b32 s14, v253, 53
	;; [unrolled: 1-line block ×3, first 2 shown]
.LBB9_402:
	s_or_b64 exec, exec, s[4:5]
	s_waitcnt vmcnt(0) lgkmcnt(0)
	ds_write_b16 v11, v10 offset:11840
.LBB9_403:
	s_mul_hi_i32 s5, s46, s50
	s_mul_i32 s4, s46, s50
	s_lshl_b64 s[4:5], s[4:5], 2
	s_add_u32 s12, s49, s4
	v_lshl_add_u32 v46, v35, 5, v118
	s_addc_u32 s13, s51, s5
	s_mov_b64 s[4:5], src_private_base
	v_mov_b32_e32 v8, 0
	v_cmp_gt_u32_e64 s[40:41], 64, v46
	buffer_store_dword v8, off, s[0:3], 0
	buffer_store_dword v8, off, s[0:3], 0 offset:4
	buffer_store_dword v8, off, s[0:3], 0 offset:8
	;; [unrolled: 1-line block ×3, first 2 shown]
                                        ; implicit-def: $vgpr47
	s_and_saveexec_b64 s[10:11], s[40:41]
	s_xor_b64 s[10:11], exec, s[10:11]
	s_cbranch_execz .LBB9_405
; %bb.404:
	v_mul_lo_u32 v8, s50, v46
	v_ashrrev_i32_e32 v9, 31, v8
	v_lshlrev_b64 v[8:9], 2, v[8:9]
	v_mov_b32_e32 v10, s13
	v_add_co_u32_e32 v8, vcc, s12, v8
	v_addc_co_u32_e32 v9, vcc, v10, v9, vcc
	v_lshlrev_b32_e32 v10, 4, v93
	v_and_b32_e32 v12, 16, v10
	v_add_co_u32_e32 v8, vcc, v8, v12
	v_addc_co_u32_e32 v9, vcc, 0, v9, vcc
	v_add_co_u32_e32 v8, vcc, 0x80, v8
	v_addc_co_u32_e32 v9, vcc, 0, v9, vcc
	v_mov_b32_e32 v10, s5
	v_cmp_gt_i32_e32 vcc, s52, v46
	v_cndmask_b32_e32 v9, v10, v9, vcc
	v_mov_b32_e32 v10, 0
	v_cndmask_b32_e32 v8, v10, v8, vcc
	flat_load_dwordx4 v[8:11], v[8:9]
	v_mul_u32_u24_e32 v13, 0xb0, v46
	v_add3_u32 v12, 0, v13, v12
	v_lshlrev_b32_e32 v47, 2, v93
	s_waitcnt vmcnt(0) lgkmcnt(0)
	ds_write_b128 v12, v[8:11] offset:128
.LBB9_405:
	s_andn2_saveexec_b64 s[10:11], s[10:11]
; %bb.406:
	v_lshlrev_b32_e32 v47, 2, v93
; %bb.407:
	s_or_b64 exec, exec, s[10:11]
	v_and_b32_e32 v8, 28, v47
	v_lshlrev_b32_e32 v43, 2, v8
	v_lshlrev_b64 v[8:9], 2, v[28:29]
	v_mov_b32_e32 v10, s13
	v_add_co_u32_e32 v8, vcc, s12, v8
	v_addc_co_u32_e32 v9, vcc, v10, v9, vcc
	v_add_co_u32_e32 v8, vcc, v8, v43
	v_addc_co_u32_e32 v9, vcc, 0, v9, vcc
	v_mov_b32_e32 v14, s5
	v_cmp_gt_i32_e64 s[38:39], s52, v99
	v_mov_b32_e32 v15, 0
	v_cndmask_b32_e64 v9, v14, v9, s[38:39]
	v_cndmask_b32_e64 v8, v15, v8, s[38:39]
	flat_load_dwordx4 v[8:11], v[8:9]
	v_ashrrev_i32_e32 v27, 31, v26
	v_lshlrev_b64 v[12:13], 2, v[26:27]
	v_mov_b32_e32 v16, s13
	v_add_co_u32_e32 v12, vcc, s12, v12
	s_movk_i32 s4, 0xb0
	v_addc_co_u32_e32 v13, vcc, v16, v13, vcc
	v_mad_u32_u24 v42, v99, s4, 0
	v_add_co_u32_e32 v12, vcc, v12, v43
	v_add_u32_e32 v44, v42, v43
	v_addc_co_u32_e32 v13, vcc, 0, v13, vcc
	v_cmp_gt_i32_e64 s[36:37], s52, v17
	v_cndmask_b32_e64 v13, v14, v13, s[36:37]
	v_cndmask_b32_e64 v12, v15, v12, s[36:37]
	v_add3_u32 v32, 0, v33, v114
	v_add_u32_e32 v28, 0x800, v32
	v_add_u32_e32 v29, 0x1000, v32
	;; [unrolled: 1-line block ×3, first 2 shown]
	v_and_b32_e32 v45, 0xfc, v111
	s_and_b64 vcc, exec, s[6:7]
	s_waitcnt vmcnt(0) lgkmcnt(0)
	ds_write_b128 v44, v[8:11]
	flat_load_dwordx4 v[8:11], v[12:13]
	s_waitcnt vmcnt(0) lgkmcnt(0)
	ds_write_b128 v44, v[8:11] offset:5632
	s_waitcnt lgkmcnt(0)
	s_barrier
	ds_read2_b64 v[8:11], v32 offset1:4
	ds_read2_b64 v[16:19], v28 offset0:96 offset1:100
	ds_read2_b64 v[24:27], v29 offset0:192 offset1:196
	;; [unrolled: 1-line block ×3, first 2 shown]
	s_waitcnt lgkmcnt(3)
	v_mfma_f32_16x16x16f16 v[12:15], v[8:9], v[4:5], 0
	s_waitcnt lgkmcnt(2)
	v_mfma_f32_16x16x16f16 v[20:23], v[16:17], v[4:5], 0
	;; [unrolled: 2-line block ×4, first 2 shown]
	v_mfma_f32_16x16x16f16 v[8:11], v[10:11], v[6:7], v[12:15]
	v_mfma_f32_16x16x16f16 v[12:15], v[18:19], v[6:7], v[20:23]
	;; [unrolled: 1-line block ×3, first 2 shown]
	s_nop 5
	ds_read2_b64 v[20:23], v32 offset0:8 offset1:12
	ds_read2_b64 v[24:27], v28 offset0:104 offset1:108
	v_mfma_f32_16x16x16f16 v[4:7], v[54:55], v[6:7], v[56:59]
	ds_read2_b64 v[48:51], v29 offset0:200 offset1:204
	ds_read2_b64 v[52:55], v33 offset0:40 offset1:44
	s_waitcnt lgkmcnt(3)
	v_mfma_f32_16x16x16f16 v[8:11], v[20:21], v[0:1], v[8:11]
	s_waitcnt lgkmcnt(2)
	v_mfma_f32_16x16x16f16 v[12:15], v[24:25], v[0:1], v[12:15]
	;; [unrolled: 2-line block ×3, first 2 shown]
	v_add_u32_e32 v49, 32, v45
	s_waitcnt lgkmcnt(0)
	v_mfma_f32_16x16x16f16 v[4:7], v[52:53], v[0:1], v[4:7]
	v_add_u32_e32 v52, 48, v45
	v_add_u32_e32 v53, 50, v45
	v_mfma_f32_16x16x16f16 v[8:11], v[22:23], v[2:3], v[8:11]
	v_mfma_f32_16x16x16f16 v[12:15], v[26:27], v[2:3], v[12:15]
	;; [unrolled: 1-line block ×3, first 2 shown]
	v_add_u32_e32 v51, 34, v45
	v_mfma_f32_16x16x16f16 v[0:3], v[54:55], v[2:3], v[4:7]
	s_nop 6
	ds_read_b64 v[4:5], v32 offset:128
	ds_read_b64 v[6:7], v32 offset:2944
	;; [unrolled: 1-line block ×4, first 2 shown]
	s_waitcnt lgkmcnt(0)
	s_barrier
	v_mfma_f32_16x16x16f16 v[18:21], v[4:5], v[30:31], v[8:11]
	v_mfma_f32_16x16x16f16 v[22:25], v[6:7], v[30:31], v[12:15]
	v_mfma_f32_16x16x16f16 v[26:29], v[16:17], v[30:31], v[26:29]
	v_mfma_f32_16x16x16f16 v[30:33], v[32:33], v[30:31], v[0:3]
	s_nop 6
	v_add_u32_e32 v0, 16, v45
	v_add_u32_e32 v1, 18, v45
	s_cbranch_vccz .LBB9_417
; %bb.408:
	s_movk_i32 s4, 0x90
	v_mad_u32_u24 v55, v113, s4, 0
	v_lshl_add_u32 v2, v45, 1, v55
	v_add_u32_e32 v3, v55, v112
	ds_read_b32 v9, v2 offset:11264
	ds_read_b32 v7, v3 offset:11264
	v_add_u32_e32 v48, 16, v45
	v_add_u32_e32 v50, 32, v45
	v_lshlrev_b32_e32 v4, 1, v48
	s_movk_i32 s4, 0x2c00
	v_lshlrev_b32_e32 v2, 1, v50
	v_add3_u32 v4, v55, v4, s4
	v_add3_u32 v5, v55, v2, s4
	ds_read2_b32 v[2:3], v4 offset1:1
	ds_read2_b32 v[4:5], v5 offset1:1
	s_waitcnt lgkmcnt(2)
	v_cvt_f32_f16_e32 v6, v7
	v_cvt_f32_f16_sdwa v7, v7 dst_sel:DWORD dst_unused:UNUSED_PAD src0_sel:WORD_1
	v_add_u32_e32 v54, 48, v45
	s_waitcnt lgkmcnt(1)
	v_cvt_f32_f16_e32 v10, v3
	v_cvt_f32_f16_sdwa v11, v3 dst_sel:DWORD dst_unused:UNUSED_PAD src0_sel:WORD_1
	v_pk_fma_f32 v[16:17], v[40:41], v[6:7], v[20:21] op_sel_hi:[0,1,1]
	v_cvt_f32_f16_e32 v6, v2
	v_cvt_f32_f16_sdwa v7, v2 dst_sel:DWORD dst_unused:UNUSED_PAD src0_sel:WORD_1
	s_waitcnt lgkmcnt(0)
	v_cvt_f32_f16_e32 v2, v5
	v_cvt_f32_f16_sdwa v3, v5 dst_sel:DWORD dst_unused:UNUSED_PAD src0_sel:WORD_1
	v_lshlrev_b32_e32 v5, 1, v54
	v_add3_u32 v5, v55, v5, s4
	v_pk_fma_f32 v[12:13], v[40:41], v[10:11], v[24:25] op_sel_hi:[0,1,1]
	v_pk_fma_f32 v[10:11], v[40:41], v[6:7], v[22:23] op_sel_hi:[0,1,1]
	ds_read2_b32 v[6:7], v5 offset1:1
	v_cvt_f32_f16_e32 v8, v9
	v_cvt_f32_f16_sdwa v9, v9 dst_sel:DWORD dst_unused:UNUSED_PAD src0_sel:WORD_1
	v_cvt_f32_f16_e32 v58, v4
	v_cvt_f32_f16_sdwa v59, v4 dst_sel:DWORD dst_unused:UNUSED_PAD src0_sel:WORD_1
	s_waitcnt lgkmcnt(0)
	v_cvt_f32_f16_e32 v4, v7
	v_pk_fma_f32 v[14:15], v[40:41], v[8:9], v[18:19] op_sel_hi:[0,1,1]
	v_pk_fma_f32 v[8:9], v[40:41], v[2:3], v[28:29] op_sel_hi:[0,1,1]
	v_cvt_f32_f16_e32 v2, v6
	v_cvt_f32_f16_sdwa v5, v7 dst_sel:DWORD dst_unused:UNUSED_PAD src0_sel:WORD_1
	v_cvt_f32_f16_sdwa v3, v6 dst_sel:DWORD dst_unused:UNUSED_PAD src0_sel:WORD_1
	v_add_u32_e32 v56, 18, v45
	v_add_u32_e32 v57, 34, v45
	v_pk_fma_f32 v[6:7], v[40:41], v[58:59], v[26:27] op_sel_hi:[0,1,1]
	v_add_u32_e32 v55, 50, v45
	v_pk_fma_f32 v[4:5], v[40:41], v[4:5], v[32:33] op_sel_hi:[0,1,1]
	v_pk_fma_f32 v[2:3], v[40:41], v[2:3], v[30:31] op_sel_hi:[0,1,1]
	s_cbranch_execnz .LBB9_410
.LBB9_409:
	v_pk_mov_b32 v[2:3], v[30:31], v[30:31] op_sel:[0,1]
	v_pk_mov_b32 v[6:7], v[26:27], v[26:27] op_sel:[0,1]
	;; [unrolled: 1-line block ×4, first 2 shown]
	v_mov_b32_e32 v55, v53
	v_mov_b32_e32 v54, v52
	;; [unrolled: 1-line block ×6, first 2 shown]
	v_pk_mov_b32 v[4:5], v[32:33], v[32:33] op_sel:[0,1]
	v_pk_mov_b32 v[8:9], v[28:29], v[28:29] op_sel:[0,1]
	;; [unrolled: 1-line block ×4, first 2 shown]
.LBB9_410:
	v_add_f32_e32 v0, 0x40051340, v14
	v_max_f32_e32 v1, v41, v41
	v_max_f32_e32 v0, v1, v0
	v_cmp_gt_u32_e64 s[42:43], s52, v45
	v_cndmask_b32_e64 v0, v41, v0, s[42:43]
	v_or_b32_e32 v1, 1, v45
	v_add_f32_e32 v18, 0x40051340, v15
	v_max_f32_e32 v19, v0, v0
	v_max_f32_e32 v18, v19, v18
	v_cmp_gt_u32_e64 s[34:35], s52, v1
	v_cndmask_b32_e64 v0, v0, v18, s[34:35]
	v_or_b32_e32 v1, 2, v45
	;; [unrolled: 6-line block ×3, first 2 shown]
	v_add_f32_e32 v1, 0x40051340, v17
	v_max_f32_e32 v19, v0, v0
	v_max_f32_e32 v1, v19, v1
	v_cmp_gt_u32_e64 s[30:31], s52, v18
	v_cndmask_b32_e64 v0, v0, v1, s[30:31]
	v_add_f32_e32 v1, 0x40051340, v10
	v_max_f32_e32 v19, v0, v0
	v_max_f32_e32 v1, v19, v1
	v_cmp_gt_u32_e64 s[26:27], s52, v48
	v_cndmask_b32_e64 v0, v0, v1, s[26:27]
	v_add_u32_e32 v1, 17, v45
	v_add_f32_e32 v19, 0x40051340, v11
	v_max_f32_e32 v20, v0, v0
	v_max_f32_e32 v19, v20, v19
	v_cmp_gt_u32_e64 s[24:25], s52, v1
	v_cndmask_b32_e64 v0, v0, v19, s[24:25]
	v_add_f32_e32 v1, 0x40051340, v12
	v_max_f32_e32 v19, v0, v0
	v_max_f32_e32 v1, v19, v1
	v_cmp_gt_u32_e64 s[22:23], s52, v56
	v_cndmask_b32_e64 v0, v0, v1, s[22:23]
	v_add_u32_e32 v1, 19, v45
	;; [unrolled: 11-line block ×5, first 2 shown]
	v_add_f32_e32 v19, 0x40051340, v3
	v_max_f32_e32 v20, v0, v0
	v_max_f32_e32 v19, v20, v19
	v_cmp_gt_u32_e64 s[10:11], s52, v1
	v_cndmask_b32_e64 v0, v0, v19, s[10:11]
	v_add_f32_e32 v1, 0x40051340, v4
	v_max_f32_e32 v19, v0, v0
	v_max_f32_e32 v1, v19, v1
	v_cmp_gt_u32_e64 s[6:7], s52, v55
	v_cndmask_b32_e64 v0, v0, v1, s[6:7]
	v_add_f32_e32 v19, 0x40051340, v5
	v_max_f32_e32 v20, v0, v0
	v_add_u32_e32 v1, 51, v45
	v_max_f32_e32 v19, v20, v19
	v_mbcnt_hi_u32_b32 v20, -1, v106
	v_cmp_gt_u32_e64 s[4:5], s52, v1
	v_and_b32_e32 v1, 64, v20
	v_add_u32_e32 v21, 64, v1
	v_xor_b32_e32 v1, 32, v20
	v_cmp_lt_i32_e32 vcc, v1, v21
	v_cndmask_b32_e32 v1, v20, v1, vcc
	v_cndmask_b32_e64 v0, v0, v19, s[4:5]
	v_lshlrev_b32_e32 v1, 2, v1
	ds_bpermute_b32 v22, v1, v0
	v_max_f32_e32 v0, v0, v0
	s_mul_hi_i32 s47, s46, s8
	s_mul_i32 s46, s46, s8
	s_lshl_b64 s[46:47], s[46:47], 2
	s_waitcnt lgkmcnt(0)
	v_max_f32_e32 v22, v22, v22
	v_max_f32_e32 v0, v0, v22
	v_xor_b32_e32 v22, 16, v20
	v_cmp_lt_i32_e32 vcc, v22, v21
	v_cndmask_b32_e32 v20, v20, v22, vcc
	v_lshlrev_b32_e32 v23, 2, v20
	ds_bpermute_b32 v20, v23, v0
	s_add_u32 s50, s9, s46
	v_add_u32_e32 v19, 0x1600, v44
	s_addc_u32 s33, s33, s47
	s_mov_b64 s[46:47], src_private_base
	s_mov_b32 s9, 0
	v_mov_b32_e32 v21, 0
	buffer_store_dword v21, off, s[0:3], 0
	buffer_store_dword v21, off, s[0:3], 0 offset:4
	buffer_store_dword v21, off, s[0:3], 0 offset:8
	;; [unrolled: 1-line block ×3, first 2 shown]
	s_and_saveexec_b64 s[48:49], s[40:41]
	s_cbranch_execz .LBB9_412
; %bb.411:
	v_mul_lo_u32 v24, s8, v46
	v_ashrrev_i32_e32 v25, 31, v24
	v_lshlrev_b64 v[24:25], 2, v[24:25]
	v_lshlrev_b32_e32 v21, 2, v47
	v_mov_b32_e32 v22, s33
	v_add_co_u32_e32 v24, vcc, s50, v24
	v_and_b32_e32 v21, 16, v21
	v_addc_co_u32_e32 v22, vcc, v22, v25, vcc
	v_add_co_u32_e32 v24, vcc, v24, v21
	v_addc_co_u32_e32 v22, vcc, 0, v22, vcc
	v_add_co_u32_e32 v24, vcc, 0x80, v24
	v_addc_co_u32_e32 v22, vcc, 0, v22, vcc
	v_mov_b32_e32 v25, s47
	v_cmp_gt_i32_e32 vcc, s52, v46
	v_cndmask_b32_e32 v25, v25, v22, vcc
	v_mov_b32_e32 v22, 0
	v_cndmask_b32_e32 v24, v22, v24, vcc
	flat_load_dwordx4 v[24:27], v[24:25]
	v_mul_u32_u24_e32 v22, 0xb0, v46
	v_add3_u32 v21, 0, v22, v21
	s_waitcnt vmcnt(0) lgkmcnt(0)
	ds_write_b128 v21, v[24:27] offset:128
.LBB9_412:
	s_or_b64 exec, exec, s[48:49]
	s_waitcnt lgkmcnt(0)
	v_max_f32_e32 v20, v20, v20
	v_max_f32_e32 v0, v0, v0
	;; [unrolled: 1-line block ×3, first 2 shown]
	v_sub_f32_e32 v0, v14, v22
	s_mov_b32 s41, 0x3fb8aa3b
	v_mul_f32_e32 v14, 0x3fb8aa3b, v0
	v_fma_f32 v20, v0, s41, -v14
	v_rndne_f32_e32 v21, v14
	v_fmac_f32_e32 v20, 0x32a5705f, v0
	v_sub_f32_e32 v14, v14, v21
	v_add_f32_e32 v14, v14, v20
	v_exp_f32_e32 v14, v14
	v_cvt_i32_f32_e32 v20, v21
	v_sub_f32_e32 v15, v15, v22
	s_mov_b32 s8, 0xc2ce8ed0
	v_cmp_ngt_f32_e32 vcc, s8, v0
	v_ldexp_f32 v14, v14, v20
	v_mul_f32_e32 v20, 0x3fb8aa3b, v15
	v_fma_f32 v21, v15, s41, -v20
	v_rndne_f32_e32 v24, v20
	v_fmac_f32_e32 v21, 0x32a5705f, v15
	v_sub_f32_e32 v20, v20, v24
	v_add_f32_e32 v20, v20, v21
	v_exp_f32_e32 v20, v20
	v_cvt_i32_f32_e32 v21, v24
	s_mov_b32 s40, 0x42b17218
	v_cndmask_b32_e32 v14, 0, v14, vcc
	v_mov_b32_e32 v30, 0x7f800000
	v_cmp_nlt_f32_e32 vcc, s40, v0
	v_cndmask_b32_e32 v0, v30, v14, vcc
	v_ldexp_f32 v14, v20, v21
	v_cmp_ngt_f32_e32 vcc, s8, v15
	v_cndmask_b32_e32 v14, 0, v14, vcc
	v_cmp_nlt_f32_e32 vcc, s40, v15
	v_cndmask_b32_e64 v15, v16, v16, s[34:35]
	v_sub_f32_e32 v16, v15, v22
	v_mul_f32_e32 v15, 0x3fb8aa3b, v16
	v_fma_f32 v20, v16, s41, -v15
	v_rndne_f32_e32 v21, v15
	v_fmac_f32_e32 v20, 0x32a5705f, v16
	v_sub_f32_e32 v15, v15, v21
	v_add_f32_e32 v15, v15, v20
	v_exp_f32_e32 v20, v15
	v_cvt_i32_f32_e32 v21, v21
	v_cndmask_b32_e64 v17, v17, v17, s[34:35]
	v_cndmask_b32_e32 v14, v30, v14, vcc
	v_mov_b32_e32 v15, s9
	v_sub_f32_e32 v17, v17, v22
	v_cndmask_b32_e64 v32, v15, v14, s[34:35]
	v_ldexp_f32 v15, v20, v21
	v_mul_f32_e32 v20, 0x3fb8aa3b, v17
	v_fma_f32 v21, v17, s41, -v20
	v_rndne_f32_e32 v24, v20
	v_fmac_f32_e32 v21, 0x32a5705f, v17
	v_sub_f32_e32 v20, v20, v24
	v_add_f32_e32 v20, v20, v21
	v_exp_f32_e32 v20, v20
	v_cvt_i32_f32_e32 v21, v24
	v_cmp_ngt_f32_e32 vcc, s8, v16
	v_cndmask_b32_e32 v15, 0, v15, vcc
	v_cmp_nlt_f32_e32 vcc, s40, v16
	v_cndmask_b32_e32 v15, v30, v15, vcc
	v_mov_b32_e32 v16, s9
	v_sub_f32_e32 v10, v10, v22
	v_cndmask_b32_e64 v33, v16, v15, s[28:29]
	v_ldexp_f32 v16, v20, v21
	v_mul_f32_e32 v20, 0x3fb8aa3b, v10
	v_fma_f32 v21, v10, s41, -v20
	v_rndne_f32_e32 v24, v20
	v_fmac_f32_e32 v21, 0x32a5705f, v10
	v_sub_f32_e32 v20, v20, v24
	v_add_f32_e32 v20, v20, v21
	v_exp_f32_e32 v20, v20
	v_cvt_i32_f32_e32 v21, v24
	v_cmp_ngt_f32_e32 vcc, s8, v17
	v_cndmask_b32_e32 v16, 0, v16, vcc
	v_cmp_nlt_f32_e32 vcc, s40, v17
	v_cndmask_b32_e32 v16, v30, v16, vcc
	v_ldexp_f32 v17, v20, v21
	v_cmp_ngt_f32_e32 vcc, s8, v10
	v_cndmask_b32_e64 v11, v11, v11, s[26:27]
	v_cndmask_b32_e32 v17, 0, v17, vcc
	v_cmp_nlt_f32_e32 vcc, s40, v10
	v_sub_f32_e32 v11, v11, v22
	v_cndmask_b32_e32 v10, v30, v17, vcc
	v_mul_f32_e32 v17, 0x3fb8aa3b, v11
	v_fma_f32 v21, v11, s41, -v17
	v_rndne_f32_e32 v24, v17
	v_fmac_f32_e32 v21, 0x32a5705f, v11
	v_sub_f32_e32 v17, v17, v24
	v_add_f32_e32 v17, v17, v21
	v_exp_f32_e32 v17, v17
	v_cvt_i32_f32_e32 v21, v24
	v_cndmask_b32_e64 v12, v12, v12, s[26:27]
	v_sub_f32_e32 v12, v12, v22
	v_mov_b32_e32 v20, s9
	v_cndmask_b32_e64 v24, v13, v13, s[26:27]
	v_ldexp_f32 v13, v17, v21
	v_mul_f32_e32 v17, 0x3fb8aa3b, v12
	v_cndmask_b32_e64 v40, v20, v10, s[26:27]
	v_fma_f32 v20, v12, s41, -v17
	v_rndne_f32_e32 v21, v17
	v_fmac_f32_e32 v20, 0x32a5705f, v12
	v_sub_f32_e32 v17, v17, v21
	v_add_f32_e32 v17, v17, v20
	v_exp_f32_e32 v17, v17
	v_cvt_i32_f32_e32 v20, v21
	v_cmp_ngt_f32_e32 vcc, s8, v11
	v_cndmask_b32_e32 v13, 0, v13, vcc
	v_cmp_nlt_f32_e32 vcc, s40, v11
	v_cndmask_b32_e32 v11, v30, v13, vcc
	v_mov_b32_e32 v13, s9
	v_cndmask_b32_e64 v50, v13, v11, s[24:25]
	v_ldexp_f32 v13, v17, v20
	v_sub_f32_e32 v17, v24, v22
	v_mul_f32_e32 v20, 0x3fb8aa3b, v17
	v_fma_f32 v21, v17, s41, -v20
	v_rndne_f32_e32 v24, v20
	v_fmac_f32_e32 v21, 0x32a5705f, v17
	v_sub_f32_e32 v20, v20, v24
	v_add_f32_e32 v20, v20, v21
	v_cmp_ngt_f32_e32 vcc, s8, v12
	v_exp_f32_e32 v21, v20
	v_cvt_i32_f32_e32 v24, v24
	v_cndmask_b32_e32 v13, 0, v13, vcc
	v_cmp_nlt_f32_e32 vcc, s40, v12
	v_cndmask_b32_e32 v12, v30, v13, vcc
	v_mov_b32_e32 v20, s9
	v_sub_f32_e32 v6, v6, v22
	v_cndmask_b32_e64 v51, v20, v12, s[22:23]
	v_mul_f32_e32 v20, 0x3fb8aa3b, v6
	v_ldexp_f32 v13, v21, v24
	v_fma_f32 v21, v6, s41, -v20
	v_rndne_f32_e32 v24, v20
	v_fmac_f32_e32 v21, 0x32a5705f, v6
	v_sub_f32_e32 v20, v20, v24
	v_add_f32_e32 v20, v20, v21
	v_exp_f32_e32 v21, v20
	v_cvt_i32_f32_e32 v24, v24
	v_cmp_ngt_f32_e32 vcc, s8, v17
	v_cndmask_b32_e32 v13, 0, v13, vcc
	v_cmp_nlt_f32_e32 vcc, s40, v17
	v_cndmask_b32_e32 v20, v30, v13, vcc
	v_ldexp_f32 v13, v21, v24
	v_cmp_ngt_f32_e32 vcc, s8, v6
	v_cndmask_b32_e32 v13, 0, v13, vcc
	v_cmp_nlt_f32_e32 vcc, s40, v6
	v_lshlrev_b64 v[24:25], 2, v[38:39]
	v_cndmask_b32_e32 v17, v30, v13, vcc
	v_mov_b32_e32 v21, s33
	v_add_co_u32_e32 v24, vcc, s50, v24
	v_addc_co_u32_e32 v21, vcc, v21, v25, vcc
	v_add_co_u32_e32 v24, vcc, v24, v43
	v_addc_co_u32_e32 v21, vcc, 0, v21, vcc
	v_mov_b32_e32 v27, s47
	v_mov_b32_e32 v28, 0
	v_cndmask_b32_e64 v25, v27, v21, s[38:39]
	v_cndmask_b32_e64 v24, v28, v24, s[38:39]
	flat_load_dwordx4 v[46:49], v[24:25]
	v_cndmask_b32_e64 v7, v7, v7, s[18:19]
	v_sub_f32_e32 v7, v7, v22
	v_mul_f32_e32 v13, 0x3fb8aa3b, v7
	v_fma_f32 v21, v7, s41, -v13
	v_rndne_f32_e32 v24, v13
	v_fmac_f32_e32 v21, 0x32a5705f, v7
	v_sub_f32_e32 v13, v13, v24
	v_add_f32_e32 v13, v13, v21
	v_exp_f32_e32 v13, v13
	v_cvt_i32_f32_e32 v21, v24
	v_cndmask_b32_e64 v8, v8, v8, s[18:19]
	v_mov_b32_e32 v6, s9
	v_sub_f32_e32 v8, v8, v22
	v_cndmask_b32_e64 v38, v6, v17, s[18:19]
	v_ldexp_f32 v6, v13, v21
	v_mul_f32_e32 v13, 0x3fb8aa3b, v8
	v_fma_f32 v21, v8, s41, -v13
	v_rndne_f32_e32 v24, v13
	v_fmac_f32_e32 v21, 0x32a5705f, v8
	v_sub_f32_e32 v13, v13, v24
	v_cmp_ngt_f32_e32 vcc, s8, v7
	v_add_f32_e32 v13, v13, v21
	v_cndmask_b32_e32 v6, 0, v6, vcc
	v_exp_f32_e32 v13, v13
	v_cvt_i32_f32_e32 v21, v24
	v_cmp_nlt_f32_e32 vcc, s40, v7
	v_cndmask_b32_e64 v9, v9, v9, s[18:19]
	v_cndmask_b32_e32 v24, v30, v6, vcc
	v_mov_b32_e32 v7, s9
	v_cndmask_b32_e64 v39, v7, v24, s[14:15]
	v_sub_f32_e32 v7, v9, v22
	v_mul_f32_e32 v9, 0x3fb8aa3b, v7
	v_ldexp_f32 v6, v13, v21
	v_fma_f32 v13, v7, s41, -v9
	v_rndne_f32_e32 v21, v9
	v_fmac_f32_e32 v13, 0x32a5705f, v7
	v_sub_f32_e32 v9, v9, v21
	v_add_f32_e32 v9, v9, v13
	v_exp_f32_e32 v9, v9
	v_cvt_i32_f32_e32 v13, v21
	v_cmp_ngt_f32_e32 vcc, s8, v8
	v_cndmask_b32_e32 v6, 0, v6, vcc
	v_cmp_nlt_f32_e32 vcc, s40, v8
	v_sub_f32_e32 v2, v2, v22
	v_cndmask_b32_e32 v25, v30, v6, vcc
	v_mov_b32_e32 v6, s9
	v_mul_f32_e32 v8, 0x3fb8aa3b, v2
	v_cndmask_b32_e64 v52, v6, v25, s[16:17]
	v_ldexp_f32 v6, v9, v13
	v_fma_f32 v9, v2, s41, -v8
	v_rndne_f32_e32 v13, v8
	v_fmac_f32_e32 v9, 0x32a5705f, v2
	v_sub_f32_e32 v8, v8, v13
	v_add_f32_e32 v8, v8, v9
	v_exp_f32_e32 v8, v8
	v_cvt_i32_f32_e32 v9, v13
	v_cmp_ngt_f32_e32 vcc, s8, v7
	v_cndmask_b32_e32 v6, 0, v6, vcc
	v_cmp_nlt_f32_e32 vcc, s40, v7
	v_cndmask_b32_e32 v26, v30, v6, vcc
	v_ldexp_f32 v6, v8, v9
	v_cmp_ngt_f32_e32 vcc, s8, v2
	v_cndmask_b32_e32 v6, 0, v6, vcc
	v_cmp_nlt_f32_e32 vcc, s40, v2
	v_cndmask_b32_e64 v3, v3, v3, s[44:45]
	v_cndmask_b32_e32 v21, v30, v6, vcc
	v_sub_f32_e32 v6, v3, v22
	v_mul_f32_e32 v3, 0x3fb8aa3b, v6
	v_fma_f32 v7, v6, s41, -v3
	v_rndne_f32_e32 v8, v3
	v_fmac_f32_e32 v7, 0x32a5705f, v6
	v_sub_f32_e32 v3, v3, v8
	v_add_f32_e32 v3, v3, v7
	v_exp_f32_e32 v3, v3
	v_cvt_i32_f32_e32 v7, v8
	v_mov_b32_e32 v2, s9
	v_cndmask_b32_e64 v9, v2, v21, s[44:45]
	v_cmp_ngt_f32_e32 vcc, s8, v6
	v_ldexp_f32 v2, v3, v7
	v_cndmask_b32_e64 v4, v4, v4, s[44:45]
	v_cndmask_b32_e32 v7, 0, v2, vcc
	v_lshlrev_b64 v[2:3], 2, v[36:37]
	v_sub_f32_e32 v13, v4, v22
	v_mov_b32_e32 v4, s33
	v_add_co_u32_e32 v2, vcc, s50, v2
	v_addc_co_u32_e32 v3, vcc, v4, v3, vcc
	v_add_co_u32_e32 v2, vcc, v2, v43
	v_addc_co_u32_e32 v3, vcc, 0, v3, vcc
	s_waitcnt vmcnt(0) lgkmcnt(0)
	ds_write_b128 v44, v[46:49]
	v_cndmask_b32_e64 v3, v27, v3, s[36:37]
	v_cndmask_b32_e64 v2, v28, v2, s[36:37]
	;; [unrolled: 1-line block ×3, first 2 shown]
	flat_load_dwordx4 v[2:5], v[2:3]
	v_mul_f32_e32 v27, 0x3fb8aa3b, v13
	v_fma_f32 v28, v13, s41, -v27
	v_rndne_f32_e32 v29, v27
	v_fmac_f32_e32 v28, 0x32a5705f, v13
	v_sub_f32_e32 v27, v27, v29
	v_add_f32_e32 v27, v27, v28
	v_exp_f32_e32 v27, v27
	v_cvt_i32_f32_e32 v29, v29
	v_cmp_nlt_f32_e32 vcc, s40, v6
	v_cndmask_b32_e32 v28, v30, v7, vcc
	v_mov_b32_e32 v7, s9
	v_ldexp_f32 v6, v27, v29
	v_cmp_ngt_f32_e32 vcc, s8, v13
	v_cndmask_b32_e64 v36, v7, v28, s[10:11]
	v_cndmask_b32_e32 v6, 0, v6, vcc
	v_cmp_nlt_f32_e32 vcc, s40, v13
	v_sub_f32_e32 v7, v8, v22
	v_cndmask_b32_e32 v27, v30, v6, vcc
	v_mul_f32_e32 v6, 0x3fb8aa3b, v7
	v_fma_f32 v8, v7, s41, -v6
	v_rndne_f32_e32 v13, v6
	v_fmac_f32_e32 v8, 0x32a5705f, v7
	v_sub_f32_e32 v6, v6, v13
	v_add_f32_e32 v6, v6, v8
	v_sub_f32_e32 v29, v41, v22
	v_exp_f32_e32 v8, v6
	v_mul_f32_e32 v6, 0x3fb8aa3b, v29
	v_fma_f32 v31, v29, s41, -v6
	v_rndne_f32_e32 v37, v6
	v_fmac_f32_e32 v31, 0x32a5705f, v29
	v_sub_f32_e32 v6, v6, v37
	v_add_f32_e32 v6, v6, v31
	v_cvt_i32_f32_e32 v13, v13
	v_exp_f32_e32 v31, v6
	v_cvt_i32_f32_e32 v37, v37
	v_mov_b32_e32 v6, s9
	v_cndmask_b32_e64 v41, v6, v27, s[6:7]
	v_ldexp_f32 v6, v8, v13
	v_ldexp_f32 v8, v31, v37
	v_cmp_ngt_f32_e32 vcc, s8, v29
	v_cndmask_b32_e32 v8, 0, v8, vcc
	v_cmp_nlt_f32_e32 vcc, s40, v29
	s_mov_b32 s33, 0xc1a00000
	v_cndmask_b32_e32 v8, v30, v8, vcc
	v_cmp_le_f32_e32 vcc, s33, v29
	v_cndmask_b32_e32 v29, 0, v8, vcc
	v_cmp_ngt_f32_e32 vcc, s8, v7
	v_cvt_f16_f32_e32 v31, v29
	v_cndmask_b32_e32 v6, 0, v6, vcc
	v_cmp_nlt_f32_e32 vcc, s40, v7
	v_cndmask_b32_e32 v30, v30, v6, vcc
	v_mov_b32_e32 v7, s9
	v_cndmask_b32_e64 v44, v7, v30, s[4:5]
	v_cndmask_b32_e64 v46, v7, v26, s[12:13]
	;; [unrolled: 1-line block ×4, first 2 shown]
	v_mul_u32_u24_e32 v8, 0x58, v45
	v_mul_u32_u24_e32 v45, 0xb0, v45
	;; [unrolled: 1-line block ×3, first 2 shown]
	v_or_b32_e32 v48, v8, v100
	v_cvt_f16_f32_e32 v53, v7
	v_add3_u32 v7, 0, v45, v109
	v_cndmask_b32_e64 v0, 0, v0, s[42:43]
	v_pk_mul_f16 v37, v31, v116 op_sel_hi:[0,1]
	v_cvt_f16_f32_e32 v49, v52
	v_cvt_f16_f32_e32 v52, v32
	v_lshl_add_u32 v32, v48, 1, 0
	v_add3_u32 v48, 0, v18, v109
	s_mov_b32 s8, 0x5040100
	v_pk_mul_f16 v43, v31, v115 op_sel_hi:[0,1]
	v_cvt_f16_f32_e32 v8, v9
	v_cvt_f16_f32_e32 v9, v36
	v_cvt_f16_f32_e32 v13, v41
	v_cvt_f16_f32_e32 v41, v50
	v_cvt_f16_f32_e32 v50, v51
	v_cvt_f16_f32_e32 v51, v0
	v_cvt_f16_f32_e32 v33, v33
	v_cvt_f16_f32_e32 v40, v40
	v_cvt_f16_f32_e32 v38, v38
	s_waitcnt vmcnt(0) lgkmcnt(0)
	ds_write_b128 v19, v[2:5]
	s_waitcnt lgkmcnt(0)
	s_barrier
	ds_read_u16 v54, v7 offset:3024
	ds_read_u16 v5, v7 offset:352
	;; [unrolled: 1-line block ×5, first 2 shown]
	ds_read_u16 v18, v48
	ds_read_u16 v58, v48 offset:32
	ds_read_u16 v59, v48 offset:64
	ds_read_u16 v60, v48 offset:96
	ds_read_u16 v45, v7 offset:2992
	ds_read_u16 v61, v7 offset:480
	ds_read_u16 v62, v7 offset:304
	ds_read_u16 v63, v7 offset:8928
	v_cvt_f32_f16_e32 v2, v37
	v_cvt_f32_f16_sdwa v3, v37 dst_sel:DWORD dst_unused:UNUSED_PAD src0_sel:WORD_1
	s_waitcnt lgkmcnt(7)
	v_perm_b32 v37, v18, v5, s8
	ds_read_u16 v64, v32 offset:2848
	ds_read_u16 v65, v32 offset:2880
	ds_read_u16 v5, v32
	ds_read_u16 v66, v32 offset:32
	ds_read_u16 v67, v32 offset:64
	;; [unrolled: 1-line block ×10, first 2 shown]
	s_waitcnt lgkmcnt(6)
	v_perm_b32 v36, v18, v5, s8
	v_cvt_f32_f16_e32 v4, v43
	v_cvt_f32_f16_sdwa v5, v43 dst_sel:DWORD dst_unused:UNUSED_PAD src0_sel:WORD_1
	v_pack_b32_f16 v18, v51, v52
	v_pack_b32_f16 v19, v33, v53
	v_cvt_f16_f32_e32 v43, v47
	v_pack_b32_f16 v40, v40, v41
	v_mfma_f32_16x16x16f16 v[2:5], v[36:37], v[18:19], v[2:5]
	ds_read_u16 v33, v48 offset:5664
	ds_read_u16 v51, v7 offset:3056
	;; [unrolled: 1-line block ×16, first 2 shown]
	s_waitcnt lgkmcnt(5)
	v_perm_b32 v37, v36, v37, s8
	v_perm_b32 v36, v45, v72, s8
	v_pack_b32_f16 v41, v50, v43
	v_cvt_f16_f32_e32 v45, v46
	v_cvt_f16_f32_e32 v39, v39
	;; [unrolled: 1-line block ×7, first 2 shown]
	v_cvt_f32_f16_e32 v2, v2
	v_cvt_f32_f16_e32 v3, v3
	;; [unrolled: 1-line block ×4, first 2 shown]
	v_pack_b32_f16 v44, v38, v39
	v_pack_b32_f16 v45, v49, v45
	v_mfma_f32_16x16x16f16 v[2:5], v[36:37], v[40:41], v[2:5]
	ds_read_u16 v36, v7 offset:5984
	ds_read_u16 v43, v7 offset:6016
	;; [unrolled: 1-line block ×8, first 2 shown]
	s_waitcnt lgkmcnt(7)
	v_perm_b32 v37, v47, v36, s8
	ds_read_u16 v87, v32 offset:2912
	ds_read_u16 v36, v32 offset:5632
	;; [unrolled: 1-line block ×8, first 2 shown]
	s_waitcnt lgkmcnt(6)
	v_perm_b32 v36, v46, v36, s8
	v_pk_mul_f16 v6, v31, v117 op_sel_hi:[0,1]
	v_pk_mul_f16 v39, v31, v110 op_sel_hi:[0,1]
	v_pack_b32_f16 v46, v8, v9
	v_cvt_f16_f32_e32 v2, v2
	v_cvt_f16_f32_e32 v3, v3
	;; [unrolled: 1-line block ×4, first 2 shown]
	v_cvt_f32_f16_e32 v2, v2
	v_cvt_f32_f16_e32 v3, v3
	;; [unrolled: 1-line block ×4, first 2 shown]
	v_perm_b32 v9, v58, v55, s8
	v_perm_b32 v8, v69, v66, s8
	v_mfma_f32_16x16x16f16 v[2:5], v[36:37], v[44:45], v[2:5]
	ds_read_u16 v36, v7 offset:8800
	ds_read_u16 v49, v48 offset:5696
	;; [unrolled: 1-line block ×19, first 2 shown]
	v_perm_b32 v33, v33, v43, s8
	s_waitcnt lgkmcnt(11)
	v_perm_b32 v37, v37, v36, s8
	v_perm_b32 v36, v38, v47, s8
	v_cvt_f16_f32_e32 v2, v2
	v_cvt_f16_f32_e32 v3, v3
	;; [unrolled: 1-line block ×4, first 2 shown]
	v_cvt_f32_f16_e32 v2, v2
	v_cvt_f32_f16_e32 v3, v3
	;; [unrolled: 1-line block ×4, first 2 shown]
	v_pack_b32_f16 v47, v13, v114
	v_cvt_f32_f16_e32 v38, v39
	v_cvt_f32_f16_sdwa v39, v39 dst_sel:DWORD dst_unused:UNUSED_PAD src0_sel:WORD_1
	v_mfma_f32_16x16x16f16 v[2:5], v[36:37], v[46:47], v[2:5]
	v_cvt_f32_f16_e32 v36, v6
	v_cvt_f32_f16_sdwa v37, v6 dst_sel:DWORD dst_unused:UNUSED_PAD src0_sel:WORD_1
	v_perm_b32 v32, v72, v106, s8
	v_cmp_lt_u32_e32 vcc, 15, v93
	v_mfma_f32_16x16x16f16 v[36:39], v[8:9], v[18:19], v[36:39]
	s_nop 7
	s_nop 2
	v_cvt_f16_f32_e32 v8, v37
	v_cvt_f16_f32_e32 v9, v38
	;; [unrolled: 1-line block ×4, first 2 shown]
	v_cvt_f32_f16_e32 v37, v8
	v_cvt_f32_f16_e32 v38, v9
	v_perm_b32 v9, v53, v79, s8
	v_perm_b32 v8, v54, v64, s8
	v_cvt_f32_f16_e32 v36, v6
	v_cvt_f32_f16_e32 v39, v13
	v_add_f32_e32 v13, v14, v0
	v_cndmask_b32_e64 v0, v0, v13, s[34:35]
	v_pk_mul_f16 v14, v31, v108 op_sel_hi:[0,1]
	ds_read_u16 v53, v7 offset:8832
	ds_read_u16 v54, v7 offset:8864
	;; [unrolled: 1-line block ×3, first 2 shown]
	v_mfma_f32_16x16x16f16 v[6:9], v[8:9], v[40:41], v[36:39]
	v_add_f32_e32 v13, v0, v15
	v_perm_b32 v15, v59, v56, s8
	v_cndmask_b32_e64 v0, v0, v13, s[28:29]
	v_add_f32_e32 v13, v0, v16
	v_cndmask_b32_e64 v13, v0, v13, s[30:31]
	s_nop 1
	v_pk_mul_f16 v39, v31, v107 op_sel_hi:[0,1]
	v_cvt_f32_f16_e32 v36, v14
	v_cvt_f32_f16_sdwa v37, v14 dst_sel:DWORD dst_unused:UNUSED_PAD src0_sel:WORD_1
	v_perm_b32 v14, v70, v67, s8
	v_cvt_f32_f16_e32 v38, v39
	v_cvt_f32_f16_sdwa v39, v39 dst_sel:DWORD dst_unused:UNUSED_PAD src0_sel:WORD_1
	v_cvt_f16_f32_e32 v6, v6
	v_cvt_f16_f32_e32 v7, v7
	v_mfma_f32_16x16x16f16 v[36:39], v[14:15], v[18:19], v[36:39]
	v_cvt_f16_f32_e32 v8, v8
	v_cvt_f16_f32_e32 v9, v9
	v_cvt_f32_f16_e32 v6, v6
	v_cvt_f32_f16_e32 v7, v7
	;; [unrolled: 1-line block ×4, first 2 shown]
	s_waitcnt lgkmcnt(0)
	s_nop 3
	v_cvt_f16_f32_e32 v14, v37
	v_cvt_f16_f32_e32 v15, v38
	;; [unrolled: 1-line block ×4, first 2 shown]
	v_cvt_f32_f16_e32 v37, v14
	v_cvt_f32_f16_e32 v38, v15
	v_perm_b32 v15, v75, v80, s8
	v_perm_b32 v14, v51, v65, s8
	v_cvt_f32_f16_e32 v36, v0
	v_cvt_f32_f16_e32 v39, v16
	v_add_f32_e32 v0, v10, v13
	v_cndmask_b32_e64 v0, v13, v0, s[26:27]
	v_mfma_f32_16x16x16f16 v[36:39], v[14:15], v[40:41], v[36:39]
	v_perm_b32 v15, v49, v50, s8
	s_barrier
	s_barrier
	s_nop 7
	v_cvt_f16_f32_e32 v14, v38
	v_cvt_f16_f32_e32 v10, v36
	;; [unrolled: 1-line block ×4, first 2 shown]
	v_cvt_f32_f16_e32 v38, v14
	v_perm_b32 v14, v84, v109, s8
	v_cvt_f32_f16_e32 v36, v10
	v_cvt_f32_f16_e32 v37, v13
	;; [unrolled: 1-line block ×3, first 2 shown]
	v_add_f32_e32 v10, v11, v0
	v_cndmask_b32_e64 v0, v0, v10, s[24:25]
	v_mfma_f32_16x16x16f16 v[6:9], v[32:33], v[44:45], v[6:9]
	v_add_f32_e32 v16, v12, v0
	v_perm_b32 v33, v120, v53, s8
	v_perm_b32 v32, v116, v55, s8
	v_cndmask_b32_e64 v0, v0, v16, s[22:23]
	v_pk_mul_f16 v16, v31, v105 op_sel_hi:[0,1]
	s_nop 5
	v_cvt_f16_f32_e32 v6, v6
	v_mfma_f32_16x16x16f16 v[10:13], v[14:15], v[44:45], v[36:39]
	v_cvt_f16_f32_e32 v7, v7
	v_cvt_f16_f32_e32 v8, v8
	;; [unrolled: 1-line block ×3, first 2 shown]
	v_perm_b32 v15, v121, v54, s8
	v_perm_b32 v14, v117, v58, s8
	v_cvt_f32_f16_e32 v6, v6
	v_cvt_f32_f16_e32 v7, v7
	s_nop 3
	v_cvt_f16_f32_e32 v10, v10
	v_cvt_f16_f32_e32 v11, v11
	;; [unrolled: 1-line block ×4, first 2 shown]
	v_cvt_f32_f16_e32 v8, v8
	v_cvt_f32_f16_e32 v9, v9
	;; [unrolled: 1-line block ×6, first 2 shown]
	v_mfma_f32_16x16x16f16 v[6:9], v[32:33], v[46:47], v[6:9]
	v_pk_mul_f16 v32, v31, v104 op_sel_hi:[0,1]
	v_cvt_f32_f16_e32 v36, v16
	v_cvt_f32_f16_sdwa v37, v16 dst_sel:DWORD dst_unused:UNUSED_PAD src0_sel:WORD_1
	v_cvt_f32_f16_e32 v38, v32
	v_cvt_f32_f16_sdwa v39, v32 dst_sel:DWORD dst_unused:UNUSED_PAD src0_sel:WORD_1
	v_add_f32_e32 v16, v20, v0
	v_cndmask_b32_e64 v16, v0, v16, s[20:21]
	v_mfma_f32_16x16x16f16 v[10:13], v[14:15], v[46:47], v[10:13]
	v_perm_b32 v15, v60, v57, s8
	v_perm_b32 v14, v71, v68, s8
	;; [unrolled: 1-line block ×4, first 2 shown]
	v_mfma_f32_16x16x16f16 v[36:39], v[14:15], v[18:19], v[36:39]
	s_nop 7
	s_nop 2
	v_cvt_f16_f32_e32 v14, v37
	v_cvt_f16_f32_e32 v15, v38
	v_cvt_f16_f32_e32 v0, v36
	v_cvt_f16_f32_e32 v20, v39
	v_cvt_f32_f16_e32 v37, v14
	v_cvt_f32_f16_e32 v38, v15
	v_perm_b32 v15, v76, v81, s8
	v_perm_b32 v14, v52, v87, s8
	v_cvt_f32_f16_e32 v36, v0
	v_cvt_f32_f16_e32 v39, v20
	v_add_f32_e32 v0, v17, v16
	v_cndmask_b32_e64 v0, v16, v0, s[18:19]
	v_mfma_f32_16x16x16f16 v[14:17], v[14:15], v[40:41], v[36:39]
	v_add_f32_e32 v20, v24, v0
	v_cndmask_b32_e64 v0, v0, v20, s[14:15]
	v_add_f32_e32 v20, v25, v0
	v_perm_b32 v25, v122, v64, s8
	v_perm_b32 v24, v118, v66, s8
	v_cndmask_b32_e64 v0, v0, v20, s[16:17]
	v_add_f32_e32 v20, v26, v0
	s_nop 3
	v_cvt_f16_f32_e32 v14, v14
	v_cvt_f16_f32_e32 v15, v15
	;; [unrolled: 1-line block ×4, first 2 shown]
	v_cvt_f32_f16_e32 v14, v14
	v_cvt_f32_f16_e32 v15, v15
	;; [unrolled: 1-line block ×4, first 2 shown]
	v_pk_mul_f16 v26, v31, v103 op_sel_hi:[0,1]
	v_pk_mul_f16 v31, v31, v102 op_sel_hi:[0,1]
	v_mfma_f32_16x16x16f16 v[14:17], v[32:33], v[44:45], v[14:17]
	v_cvt_f32_f16_e32 v36, v26
	v_cvt_f32_f16_sdwa v37, v26 dst_sel:DWORD dst_unused:UNUSED_PAD src0_sel:WORD_1
	v_cvt_f32_f16_e32 v38, v31
	v_cvt_f32_f16_sdwa v39, v31 dst_sel:DWORD dst_unused:UNUSED_PAD src0_sel:WORD_1
	v_cndmask_b32_e64 v26, v0, v20, s[12:13]
	v_add_f32_e32 v0, v21, v26
	v_cndmask_b32_e64 v0, v26, v0, s[44:45]
	s_nop 3
	v_cvt_f16_f32_e32 v14, v14
	v_cvt_f16_f32_e32 v15, v15
	;; [unrolled: 1-line block ×4, first 2 shown]
	v_cvt_f32_f16_e32 v14, v14
	v_cvt_f32_f16_e32 v15, v15
	;; [unrolled: 1-line block ×4, first 2 shown]
	v_add_f32_e32 v26, v28, v0
	v_cndmask_b32_e64 v0, v0, v26, s[10:11]
	v_mfma_f32_16x16x16f16 v[14:17], v[24:25], v[46:47], v[14:17]
	v_perm_b32 v25, v78, v61, s8
	v_perm_b32 v24, v62, v73, s8
	v_add_f32_e32 v26, v27, v0
	v_cndmask_b32_e64 v0, v0, v26, s[6:7]
	v_add_f32_e32 v26, v30, v0
	v_cndmask_b32_e64 v0, v0, v26, s[4:5]
	v_fmac_f32_e32 v0, v119, v29
	v_mfma_f32_16x16x16f16 v[18:21], v[24:25], v[18:19], v[36:39]
	v_perm_b32 v25, v77, v82, s8
	v_perm_b32 v24, v83, v113, s8
	ds_bpermute_b32 v1, v1, v0
	s_waitcnt lgkmcnt(0)
	v_add_f32_e32 v1, v0, v1
	ds_bpermute_b32 v23, v23, v1
	s_nop 4
	v_cvt_f16_f32_e32 v18, v18
	v_cvt_f16_f32_e32 v19, v19
	;; [unrolled: 1-line block ×4, first 2 shown]
	v_cvt_f32_f16_e32 v18, v18
	v_cvt_f32_f16_e32 v19, v19
	;; [unrolled: 1-line block ×4, first 2 shown]
                                        ; implicit-def: $vgpr0
	s_nop 1
	v_mfma_f32_16x16x16f16 v[18:21], v[24:25], v[40:41], v[18:21]
	v_perm_b32 v25, v48, v126, s8
	v_perm_b32 v24, v86, v112, s8
	s_nop 7
	s_nop 0
	v_cvt_f16_f32_e32 v18, v18
	v_cvt_f16_f32_e32 v19, v19
	;; [unrolled: 1-line block ×4, first 2 shown]
	v_cvt_f32_f16_e32 v18, v18
	v_cvt_f32_f16_e32 v19, v19
	;; [unrolled: 1-line block ×4, first 2 shown]
	s_nop 1
	v_mfma_f32_16x16x16f16 v[18:21], v[24:25], v[44:45], v[18:21]
	v_perm_b32 v25, v123, v63, s8
	v_perm_b32 v24, v124, v74, s8
	s_nop 7
	s_nop 0
	v_cvt_f16_f32_e32 v18, v18
	v_cvt_f16_f32_e32 v19, v19
	;; [unrolled: 1-line block ×4, first 2 shown]
	v_cvt_f32_f16_e32 v18, v18
	v_cvt_f32_f16_e32 v19, v19
	;; [unrolled: 1-line block ×4, first 2 shown]
	s_nop 1
	v_mfma_f32_16x16x16f16 v[18:21], v[24:25], v[46:47], v[18:21]
	s_and_saveexec_b64 s[4:5], vcc
	s_xor_b64 s[4:5], exec, s[4:5]
; %bb.413:
	v_lshlrev_b32_e32 v0, 4, v35
                                        ; implicit-def: $vgpr1
                                        ; implicit-def: $vgpr23
                                        ; implicit-def: $vgpr35
                                        ; implicit-def: $vgpr93
                                        ; implicit-def: $vgpr22
; %bb.414:
	s_andn2_saveexec_b64 s[4:5], s[4:5]
	s_cbranch_execz .LBB9_416
; %bb.415:
	v_readlane_b32 s6, v253, 19
	s_add_i32 s6, s6, s53
	s_lshl_b32 s6, s6, 6
	s_mov_b32 s7, 0
	v_lshlrev_b32_e32 v0, 4, v35
	s_lshl_b64 s[6:7], s[6:7], 3
	s_waitcnt lgkmcnt(0)
	v_add_f32_e32 v23, v1, v23
	v_or_b32_e32 v1, v0, v93
	s_add_u32 s6, s54, s6
	s_addc_u32 s7, s55, s7
	v_lshlrev_b32_e32 v1, 3, v1
	global_store_dwordx2 v1, v[22:23], s[6:7]
.LBB9_416:
	s_or_b64 exec, exec, s[4:5]
	v_readlane_b32 s6, v253, 8
	v_readlane_b32 s7, v253, 9
	v_cvt_f16_f32_e32 v1, v2
	v_cvt_f16_f32_e32 v2, v3
	;; [unrolled: 1-line block ×8, first 2 shown]
	s_load_dword s4, s[6:7], 0x0
	s_load_dword s5, s[6:7], 0x10
	v_pack_b32_f16 v3, v3, v4
	v_pack_b32_f16 v1, v1, v2
	;; [unrolled: 1-line block ×4, first 2 shown]
	v_cvt_f16_f32_e32 v5, v10
	v_cvt_f16_f32_e32 v6, v11
	;; [unrolled: 1-line block ×8, first 2 shown]
	s_waitcnt lgkmcnt(0)
	s_lshr_b32 s6, s5, 16
	s_cmp_lg_u32 s6, 0
	s_cselect_b64 s[6:7], -1, 0
	v_pack_b32_f16 v7, v7, v8
	v_pack_b32_f16 v5, v5, v6
	;; [unrolled: 1-line block ×4, first 2 shown]
	v_cvt_f16_f32_e32 v9, v18
	v_cvt_f16_f32_e32 v10, v20
	;; [unrolled: 1-line block ×4, first 2 shown]
	s_cmp_lg_u64 s[6:7], 0
	v_or_b32_e32 v0, v0, v100
	s_addc_u32 s4, s4, 0
	v_mad_i32_i24 v0, v0, 44, v101
	s_mov_b32 s5, 0
	s_lshl_b32 s4, s4, 7
	s_lshl_b64 s[6:7], s[4:5], 3
	v_lshl_add_u32 v0, v0, 2, 0
	v_pack_b32_f16 v10, v10, v11
	v_pack_b32_f16 v9, v9, v12
	s_add_u32 s6, s54, s6
	s_mul_i32 s4, s53, 0xa00
	ds_write2_b32 v0, v1, v3 offset1:1
	ds_write2_b32 v0, v4, v2 offset0:8 offset1:9
	ds_write2_b32 v0, v5, v7 offset0:16 offset1:17
	;; [unrolled: 1-line block ×4, first 2 shown]
	v_lshl_add_u32 v6, v88, 2, 0
	s_addc_u32 s7, s55, s7
	s_lshl_b64 s[4:5], s[4:5], 3
	s_waitcnt lgkmcnt(0)
	s_barrier
	ds_read_b32 v8, v6
	s_add_u32 s4, s6, s4
	v_and_b32_e32 v4, 15, v90
	s_movk_i32 s6, 0x1ff0
	v_and_or_b32 v5, v92, s6, v4
	v_and_or_b32 v7, v95, s6, v4
	;; [unrolled: 1-line block ×3, first 2 shown]
	v_mad_u32_u24 v5, v5, 44, v34
	v_mad_u32_u24 v4, v4, 44, v34
	v_lshl_add_u32 v5, v5, 2, 0
	v_mad_u32_u24 v7, v7, 44, v34
	v_lshl_add_u32 v4, v4, 2, 0
	v_lshlrev_b32_e32 v0, 2, v90
	v_lshl_add_u32 v7, v7, 2, 0
	ds_read_b32 v9, v5
	ds_read_b32 v11, v7
	ds_read_b32 v12, v4
	s_waitcnt lgkmcnt(3)
	v_cvt_f32_f16_e32 v4, v8
	v_cvt_f32_f16_sdwa v5, v8 dst_sel:DWORD dst_unused:UNUSED_PAD src0_sel:WORD_1
	v_sub_u32_e32 v0, v88, v0
	v_mov_b32_e32 v1, 0
	s_addc_u32 s5, s7, s5
	v_lshlrev_b64 v[2:3], 3, v[0:1]
	v_mov_b32_e32 v0, s5
	v_add_co_u32_e32 v2, vcc, s4, v2
	v_addc_co_u32_e32 v3, vcc, v0, v3, vcc
	v_pk_add_f32 v[4:5], v[4:5], 0 op_sel_hi:[1,0]
	v_add_u32_e32 v14, 0x80, v6
	global_store_dwordx2 v[2:3], v[4:5], off
	ds_read2st64_b32 v[2:3], v14 offset0:5 offset1:16
	v_add_u32_e32 v13, 0x160, v88
	v_lshlrev_b32_e32 v0, 2, v89
	v_sub_u32_e32 v0, v13, v0
	s_waitcnt lgkmcnt(3)
	v_cvt_f32_f16_e32 v8, v9
	s_waitcnt lgkmcnt(0)
	v_cvt_f32_f16_e32 v6, v2
	v_cvt_f32_f16_sdwa v7, v2 dst_sel:DWORD dst_unused:UNUSED_PAD src0_sel:WORD_1
	v_cvt_f32_f16_sdwa v9, v9 dst_sel:DWORD dst_unused:UNUSED_PAD src0_sel:WORD_1
	v_lshlrev_b64 v[4:5], 3, v[0:1]
	v_mul_u32_u24_e32 v10, 40, v90
	v_mov_b32_e32 v0, s5
	v_add_co_u32_e32 v4, vcc, s4, v4
	v_addc_co_u32_e32 v5, vcc, v0, v5, vcc
	v_pk_add_f32 v[6:7], v[6:7], 0 op_sel_hi:[1,0]
	v_add_lshl_u32 v10, v10, v34, 3
	global_store_dwordx2 v[4:5], v[6:7], off
	v_add_u32_e32 v0, 0x1400, v10
	v_pk_add_f32 v[4:5], v[8:9], 0 op_sel_hi:[1,0]
	global_store_dwordx2 v0, v[4:5], s[4:5]
	v_lshlrev_b32_e32 v0, 2, v91
	v_sub_u32_e32 v0, v13, v0
	v_cvt_f32_f16_e32 v2, v3
	v_cvt_f32_f16_sdwa v3, v3 dst_sel:DWORD dst_unused:UNUSED_PAD src0_sel:WORD_1
	v_add_u32_e32 v0, 0x2c0, v0
	v_cvt_f32_f16_e32 v6, v11
	v_cvt_f32_f16_sdwa v7, v11 dst_sel:DWORD dst_unused:UNUSED_PAD src0_sel:WORD_1
	v_lshlrev_b64 v[4:5], 3, v[0:1]
	v_mov_b32_e32 v0, s5
	v_add_co_u32_e32 v4, vcc, s4, v4
	v_addc_co_u32_e32 v5, vcc, v0, v5, vcc
	v_pk_add_f32 v[2:3], v[2:3], 0 op_sel_hi:[1,0]
	global_store_dwordx2 v[4:5], v[2:3], off
	v_add_u32_e32 v0, 0x2800, v10
	v_pk_add_f32 v[2:3], v[6:7], 0 op_sel_hi:[1,0]
	global_store_dwordx2 v0, v[2:3], s[4:5]
	ds_read2st64_b32 v[2:3], v14 offset0:27 offset1:38
	v_add_u32_e32 v11, 0x6e0, v88
	v_lshlrev_b32_e32 v0, 2, v94
	v_sub_u32_e32 v0, v11, v0
	v_cvt_f32_f16_e32 v8, v12
	s_waitcnt lgkmcnt(0)
	v_cvt_f32_f16_e32 v6, v2
	v_cvt_f32_f16_sdwa v7, v2 dst_sel:DWORD dst_unused:UNUSED_PAD src0_sel:WORD_1
	v_cvt_f32_f16_sdwa v9, v12 dst_sel:DWORD dst_unused:UNUSED_PAD src0_sel:WORD_1
	v_lshlrev_b64 v[4:5], 3, v[0:1]
	v_mov_b32_e32 v0, s5
	v_add_co_u32_e32 v4, vcc, s4, v4
	v_addc_co_u32_e32 v5, vcc, v0, v5, vcc
	v_pk_add_f32 v[6:7], v[6:7], 0 op_sel_hi:[1,0]
	global_store_dwordx2 v[4:5], v[6:7], off
	v_add_u32_e32 v0, 0x3c00, v10
	v_pk_add_f32 v[4:5], v[8:9], 0 op_sel_hi:[1,0]
	global_store_dwordx2 v0, v[4:5], s[4:5]
	v_lshlrev_b32_e32 v0, 2, v96
	v_sub_u32_e32 v0, v11, v0
	v_add_u32_e32 v0, 0x2c0, v0
	v_lshlrev_b64 v[0:1], 3, v[0:1]
	v_mov_b32_e32 v2, s5
	v_add_co_u32_e32 v0, vcc, s4, v0
	v_lshl_add_u32 v4, v98, 2, v42
	v_addc_co_u32_e32 v1, vcc, v2, v1, vcc
	v_cvt_f32_f16_e32 v2, v3
	v_cvt_f32_f16_sdwa v3, v3 dst_sel:DWORD dst_unused:UNUSED_PAD src0_sel:WORD_1
	v_add_u32_e32 v4, 0x80, v4
	ds_read2st64_b32 v[4:5], v4 offset1:22
	v_pk_add_f32 v[2:3], v[2:3], 0 op_sel_hi:[1,0]
	global_store_dwordx2 v[0:1], v[2:3], off
	v_mul_u32_u24_e32 v0, 40, v99
	v_or_b32_e32 v2, v0, v98
	s_waitcnt lgkmcnt(0)
	v_cvt_f32_f16_e32 v0, v4
	v_cvt_f32_f16_sdwa v1, v4 dst_sel:DWORD dst_unused:UNUSED_PAD src0_sel:WORD_1
	v_lshlrev_b32_e32 v4, 3, v2
	v_cvt_f32_f16_e32 v2, v5
	v_cvt_f32_f16_sdwa v3, v5 dst_sel:DWORD dst_unused:UNUSED_PAD src0_sel:WORD_1
	v_pk_add_f32 v[0:1], v[0:1], 0 op_sel_hi:[1,0]
	global_store_dwordx2 v4, v[0:1], s[4:5] offset:256
	v_add_u32_e32 v4, 0x2800, v4
	v_pk_add_f32 v[0:1], v[2:3], 0 op_sel_hi:[1,0]
	global_store_dwordx2 v4, v[0:1], s[4:5] offset:256
	s_endpgm
.LBB9_417:
                                        ; implicit-def: $vgpr14_vgpr15_vgpr16_vgpr17
                                        ; implicit-def: $vgpr10_vgpr11_vgpr12_vgpr13
                                        ; implicit-def: $vgpr6_vgpr7_vgpr8_vgpr9
                                        ; implicit-def: $vgpr2_vgpr3_vgpr4_vgpr5
                                        ; implicit-def: $vgpr48
                                        ; implicit-def: $vgpr56
                                        ; implicit-def: $vgpr50
                                        ; implicit-def: $vgpr57
                                        ; implicit-def: $vgpr54
                                        ; implicit-def: $vgpr55
	s_branch .LBB9_409
	.section	.rodata,"a",@progbits
	.p2align	6, 0x0
	.amdhsa_kernel _ZL18flash_attn_ext_f16ILi80ELi80ELi64ELi1ELb0ELb0EEvPKcS1_S1_S1_S1_PKiPfP15HIP_vector_typeIfLj2EEffffjfiS5_IjLj3EEiiiiiiiiiiiliiliiiiil
		.amdhsa_group_segment_fixed_size 0
		.amdhsa_private_segment_fixed_size 32
		.amdhsa_kernarg_size 464
		.amdhsa_user_sgpr_count 8
		.amdhsa_user_sgpr_private_segment_buffer 1
		.amdhsa_user_sgpr_dispatch_ptr 0
		.amdhsa_user_sgpr_queue_ptr 0
		.amdhsa_user_sgpr_kernarg_segment_ptr 1
		.amdhsa_user_sgpr_dispatch_id 0
		.amdhsa_user_sgpr_flat_scratch_init 1
		.amdhsa_user_sgpr_kernarg_preload_length 0
		.amdhsa_user_sgpr_kernarg_preload_offset 0
		.amdhsa_user_sgpr_private_segment_size 0
		.amdhsa_uses_dynamic_stack 0
		.amdhsa_system_sgpr_private_segment_wavefront_offset 1
		.amdhsa_system_sgpr_workgroup_id_x 1
		.amdhsa_system_sgpr_workgroup_id_y 0
		.amdhsa_system_sgpr_workgroup_id_z 0
		.amdhsa_system_sgpr_workgroup_info 0
		.amdhsa_system_vgpr_workitem_id 1
		.amdhsa_next_free_vgpr 256
		.amdhsa_next_free_sgpr 100
		.amdhsa_accum_offset 256
		.amdhsa_reserve_vcc 1
		.amdhsa_reserve_flat_scratch 1
		.amdhsa_float_round_mode_32 0
		.amdhsa_float_round_mode_16_64 0
		.amdhsa_float_denorm_mode_32 3
		.amdhsa_float_denorm_mode_16_64 3
		.amdhsa_dx10_clamp 1
		.amdhsa_ieee_mode 1
		.amdhsa_fp16_overflow 0
		.amdhsa_tg_split 0
		.amdhsa_exception_fp_ieee_invalid_op 0
		.amdhsa_exception_fp_denorm_src 0
		.amdhsa_exception_fp_ieee_div_zero 0
		.amdhsa_exception_fp_ieee_overflow 0
		.amdhsa_exception_fp_ieee_underflow 0
		.amdhsa_exception_fp_ieee_inexact 0
		.amdhsa_exception_int_div_zero 0
	.end_amdhsa_kernel
	.section	.text._ZL18flash_attn_ext_f16ILi80ELi80ELi64ELi1ELb0ELb0EEvPKcS1_S1_S1_S1_PKiPfP15HIP_vector_typeIfLj2EEffffjfiS5_IjLj3EEiiiiiiiiiiiliiliiiiil,"axG",@progbits,_ZL18flash_attn_ext_f16ILi80ELi80ELi64ELi1ELb0ELb0EEvPKcS1_S1_S1_S1_PKiPfP15HIP_vector_typeIfLj2EEffffjfiS5_IjLj3EEiiiiiiiiiiiliiliiiiil,comdat
.Lfunc_end9:
	.size	_ZL18flash_attn_ext_f16ILi80ELi80ELi64ELi1ELb0ELb0EEvPKcS1_S1_S1_S1_PKiPfP15HIP_vector_typeIfLj2EEffffjfiS5_IjLj3EEiiiiiiiiiiiliiliiiiil, .Lfunc_end9-_ZL18flash_attn_ext_f16ILi80ELi80ELi64ELi1ELb0ELb0EEvPKcS1_S1_S1_S1_PKiPfP15HIP_vector_typeIfLj2EEffffjfiS5_IjLj3EEiiiiiiiiiiiliiliiiiil
                                        ; -- End function
	.section	.AMDGPU.csdata,"",@progbits
; Kernel info:
; codeLenInByte = 69864
; NumSgprs: 106
; NumVgprs: 256
; NumAgprs: 0
; TotalNumVgprs: 256
; ScratchSize: 32
; MemoryBound: 0
; FloatMode: 240
; IeeeMode: 1
; LDSByteSize: 0 bytes/workgroup (compile time only)
; SGPRBlocks: 13
; VGPRBlocks: 31
; NumSGPRsForWavesPerEU: 106
; NumVGPRsForWavesPerEU: 256
; AccumOffset: 256
; Occupancy: 2
; WaveLimiterHint : 0
; COMPUTE_PGM_RSRC2:SCRATCH_EN: 1
; COMPUTE_PGM_RSRC2:USER_SGPR: 8
; COMPUTE_PGM_RSRC2:TRAP_HANDLER: 0
; COMPUTE_PGM_RSRC2:TGID_X_EN: 1
; COMPUTE_PGM_RSRC2:TGID_Y_EN: 0
; COMPUTE_PGM_RSRC2:TGID_Z_EN: 0
; COMPUTE_PGM_RSRC2:TIDIG_COMP_CNT: 1
; COMPUTE_PGM_RSRC3_GFX90A:ACCUM_OFFSET: 63
; COMPUTE_PGM_RSRC3_GFX90A:TG_SPLIT: 0
	.section	.text._ZL18flash_attn_ext_f16ILi80ELi80ELi64ELi1ELb1ELb0EEvPKcS1_S1_S1_S1_PKiPfP15HIP_vector_typeIfLj2EEffffjfiS5_IjLj3EEiiiiiiiiiiiliiliiiiil,"axG",@progbits,_ZL18flash_attn_ext_f16ILi80ELi80ELi64ELi1ELb1ELb0EEvPKcS1_S1_S1_S1_PKiPfP15HIP_vector_typeIfLj2EEffffjfiS5_IjLj3EEiiiiiiiiiiiliiliiiiil,comdat
	.globl	_ZL18flash_attn_ext_f16ILi80ELi80ELi64ELi1ELb1ELb0EEvPKcS1_S1_S1_S1_PKiPfP15HIP_vector_typeIfLj2EEffffjfiS5_IjLj3EEiiiiiiiiiiiliiliiiiil ; -- Begin function _ZL18flash_attn_ext_f16ILi80ELi80ELi64ELi1ELb1ELb0EEvPKcS1_S1_S1_S1_PKiPfP15HIP_vector_typeIfLj2EEffffjfiS5_IjLj3EEiiiiiiiiiiiliiliiiiil
	.p2align	8
	.type	_ZL18flash_attn_ext_f16ILi80ELi80ELi64ELi1ELb1ELb0EEvPKcS1_S1_S1_S1_PKiPfP15HIP_vector_typeIfLj2EEffffjfiS5_IjLj3EEiiiiiiiiiiiliiliiiiil,@function
_ZL18flash_attn_ext_f16ILi80ELi80ELi64ELi1ELb1ELb0EEvPKcS1_S1_S1_S1_PKiPfP15HIP_vector_typeIfLj2EEffffjfiS5_IjLj3EEiiiiiiiiiiiliiliiiiil: ; @_ZL18flash_attn_ext_f16ILi80ELi80ELi64ELi1ELb1ELb0EEvPKcS1_S1_S1_S1_PKiPfP15HIP_vector_typeIfLj2EEffffjfiS5_IjLj3EEiiiiiiiiiiiliiliiiiil
; %bb.0:
	s_add_u32 flat_scratch_lo, s6, s9
	s_addc_u32 flat_scratch_hi, s7, 0
	s_add_u32 s0, s0, s9
	s_addc_u32 s1, s1, 0
	s_add_u32 s8, s4, 0xd0
	s_addc_u32 s9, s5, 0
	s_mov_b32 s32, 0
	s_getpc_b64 s[4:5]
	s_add_u32 s4, s4, _ZL14no_device_codePKciS0_iS0_@rel32@lo+4
	s_addc_u32 s5, s5, _ZL14no_device_codePKciS0_iS0_@rel32@hi+12
	s_swappc_b64 s[30:31], s[4:5]
	.section	.rodata,"a",@progbits
	.p2align	6, 0x0
	.amdhsa_kernel _ZL18flash_attn_ext_f16ILi80ELi80ELi64ELi1ELb1ELb0EEvPKcS1_S1_S1_S1_PKiPfP15HIP_vector_typeIfLj2EEffffjfiS5_IjLj3EEiiiiiiiiiiiliiliiiiil
		.amdhsa_group_segment_fixed_size 0
		.amdhsa_private_segment_fixed_size 16
		.amdhsa_kernarg_size 464
		.amdhsa_user_sgpr_count 8
		.amdhsa_user_sgpr_private_segment_buffer 1
		.amdhsa_user_sgpr_dispatch_ptr 0
		.amdhsa_user_sgpr_queue_ptr 0
		.amdhsa_user_sgpr_kernarg_segment_ptr 1
		.amdhsa_user_sgpr_dispatch_id 0
		.amdhsa_user_sgpr_flat_scratch_init 1
		.amdhsa_user_sgpr_kernarg_preload_length 0
		.amdhsa_user_sgpr_kernarg_preload_offset 0
		.amdhsa_user_sgpr_private_segment_size 0
		.amdhsa_uses_dynamic_stack 0
		.amdhsa_system_sgpr_private_segment_wavefront_offset 1
		.amdhsa_system_sgpr_workgroup_id_x 1
		.amdhsa_system_sgpr_workgroup_id_y 0
		.amdhsa_system_sgpr_workgroup_id_z 0
		.amdhsa_system_sgpr_workgroup_info 0
		.amdhsa_system_vgpr_workitem_id 0
		.amdhsa_next_free_vgpr 39
		.amdhsa_next_free_sgpr 34
		.amdhsa_accum_offset 40
		.amdhsa_reserve_vcc 1
		.amdhsa_reserve_flat_scratch 1
		.amdhsa_float_round_mode_32 0
		.amdhsa_float_round_mode_16_64 0
		.amdhsa_float_denorm_mode_32 3
		.amdhsa_float_denorm_mode_16_64 3
		.amdhsa_dx10_clamp 1
		.amdhsa_ieee_mode 1
		.amdhsa_fp16_overflow 0
		.amdhsa_tg_split 0
		.amdhsa_exception_fp_ieee_invalid_op 0
		.amdhsa_exception_fp_denorm_src 0
		.amdhsa_exception_fp_ieee_div_zero 0
		.amdhsa_exception_fp_ieee_overflow 0
		.amdhsa_exception_fp_ieee_underflow 0
		.amdhsa_exception_fp_ieee_inexact 0
		.amdhsa_exception_int_div_zero 0
	.end_amdhsa_kernel
	.section	.text._ZL18flash_attn_ext_f16ILi80ELi80ELi64ELi1ELb1ELb0EEvPKcS1_S1_S1_S1_PKiPfP15HIP_vector_typeIfLj2EEffffjfiS5_IjLj3EEiiiiiiiiiiiliiliiiiil,"axG",@progbits,_ZL18flash_attn_ext_f16ILi80ELi80ELi64ELi1ELb1ELb0EEvPKcS1_S1_S1_S1_PKiPfP15HIP_vector_typeIfLj2EEffffjfiS5_IjLj3EEiiiiiiiiiiiliiliiiiil,comdat
.Lfunc_end10:
	.size	_ZL18flash_attn_ext_f16ILi80ELi80ELi64ELi1ELb1ELb0EEvPKcS1_S1_S1_S1_PKiPfP15HIP_vector_typeIfLj2EEffffjfiS5_IjLj3EEiiiiiiiiiiiliiliiiiil, .Lfunc_end10-_ZL18flash_attn_ext_f16ILi80ELi80ELi64ELi1ELb1ELb0EEvPKcS1_S1_S1_S1_PKiPfP15HIP_vector_typeIfLj2EEffffjfiS5_IjLj3EEiiiiiiiiiiiliiliiiiil
                                        ; -- End function
	.section	.AMDGPU.csdata,"",@progbits
; Kernel info:
; codeLenInByte = 56
; NumSgprs: 40
; NumVgprs: 39
; NumAgprs: 0
; TotalNumVgprs: 39
; ScratchSize: 16
; MemoryBound: 0
; FloatMode: 240
; IeeeMode: 1
; LDSByteSize: 0 bytes/workgroup (compile time only)
; SGPRBlocks: 4
; VGPRBlocks: 4
; NumSGPRsForWavesPerEU: 40
; NumVGPRsForWavesPerEU: 39
; AccumOffset: 40
; Occupancy: 8
; WaveLimiterHint : 1
; COMPUTE_PGM_RSRC2:SCRATCH_EN: 1
; COMPUTE_PGM_RSRC2:USER_SGPR: 8
; COMPUTE_PGM_RSRC2:TRAP_HANDLER: 0
; COMPUTE_PGM_RSRC2:TGID_X_EN: 1
; COMPUTE_PGM_RSRC2:TGID_Y_EN: 0
; COMPUTE_PGM_RSRC2:TGID_Z_EN: 0
; COMPUTE_PGM_RSRC2:TIDIG_COMP_CNT: 0
; COMPUTE_PGM_RSRC3_GFX90A:ACCUM_OFFSET: 9
; COMPUTE_PGM_RSRC3_GFX90A:TG_SPLIT: 0
	.section	.text._ZL33flash_attn_stream_k_fixup_uniformILi80ELi64ELi1EEvPfPK15HIP_vector_typeIfLj2EEiiiiiiS1_IjLj3EES5_S5_,"axG",@progbits,_ZL33flash_attn_stream_k_fixup_uniformILi80ELi64ELi1EEvPfPK15HIP_vector_typeIfLj2EEiiiiiiS1_IjLj3EES5_S5_,comdat
	.globl	_ZL33flash_attn_stream_k_fixup_uniformILi80ELi64ELi1EEvPfPK15HIP_vector_typeIfLj2EEiiiiiiS1_IjLj3EES5_S5_ ; -- Begin function _ZL33flash_attn_stream_k_fixup_uniformILi80ELi64ELi1EEvPfPK15HIP_vector_typeIfLj2EEiiiiiiS1_IjLj3EES5_S5_
	.p2align	8
	.type	_ZL33flash_attn_stream_k_fixup_uniformILi80ELi64ELi1EEvPfPK15HIP_vector_typeIfLj2EEiiiiiiS1_IjLj3EES5_S5_,@function
_ZL33flash_attn_stream_k_fixup_uniformILi80ELi64ELi1EEvPfPK15HIP_vector_typeIfLj2EEiiiiiiS1_IjLj3EES5_S5_: ; @_ZL33flash_attn_stream_k_fixup_uniformILi80ELi64ELi1EEvPfPK15HIP_vector_typeIfLj2EEiiiiiiS1_IjLj3EES5_S5_
; %bb.0:
	s_load_dwordx8 s[12:19], s[4:5], 0x1c
	s_load_dwordx2 s[10:11], s[4:5], 0x10
	s_load_dwordx4 s[0:3], s[4:5], 0x3c
	s_waitcnt lgkmcnt(0)
	s_mul_hi_u32 s9, s15, s6
	s_add_i32 s9, s6, s9
	s_lshr_b32 s9, s9, s16
	s_mul_i32 s15, s9, s17
	s_sub_i32 s16, s6, s15
	s_mul_hi_u32 s15, s16, s18
	s_add_i32 s15, s16, s15
	s_lshr_b32 s15, s15, s19
	s_mul_i32 s0, s15, s0
	s_sub_i32 s0, s16, s0
	;; [unrolled: 5-line block ×3, first 2 shown]
	s_lshl_b32 s0, s16, 6
	s_add_i32 s0, s0, s7
	s_cmp_lt_i32 s0, s10
	s_cselect_b64 s[0:1], -1, 0
	s_add_i32 s17, s17, s8
	s_cmp_lt_i32 s17, s13
	s_cselect_b64 s[2:3], -1, 0
	s_and_b64 s[0:1], s[0:1], s[2:3]
	s_andn2_b64 vcc, exec, s[0:1]
	s_cbranch_vccnz .LBB11_6
; %bb.1:
	s_load_dwordx4 s[0:3], s[4:5], 0x0
	s_mul_i32 s4, s9, s10
	s_mul_i32 s15, s15, s13
	s_add_i32 s4, s4, s7
	s_mul_i32 s5, s11, s16
	s_mul_i32 s4, s4, s11
	s_add_i32 s9, s17, s15
	s_mulk_i32 s5, 0x1400
	s_add_i32 s4, s9, s4
	s_mulk_i32 s4, 0x50
	v_or_b32_e32 v1, s5, v0
	v_add_u32_e32 v2, s4, v1
	v_ashrrev_i32_e32 v3, 31, v2
	v_lshlrev_b64 v[2:3], 2, v[2:3]
	s_waitcnt lgkmcnt(0)
	v_mov_b32_e32 v1, s1
	v_add_co_u32_e32 v2, vcc, s0, v2
	v_addc_co_u32_e32 v3, vcc, v1, v3, vcc
	global_load_dword v8, v[2:3], off
	s_add_i32 s4, s7, s8
	s_mul_i32 s7, s6, s14
	s_add_i32 s5, s7, s14
	s_lshl_b32 s0, s5, 6
	s_add_i32 s0, s4, s0
	s_sub_i32 s0, s0, 64
	s_ashr_i32 s1, s0, 31
	s_lshl_b64 s[0:1], s[0:1], 3
	s_add_u32 s0, s2, s0
	s_addc_u32 s1, s3, s1
	s_load_dword s10, s[0:1], 0x4
	s_add_i32 s8, s5, -2
	s_cmp_lt_i32 s8, s7
	s_cbranch_scc1 .LBB11_4
; %bb.2:
	s_lshl_b32 s8, s12, 8
	s_ashr_i32 s9, s8, 31
	s_lshl_b64 s[8:9], s[8:9], 2
	s_add_u32 s8, s2, s8
	s_addc_u32 s11, s3, s9
	s_load_dword s0, s[0:1], 0x0
	s_add_i32 s6, s6, 1
	s_add_i32 s9, s5, -1
	s_mul_i32 s5, s14, s6
	s_mul_i32 s1, s4, 0x50
	s_lshl_b32 s6, s5, 6
	s_mulk_i32 s5, 0x1400
	s_add_i32 s4, s4, s6
	s_lshl_b32 s6, s12, 6
	s_add_i32 s1, s1, s5
	s_add_i32 s4, s4, s6
	v_add_u32_e32 v0, s1, v0
	s_addk_i32 s4, 0xff80
	v_add_u32_e32 v0, 0xffffd800, v0
	s_waitcnt lgkmcnt(0)
	v_mov_b32_e32 v7, s10
	v_mov_b32_e32 v6, s0
	;; [unrolled: 1-line block ×3, first 2 shown]
	s_mov_b32 s6, 0x3fb8aa3b
	s_mov_b32 s10, 0xc2ce8ed0
	s_mov_b32 s11, 0x42b17218
	v_mov_b32_e32 v5, 0x7f800000
	s_mov_b32 s12, 0xc1a00000
.LBB11_3:                               ; =>This Inner Loop Header: Depth=1
	v_ashrrev_i32_e32 v1, 31, v0
	v_lshlrev_b64 v[10:11], 2, v[0:1]
	v_add_co_u32_e32 v10, vcc, s8, v10
	v_addc_co_u32_e32 v11, vcc, v4, v11, vcc
	global_load_dword v1, v[10:11], off
	s_ashr_i32 s5, s4, 31
	s_lshl_b64 s[0:1], s[4:5], 3
	s_add_u32 s0, s2, s0
	s_addc_u32 s1, s3, s1
	s_load_dwordx2 s[14:15], s[0:1], 0x0
	s_waitcnt vmcnt(1)
	v_mov_b32_e32 v9, v8
	v_max_f32_e32 v8, v6, v6
	v_mov_b32_e32 v10, v7
	s_add_i32 s9, s9, -1
	s_waitcnt lgkmcnt(0)
	v_max_f32_e64 v7, s14, s14
	v_max_f32_e32 v7, v8, v7
	v_sub_f32_e32 v11, s14, v7
	v_sub_f32_e32 v8, v6, v7
	v_mul_f32_e32 v12, 0x3fb8aa3b, v11
	v_mov_b32_e32 v6, v7
	v_mul_f32_e32 v7, 0x3fb8aa3b, v8
	v_fma_f32 v15, v11, s6, -v12
	v_rndne_f32_e32 v16, v12
	v_fma_f32 v13, v8, s6, -v7
	v_rndne_f32_e32 v14, v7
	v_fmac_f32_e32 v15, 0x32a5705f, v11
	v_sub_f32_e32 v12, v12, v16
	v_fmac_f32_e32 v13, 0x32a5705f, v8
	v_sub_f32_e32 v7, v7, v14
	v_add_f32_e32 v12, v12, v15
	v_cvt_i32_f32_e32 v16, v16
	v_add_f32_e32 v7, v7, v13
	v_exp_f32_e32 v12, v12
	v_cvt_i32_f32_e32 v14, v14
	v_exp_f32_e32 v7, v7
	v_cmp_ngt_f32_e32 vcc, s10, v11
	v_ldexp_f32 v12, v12, v16
	v_cmp_ngt_f32_e64 s[0:1], s10, v8
	v_ldexp_f32 v7, v7, v14
	v_cndmask_b32_e32 v12, 0, v12, vcc
	v_cmp_nlt_f32_e32 vcc, s11, v11
	v_cndmask_b32_e64 v7, 0, v7, s[0:1]
	v_cmp_nlt_f32_e64 s[0:1], s11, v8
	v_cndmask_b32_e32 v12, v5, v12, vcc
	v_cmp_le_f32_e32 vcc, s12, v11
	v_cndmask_b32_e64 v7, v5, v7, s[0:1]
	v_cmp_le_f32_e64 s[0:1], s12, v8
	v_cndmask_b32_e32 v8, 0, v12, vcc
	s_sub_i32 s4, s4, 64
	v_cndmask_b32_e64 v11, 0, v7, s[0:1]
	v_mul_f32_e32 v7, s15, v8
	v_add_u32_e32 v0, 0xffffec00, v0
	s_cmp_le_i32 s9, s7
	v_fmac_f32_e32 v7, v10, v11
	s_waitcnt vmcnt(0)
	v_mul_f32_e32 v8, v1, v8
	v_fmac_f32_e32 v8, v9, v11
	s_cbranch_scc0 .LBB11_3
	s_branch .LBB11_5
.LBB11_4:
	s_waitcnt lgkmcnt(0)
	v_mov_b32_e32 v7, s10
.LBB11_5:
	s_waitcnt vmcnt(0)
	v_div_scale_f32 v0, s[0:1], v7, v7, v8
	v_rcp_f32_e32 v1, v0
	v_div_scale_f32 v4, vcc, v8, v7, v8
	v_fma_f32 v5, -v0, v1, 1.0
	v_fmac_f32_e32 v1, v5, v1
	v_mul_f32_e32 v5, v4, v1
	v_fma_f32 v6, -v0, v5, v4
	v_fmac_f32_e32 v5, v6, v1
	v_fma_f32 v0, -v0, v5, v4
	v_div_fmas_f32 v0, v0, v1, v5
	v_div_fixup_f32 v0, v0, v7, v8
	global_store_dword v[2:3], v0, off
.LBB11_6:
	s_endpgm
	.section	.rodata,"a",@progbits
	.p2align	6, 0x0
	.amdhsa_kernel _ZL33flash_attn_stream_k_fixup_uniformILi80ELi64ELi1EEvPfPK15HIP_vector_typeIfLj2EEiiiiiiS1_IjLj3EES5_S5_
		.amdhsa_group_segment_fixed_size 0
		.amdhsa_private_segment_fixed_size 0
		.amdhsa_kernarg_size 76
		.amdhsa_user_sgpr_count 6
		.amdhsa_user_sgpr_private_segment_buffer 1
		.amdhsa_user_sgpr_dispatch_ptr 0
		.amdhsa_user_sgpr_queue_ptr 0
		.amdhsa_user_sgpr_kernarg_segment_ptr 1
		.amdhsa_user_sgpr_dispatch_id 0
		.amdhsa_user_sgpr_flat_scratch_init 0
		.amdhsa_user_sgpr_kernarg_preload_length 0
		.amdhsa_user_sgpr_kernarg_preload_offset 0
		.amdhsa_user_sgpr_private_segment_size 0
		.amdhsa_uses_dynamic_stack 0
		.amdhsa_system_sgpr_private_segment_wavefront_offset 0
		.amdhsa_system_sgpr_workgroup_id_x 1
		.amdhsa_system_sgpr_workgroup_id_y 1
		.amdhsa_system_sgpr_workgroup_id_z 1
		.amdhsa_system_sgpr_workgroup_info 0
		.amdhsa_system_vgpr_workitem_id 0
		.amdhsa_next_free_vgpr 17
		.amdhsa_next_free_sgpr 20
		.amdhsa_accum_offset 20
		.amdhsa_reserve_vcc 1
		.amdhsa_reserve_flat_scratch 0
		.amdhsa_float_round_mode_32 0
		.amdhsa_float_round_mode_16_64 0
		.amdhsa_float_denorm_mode_32 3
		.amdhsa_float_denorm_mode_16_64 3
		.amdhsa_dx10_clamp 1
		.amdhsa_ieee_mode 1
		.amdhsa_fp16_overflow 0
		.amdhsa_tg_split 0
		.amdhsa_exception_fp_ieee_invalid_op 0
		.amdhsa_exception_fp_denorm_src 0
		.amdhsa_exception_fp_ieee_div_zero 0
		.amdhsa_exception_fp_ieee_overflow 0
		.amdhsa_exception_fp_ieee_underflow 0
		.amdhsa_exception_fp_ieee_inexact 0
		.amdhsa_exception_int_div_zero 0
	.end_amdhsa_kernel
	.section	.text._ZL33flash_attn_stream_k_fixup_uniformILi80ELi64ELi1EEvPfPK15HIP_vector_typeIfLj2EEiiiiiiS1_IjLj3EES5_S5_,"axG",@progbits,_ZL33flash_attn_stream_k_fixup_uniformILi80ELi64ELi1EEvPfPK15HIP_vector_typeIfLj2EEiiiiiiS1_IjLj3EES5_S5_,comdat
.Lfunc_end11:
	.size	_ZL33flash_attn_stream_k_fixup_uniformILi80ELi64ELi1EEvPfPK15HIP_vector_typeIfLj2EEiiiiiiS1_IjLj3EES5_S5_, .Lfunc_end11-_ZL33flash_attn_stream_k_fixup_uniformILi80ELi64ELi1EEvPfPK15HIP_vector_typeIfLj2EEiiiiiiS1_IjLj3EES5_S5_
                                        ; -- End function
	.section	.AMDGPU.csdata,"",@progbits
; Kernel info:
; codeLenInByte = 836
; NumSgprs: 24
; NumVgprs: 17
; NumAgprs: 0
; TotalNumVgprs: 17
; ScratchSize: 0
; MemoryBound: 0
; FloatMode: 240
; IeeeMode: 1
; LDSByteSize: 0 bytes/workgroup (compile time only)
; SGPRBlocks: 2
; VGPRBlocks: 2
; NumSGPRsForWavesPerEU: 24
; NumVGPRsForWavesPerEU: 17
; AccumOffset: 20
; Occupancy: 8
; WaveLimiterHint : 0
; COMPUTE_PGM_RSRC2:SCRATCH_EN: 0
; COMPUTE_PGM_RSRC2:USER_SGPR: 6
; COMPUTE_PGM_RSRC2:TRAP_HANDLER: 0
; COMPUTE_PGM_RSRC2:TGID_X_EN: 1
; COMPUTE_PGM_RSRC2:TGID_Y_EN: 1
; COMPUTE_PGM_RSRC2:TGID_Z_EN: 1
; COMPUTE_PGM_RSRC2:TIDIG_COMP_CNT: 0
; COMPUTE_PGM_RSRC3_GFX90A:ACCUM_OFFSET: 4
; COMPUTE_PGM_RSRC3_GFX90A:TG_SPLIT: 0
	.section	.text._ZL33flash_attn_stream_k_fixup_generalILi80ELi64ELi1EEvPfPK15HIP_vector_typeIfLj2EEiiiiS1_IjLj3EES5_S5_S5_,"axG",@progbits,_ZL33flash_attn_stream_k_fixup_generalILi80ELi64ELi1EEvPfPK15HIP_vector_typeIfLj2EEiiiiS1_IjLj3EES5_S5_S5_,comdat
	.globl	_ZL33flash_attn_stream_k_fixup_generalILi80ELi64ELi1EEvPfPK15HIP_vector_typeIfLj2EEiiiiS1_IjLj3EES5_S5_S5_ ; -- Begin function _ZL33flash_attn_stream_k_fixup_generalILi80ELi64ELi1EEvPfPK15HIP_vector_typeIfLj2EEiiiiS1_IjLj3EES5_S5_S5_
	.p2align	8
	.type	_ZL33flash_attn_stream_k_fixup_generalILi80ELi64ELi1EEvPfPK15HIP_vector_typeIfLj2EEiiiiS1_IjLj3EES5_S5_S5_,@function
_ZL33flash_attn_stream_k_fixup_generalILi80ELi64ELi1EEvPfPK15HIP_vector_typeIfLj2EEiiiiS1_IjLj3EES5_S5_S5_: ; @_ZL33flash_attn_stream_k_fixup_generalILi80ELi64ELi1EEvPfPK15HIP_vector_typeIfLj2EEiiiiS1_IjLj3EES5_S5_S5_
; %bb.0:
	s_load_dwordx4 s[12:15], s[4:5], 0x10
	s_load_dword s9, s[4:5], 0x50
	s_mov_b32 s2, 0
	s_waitcnt lgkmcnt(0)
	s_mul_hi_i32 s3, s15, s6
	s_cmp_lg_u64 s[2:3], 0
	s_mul_i32 s2, s15, s6
	s_cbranch_scc0 .LBB12_21
; %bb.1:
	v_cvt_f32_u32_e32 v1, s9
	v_cvt_f32_ubyte0_e32 v2, 0
	s_sub_u32 s10, 0, s9
	s_subb_u32 s11, 0, 0
	v_madmk_f32 v1, v2, 0x4f800000, v1
	v_rcp_f32_e32 v1, v1
	v_mul_f32_e32 v1, 0x5f7ffffc, v1
	v_mul_f32_e32 v2, 0x2f800000, v1
	v_trunc_f32_e32 v2, v2
	v_madmk_f32 v1, v2, 0xcf800000, v1
	v_cvt_u32_f32_e32 v2, v2
	v_cvt_u32_f32_e32 v1, v1
	v_readfirstlane_b32 s16, v2
	v_readfirstlane_b32 s17, v1
	s_mul_i32 s18, s10, s16
	s_mul_hi_u32 s20, s10, s17
	s_mul_i32 s19, s11, s17
	s_add_i32 s18, s20, s18
	s_add_i32 s18, s18, s19
	s_mul_i32 s21, s10, s17
	s_mul_hi_u32 s19, s17, s18
	s_mul_i32 s20, s17, s18
	s_mul_hi_u32 s17, s17, s21
	s_add_u32 s17, s17, s20
	s_addc_u32 s19, 0, s19
	s_mul_hi_u32 s22, s16, s21
	s_mul_i32 s21, s16, s21
	s_add_u32 s17, s17, s21
	s_mul_hi_u32 s20, s16, s18
	s_addc_u32 s17, s19, s22
	s_addc_u32 s19, s20, 0
	s_mul_i32 s18, s16, s18
	s_add_u32 s17, s17, s18
	s_addc_u32 s18, 0, s19
	v_add_co_u32_e32 v1, vcc, s17, v1
	s_cmp_lg_u64 vcc, 0
	s_addc_u32 s16, s16, s18
	v_readfirstlane_b32 s18, v1
	s_mul_i32 s17, s10, s16
	s_mul_hi_u32 s19, s10, s18
	s_add_i32 s17, s19, s17
	s_mul_i32 s11, s11, s18
	s_add_i32 s17, s17, s11
	s_mul_i32 s10, s10, s18
	s_mul_hi_u32 s19, s16, s10
	s_mul_i32 s20, s16, s10
	s_mul_i32 s22, s18, s17
	s_mul_hi_u32 s10, s18, s10
	s_mul_hi_u32 s21, s18, s17
	s_add_u32 s10, s10, s22
	s_addc_u32 s18, 0, s21
	s_add_u32 s10, s10, s20
	s_mul_hi_u32 s11, s16, s17
	s_addc_u32 s10, s18, s19
	s_addc_u32 s11, s11, 0
	s_mul_i32 s17, s16, s17
	s_add_u32 s10, s10, s17
	s_addc_u32 s11, 0, s11
	v_add_co_u32_e32 v1, vcc, s10, v1
	s_cmp_lg_u64 vcc, 0
	s_addc_u32 s18, s16, s11
	s_ashr_i32 s10, s3, 31
	s_add_u32 s16, s2, s10
	s_mov_b32 s11, s10
	s_addc_u32 s17, s3, s10
	s_xor_b64 s[16:17], s[16:17], s[10:11]
	v_readfirstlane_b32 s20, v1
	s_mul_i32 s19, s16, s18
	s_mul_hi_u32 s21, s16, s20
	s_mul_hi_u32 s3, s16, s18
	s_add_u32 s19, s21, s19
	s_addc_u32 s3, 0, s3
	s_mul_hi_u32 s22, s17, s20
	s_mul_i32 s20, s17, s20
	s_add_u32 s19, s19, s20
	s_mul_hi_u32 s21, s17, s18
	s_addc_u32 s3, s3, s22
	s_addc_u32 s19, s21, 0
	s_mul_i32 s18, s17, s18
	s_add_u32 s3, s3, s18
	s_addc_u32 s18, 0, s19
	s_add_u32 s19, s3, 1
	s_addc_u32 s20, s18, 0
	s_add_u32 s21, s3, 2
	s_mul_i32 s23, s9, s18
	s_mul_hi_u32 s24, s9, s3
	s_addc_u32 s22, s18, 0
	s_add_i32 s24, s24, s23
	s_mul_i32 s23, s9, s3
	v_mov_b32_e32 v1, s23
	v_sub_co_u32_e32 v1, vcc, s16, v1
	s_cmp_lg_u64 vcc, 0
	s_subb_u32 s16, s17, s24
	v_subrev_co_u32_e32 v2, vcc, s9, v1
	s_cmp_lg_u64 vcc, 0
	s_subb_u32 s17, s16, 0
	v_readfirstlane_b32 s23, v2
	s_cmp_ge_u32 s23, s9
	s_cselect_b32 s23, -1, 0
	s_cmp_eq_u32 s17, 0
	s_cselect_b32 s17, s23, -1
	s_cmp_lg_u32 s17, 0
	s_cselect_b32 s17, s22, s20
	v_readfirstlane_b32 s20, v1
	s_cselect_b32 s19, s21, s19
	s_cmp_ge_u32 s20, s9
	s_cselect_b32 s20, -1, 0
	s_cmp_eq_u32 s16, 0
	s_cselect_b32 s16, s20, -1
	s_cmp_lg_u32 s16, 0
	s_cselect_b32 s17, s17, s18
	s_cselect_b32 s16, s19, s3
	s_xor_b64 s[16:17], s[16:17], s[10:11]
	s_sub_u32 s20, s16, s10
	s_load_dwordx4 s[16:19], s[4:5], 0x44
	s_cbranch_execnz .LBB12_3
.LBB12_2:
	v_cvt_f32_u32_e32 v1, s9
	s_sub_i32 s0, 0, s9
	v_rcp_iflag_f32_e32 v1, v1
	v_mul_f32_e32 v1, 0x4f7ffffe, v1
	v_cvt_u32_f32_e32 v1, v1
	v_readfirstlane_b32 s1, v1
	s_mul_i32 s0, s0, s1
	s_mul_hi_u32 s0, s1, s0
	s_add_i32 s1, s1, s0
	s_mul_hi_u32 s0, s2, s1
	s_mul_i32 s3, s0, s9
	s_sub_i32 s2, s2, s3
	s_add_i32 s1, s0, 1
	s_sub_i32 s3, s2, s9
	s_cmp_ge_u32 s2, s9
	s_cselect_b32 s0, s1, s0
	s_cselect_b32 s2, s3, s2
	s_add_i32 s1, s0, 1
	s_cmp_ge_u32 s2, s9
	s_cselect_b32 s20, s1, s0
.LBB12_3:
	s_add_i32 s0, s6, 1
	s_mul_hi_i32 s3, s15, s0
	s_mov_b32 s2, 0
	s_cmp_lg_u64 s[2:3], 0
	s_mul_i32 s2, s15, s0
	s_cbranch_scc0 .LBB12_22
; %bb.4:
	v_cvt_f32_u32_e32 v1, s9
	v_cvt_f32_ubyte0_e32 v2, 0
	s_sub_u32 s10, 0, s9
	s_subb_u32 s11, 0, 0
	v_madmk_f32 v1, v2, 0x4f800000, v1
	v_rcp_f32_e32 v1, v1
	v_mul_f32_e32 v1, 0x5f7ffffc, v1
	v_mul_f32_e32 v2, 0x2f800000, v1
	v_trunc_f32_e32 v2, v2
	v_madmk_f32 v1, v2, 0xcf800000, v1
	v_cvt_u32_f32_e32 v2, v2
	v_cvt_u32_f32_e32 v1, v1
	s_waitcnt lgkmcnt(0)
	v_readfirstlane_b32 s19, v2
	v_readfirstlane_b32 s21, v1
	s_mul_i32 s22, s10, s19
	s_mul_hi_u32 s24, s10, s21
	s_mul_i32 s23, s11, s21
	s_add_i32 s22, s24, s22
	s_add_i32 s22, s22, s23
	s_mul_i32 s25, s10, s21
	s_mul_hi_u32 s23, s21, s22
	s_mul_i32 s24, s21, s22
	s_mul_hi_u32 s21, s21, s25
	s_add_u32 s21, s21, s24
	s_addc_u32 s23, 0, s23
	s_mul_hi_u32 s26, s19, s25
	s_mul_i32 s25, s19, s25
	s_add_u32 s21, s21, s25
	s_mul_hi_u32 s24, s19, s22
	s_addc_u32 s21, s23, s26
	s_addc_u32 s23, s24, 0
	s_mul_i32 s22, s19, s22
	s_add_u32 s21, s21, s22
	s_addc_u32 s22, 0, s23
	v_add_co_u32_e32 v1, vcc, s21, v1
	s_cmp_lg_u64 vcc, 0
	s_addc_u32 s19, s19, s22
	v_readfirstlane_b32 s22, v1
	s_mul_i32 s21, s10, s19
	s_mul_hi_u32 s23, s10, s22
	s_add_i32 s21, s23, s21
	s_mul_i32 s11, s11, s22
	s_add_i32 s21, s21, s11
	s_mul_i32 s10, s10, s22
	s_mul_hi_u32 s23, s19, s10
	s_mul_i32 s24, s19, s10
	s_mul_i32 s26, s22, s21
	s_mul_hi_u32 s10, s22, s10
	s_mul_hi_u32 s25, s22, s21
	s_add_u32 s10, s10, s26
	s_addc_u32 s22, 0, s25
	s_add_u32 s10, s10, s24
	s_mul_hi_u32 s11, s19, s21
	s_addc_u32 s10, s22, s23
	s_addc_u32 s11, s11, 0
	s_mul_i32 s21, s19, s21
	s_add_u32 s10, s10, s21
	s_addc_u32 s11, 0, s11
	v_add_co_u32_e32 v1, vcc, s10, v1
	s_cmp_lg_u64 vcc, 0
	s_addc_u32 s19, s19, s11
	s_ashr_i32 s10, s3, 31
	s_add_u32 s22, s2, s10
	s_mov_b32 s11, s10
	s_addc_u32 s23, s3, s10
	s_xor_b64 s[22:23], s[22:23], s[10:11]
	v_readfirstlane_b32 s21, v1
	s_mul_i32 s11, s22, s19
	s_mul_hi_u32 s24, s22, s21
	s_mul_hi_u32 s3, s22, s19
	s_add_u32 s11, s24, s11
	s_addc_u32 s3, 0, s3
	s_mul_hi_u32 s25, s23, s21
	s_mul_i32 s21, s23, s21
	s_add_u32 s11, s11, s21
	s_mul_hi_u32 s24, s23, s19
	s_addc_u32 s3, s3, s25
	s_addc_u32 s11, s24, 0
	s_mul_i32 s19, s23, s19
	s_add_u32 s3, s3, s19
	s_addc_u32 s11, 0, s11
	s_mul_i32 s11, s9, s11
	s_mul_hi_u32 s24, s9, s3
	s_add_i32 s24, s24, s11
	s_mul_i32 s11, s9, s3
	v_mov_b32_e32 v1, s11
	s_add_u32 s19, s3, 1
	s_add_u32 s21, s3, 2
	v_sub_co_u32_e32 v1, vcc, s22, v1
	s_cmp_lg_u64 vcc, 0
	s_subb_u32 s11, s23, s24
	v_subrev_co_u32_e32 v2, vcc, s9, v1
	s_cmp_lg_u64 vcc, 0
	s_subb_u32 s22, s11, 0
	v_cmp_le_u32_e32 vcc, s9, v2
	s_cmp_eq_u32 s22, 0
	v_cndmask_b32_e64 v2, 0, -1, vcc
	s_cselect_b64 vcc, -1, 0
	v_cndmask_b32_e32 v2, -1, v2, vcc
	v_mov_b32_e32 v3, s19
	v_mov_b32_e32 v4, s21
	v_cmp_ne_u32_e32 vcc, 0, v2
	v_cndmask_b32_e32 v2, v3, v4, vcc
	v_cmp_le_u32_e32 vcc, s9, v1
	s_cmp_eq_u32 s11, 0
	v_cndmask_b32_e64 v1, 0, -1, vcc
	s_cselect_b64 vcc, -1, 0
	v_cndmask_b32_e32 v1, -1, v1, vcc
	v_mov_b32_e32 v3, s3
	v_cmp_ne_u32_e32 vcc, 0, v1
	v_cndmask_b32_e32 v1, v3, v2, vcc
	v_xor_b32_e32 v1, s10, v1
	v_subrev_co_u32_e32 v2, vcc, s10, v1
	s_cbranch_execnz .LBB12_6
.LBB12_5:
	v_cvt_f32_u32_e32 v1, s9
	s_sub_i32 s0, 0, s9
	s_mov_b32 s1, 0
	v_rcp_iflag_f32_e32 v1, v1
	v_mul_f32_e32 v1, 0x4f7ffffe, v1
	v_cvt_u32_f32_e32 v1, v1
	v_readfirstlane_b32 s3, v1
	s_mul_i32 s0, s0, s3
	s_mul_hi_u32 s0, s3, s0
	s_add_i32 s3, s3, s0
	s_mul_hi_u32 s0, s2, s3
	s_mul_i32 s10, s0, s9
	s_sub_i32 s2, s2, s10
	s_add_i32 s3, s0, 1
	s_sub_i32 s10, s2, s9
	s_cmp_ge_u32 s2, s9
	s_cselect_b32 s0, s3, s0
	s_cselect_b32 s2, s10, s2
	s_add_i32 s3, s0, 1
	s_cmp_ge_u32 s2, s9
	s_cselect_b32 s0, s3, s0
	v_pk_mov_b32 v[2:3], s[0:1], s[0:1] op_sel:[0,1]
.LBB12_6:
	s_waitcnt lgkmcnt(0)
	s_mul_hi_u32 s0, s20, s16
	s_add_i32 s0, s0, s20
	v_mul_hi_u32 v1, v2, s16
	s_lshr_b32 s19, s0, s17
	v_add_u32_e32 v1, v1, v2
	s_mul_i32 s0, s19, s18
	v_lshrrev_b32_e32 v1, s17, v1
	s_cmp_eq_u32 s0, s20
	v_cmp_eq_u32_e64 s[0:1], s19, v1
	v_mul_lo_u32 v1, v1, s18
	v_cmp_eq_u32_e32 vcc, s20, v2
	s_cselect_b64 s[10:11], -1, 0
	v_cmp_ne_u32_e64 s[2:3], v1, v2
	s_and_b64 s[0:1], s[0:1], s[2:3]
	s_or_b64 s[2:3], vcc, s[10:11]
	s_or_b64 s[0:1], s[2:3], s[0:1]
	s_and_b64 vcc, exec, s[0:1]
	s_cbranch_vccnz .LBB12_24
; %bb.7:
	s_load_dwordx8 s[24:31], s[4:5], 0x20
	s_load_dword s0, s[4:5], 0x40
	s_mov_b32 s10, 0
	s_waitcnt lgkmcnt(0)
	s_mul_hi_u32 s1, s20, s24
	s_add_i32 s1, s1, s20
	s_lshr_b32 s11, s1, s25
	s_mul_i32 s1, s11, s26
	s_sub_i32 s1, s20, s1
	s_mul_hi_u32 s2, s1, s27
	s_add_i32 s2, s1, s2
	s_lshr_b32 s23, s2, s28
	s_mul_i32 s2, s23, s29
	s_sub_i32 s1, s1, s2
	;; [unrolled: 5-line block ×3, first 2 shown]
	s_mul_hi_u32 s1, s0, s16
	s_add_i32 s0, s0, s1
	s_lshr_b32 s24, s0, s17
	s_lshl_b32 s0, s24, 6
	s_add_i32 s0, s0, s7
	s_cmp_lt_i32 s0, s12
	s_cselect_b64 s[0:1], -1, 0
	s_add_i32 s25, s25, s8
	s_cmp_lt_i32 s25, s14
	s_cselect_b64 s[2:3], -1, 0
	s_and_b64 s[0:1], s[0:1], s[2:3]
	s_andn2_b64 vcc, exec, s[0:1]
	s_cbranch_vccnz .LBB12_24
; %bb.8:
	s_load_dwordx4 s[0:3], s[4:5], 0x0
	s_lshl_b32 s4, s9, 8
	s_mov_b32 s5, s10
	s_add_i32 s8, s7, s8
	s_lshl_b64 s[4:5], s[4:5], 2
	s_waitcnt lgkmcnt(0)
	s_add_u32 s21, s2, s4
	s_mul_i32 s4, s11, s12
	s_addc_u32 s22, s3, s5
	s_mul_i32 s23, s23, s14
	s_add_i32 s4, s4, s7
	s_mul_i32 s4, s4, s13
	s_add_i32 s7, s25, s23
	;; [unrolled: 2-line block ×3, first 2 shown]
	s_mulk_i32 s5, 0x1400
	s_mulk_i32 s4, 0x50
	s_add_i32 s5, s5, s4
	v_add_u32_e32 v2, s5, v0
	v_ashrrev_i32_e32 v3, 31, v2
	v_lshlrev_b64 v[2:3], 2, v[2:3]
	v_mov_b32_e32 v1, s1
	v_add_co_u32_e32 v2, vcc, s0, v2
	v_addc_co_u32_e32 v3, vcc, v1, v3, vcc
	global_load_dword v5, v[2:3], off
	s_mul_i32 s4, s8, 0x50
	v_add_u32_e32 v4, s4, v0
	v_cvt_f32_u32_e32 v0, s9
	v_cvt_f32_ubyte0_e32 v1, 0
	s_lshl_b32 s0, s6, 6
	s_add_i32 s0, s0, s8
	v_mac_f32_e32 v0, 0x4f800000, v1
	v_rcp_f32_e32 v0, v0
	v_cvt_f32_u32_e32 v1, s9
	s_ashr_i32 s1, s0, 31
	s_lshl_b64 s[0:1], s[0:1], 3
	v_mul_f32_e32 v0, 0x5f7ffffc, v0
	v_rcp_iflag_f32_e32 v1, v1
	s_add_u32 s0, s2, s0
	v_mul_f32_e32 v9, 0x2f800000, v0
	s_addc_u32 s1, s3, s1
	v_trunc_f32_e32 v10, v9
	s_load_dwordx2 s[0:1], s[0:1], 0x0
	v_mac_f32_e32 v0, 0xcf800000, v10
	v_cvt_u32_f32_e32 v9, v0
	v_mul_f32_e32 v0, 0x4f7ffffe, v1
	v_cvt_u32_f32_e32 v10, v10
	v_cvt_u32_f32_e32 v11, v0
	s_add_i32 s12, s6, -1
	s_waitcnt lgkmcnt(0)
	v_mov_b32_e32 v6, s1
	v_mov_b32_e32 v7, s0
	;; [unrolled: 1-line block ×3, first 2 shown]
	s_mov_b32 s6, 0x3fb8aa3b
	s_mov_b32 s7, 0xc2ce8ed0
	;; [unrolled: 1-line block ×4, first 2 shown]
	v_mov_b32_e32 v12, 0x7f800000
	s_mul_hi_i32 s11, s12, s15
	s_cmp_lg_u64 s[10:11], 0
	s_mul_i32 s4, s12, s15
	s_cbranch_scc0 .LBB12_15
.LBB12_9:
	s_sub_u32 s0, 0, s9
	v_readfirstlane_b32 s5, v9
	v_readfirstlane_b32 s24, v10
	s_subb_u32 s1, 0, 0
	s_mul_hi_u32 s23, s0, s5
	s_mul_i32 s25, s0, s24
	s_mul_i32 s20, s1, s5
	s_add_i32 s23, s23, s25
	s_add_i32 s23, s23, s20
	s_mul_i32 s26, s0, s5
	s_mul_hi_u32 s20, s5, s23
	s_mul_i32 s25, s5, s23
	s_mul_hi_u32 s5, s5, s26
	s_add_u32 s5, s5, s25
	s_addc_u32 s20, 0, s20
	s_mul_hi_u32 s27, s24, s26
	s_mul_i32 s26, s24, s26
	s_add_u32 s5, s5, s26
	s_mul_hi_u32 s25, s24, s23
	s_addc_u32 s5, s20, s27
	s_addc_u32 s20, s25, 0
	s_mul_i32 s23, s24, s23
	s_add_u32 s5, s5, s23
	s_addc_u32 s20, 0, s20
	v_add_co_u32_e32 v0, vcc, s5, v9
	s_cmp_lg_u64 vcc, 0
	s_addc_u32 s5, s24, s20
	v_readfirstlane_b32 s23, v0
	s_mul_i32 s20, s0, s5
	s_mul_hi_u32 s24, s0, s23
	s_add_i32 s20, s24, s20
	s_mul_i32 s1, s1, s23
	s_add_i32 s20, s20, s1
	s_mul_i32 s0, s0, s23
	s_mul_hi_u32 s24, s5, s0
	s_mul_i32 s25, s5, s0
	s_mul_i32 s27, s23, s20
	s_mul_hi_u32 s0, s23, s0
	s_mul_hi_u32 s26, s23, s20
	s_add_u32 s0, s0, s27
	s_addc_u32 s23, 0, s26
	s_add_u32 s0, s0, s25
	s_mul_hi_u32 s1, s5, s20
	s_addc_u32 s0, s23, s24
	s_addc_u32 s1, s1, 0
	s_mul_i32 s20, s5, s20
	s_add_u32 s0, s0, s20
	s_addc_u32 s1, 0, s1
	v_add_co_u32_e32 v0, vcc, s0, v0
	s_cmp_lg_u64 vcc, 0
	s_addc_u32 s5, s5, s1
	s_ashr_i32 s0, s11, 31
	s_add_u32 s24, s4, s0
	s_mov_b32 s1, s0
	s_addc_u32 s25, s11, s0
	s_xor_b64 s[24:25], s[24:25], s[0:1]
	v_readfirstlane_b32 s20, v0
	s_mul_i32 s11, s24, s5
	s_mul_hi_u32 s23, s24, s20
	s_mul_hi_u32 s1, s24, s5
	s_add_u32 s11, s23, s11
	s_addc_u32 s1, 0, s1
	s_mul_hi_u32 s26, s25, s20
	s_mul_i32 s20, s25, s20
	s_add_u32 s11, s11, s20
	s_mul_hi_u32 s23, s25, s5
	s_addc_u32 s1, s1, s26
	s_addc_u32 s11, s23, 0
	s_mul_i32 s5, s25, s5
	s_add_u32 s1, s1, s5
	s_addc_u32 s5, 0, s11
	s_mul_i32 s5, s9, s5
	s_mul_hi_u32 s23, s9, s1
	s_add_i32 s23, s23, s5
	s_mul_i32 s5, s9, s1
	v_mov_b32_e32 v0, s5
	s_add_u32 s11, s1, 1
	s_add_u32 s20, s1, 2
	v_sub_co_u32_e32 v0, vcc, s24, v0
	s_cmp_lg_u64 vcc, 0
	s_subb_u32 s5, s25, s23
	v_subrev_co_u32_e32 v1, vcc, s9, v0
	s_cmp_lg_u64 vcc, 0
	s_subb_u32 s23, s5, 0
	v_cmp_le_u32_e32 vcc, s9, v1
	s_cmp_eq_u32 s23, 0
	v_cndmask_b32_e64 v1, 0, -1, vcc
	s_cselect_b64 vcc, -1, 0
	v_cndmask_b32_e32 v1, -1, v1, vcc
	v_mov_b32_e32 v13, s11
	v_mov_b32_e32 v14, s20
	v_cmp_ne_u32_e32 vcc, 0, v1
	v_cndmask_b32_e32 v1, v13, v14, vcc
	v_cmp_le_u32_e32 vcc, s9, v0
	s_cmp_eq_u32 s5, 0
	v_cndmask_b32_e64 v0, 0, -1, vcc
	s_cselect_b64 vcc, -1, 0
	v_cndmask_b32_e32 v0, -1, v0, vcc
	v_mov_b32_e32 v13, s1
	v_cmp_ne_u32_e32 vcc, 0, v0
	v_cndmask_b32_e32 v0, v13, v1, vcc
	v_xor_b32_e32 v0, s0, v0
	v_subrev_co_u32_e32 v0, vcc, s0, v0
	s_cbranch_execnz .LBB12_11
.LBB12_10:
	s_sub_i32 s0, 0, s9
	v_mul_lo_u32 v0, s0, v11
	v_mul_hi_u32 v0, v11, v0
	v_add_u32_e32 v0, v11, v0
	v_mul_hi_u32 v0, s4, v0
	v_mul_lo_u32 v13, v0, s9
	v_sub_u32_e32 v13, s4, v13
	v_add_u32_e32 v1, 1, v0
	v_subrev_u32_e32 v14, s9, v13
	v_cmp_le_u32_e32 vcc, s9, v13
	v_cndmask_b32_e32 v13, v13, v14, vcc
	v_cndmask_b32_e32 v0, v0, v1, vcc
	v_add_u32_e32 v1, 1, v0
	v_cmp_le_u32_e32 vcc, s9, v13
	v_cndmask_b32_e32 v0, v0, v1, vcc
.LBB12_11:
	v_cmp_ne_u32_e32 vcc, v8, v0
	s_cbranch_vccz .LBB12_14
; %bb.12:
	s_add_i32 s0, s12, s9
	s_lshl_b32 s0, s0, 6
	v_mul_hi_u32 v1, v0, s16
	s_add_i32 s0, s0, s8
	s_mov_b32 s1, s10
	v_add_u32_e32 v1, v1, v0
	s_lshl_b64 s[0:1], s[0:1], 3
	v_lshrrev_b32_e32 v1, s17, v1
	s_add_u32 s4, s2, s0
	v_mul_lo_u32 v13, v1, s18
	s_addc_u32 s5, s3, s1
	v_cmp_eq_u32_e32 vcc, v13, v0
	v_cmp_gt_u32_e64 s[0:1], s19, v1
	s_or_b64 s[0:1], s[0:1], vcc
	s_and_b64 vcc, exec, s[0:1]
	s_cbranch_vccnz .LBB12_16
; %bb.13:
	s_add_i32 s11, s12, -1
	s_mov_b64 s[0:1], 0
	s_branch .LBB12_17
.LBB12_14:
                                        ; implicit-def: $sgpr0_sgpr1
                                        ; implicit-def: $vgpr14
                                        ; implicit-def: $vgpr1
                                        ; implicit-def: $vgpr13
                                        ; implicit-def: $sgpr11
                                        ; implicit-def: $vgpr0
	s_branch .LBB12_18
.LBB12_15:
                                        ; implicit-def: $vgpr0_vgpr1
	s_branch .LBB12_10
.LBB12_16:
	s_mov_b64 s[0:1], -1
	s_mov_b32 s11, s12
	v_mov_b32_e32 v0, v8
.LBB12_17:
	s_mul_i32 s20, s12, 0x1400
	v_add_u32_e32 v14, s20, v4
	v_ashrrev_i32_e32 v15, 31, v14
	v_lshlrev_b64 v[14:15], 2, v[14:15]
	v_mov_b32_e32 v1, s22
	v_add_co_u32_e32 v14, vcc, s21, v14
	v_addc_co_u32_e32 v15, vcc, v1, v15, vcc
	global_load_dword v14, v[14:15], off
	s_load_dwordx2 s[4:5], s[4:5], 0x0
	v_max_f32_e32 v1, v7, v7
	s_waitcnt lgkmcnt(0)
	v_max_f32_e64 v13, s4, s4
	v_max_f32_e32 v1, v1, v13
	v_sub_f32_e32 v13, v7, v1
	v_sub_f32_e32 v15, s4, v1
	v_mul_f32_e32 v16, 0x3fb8aa3b, v13
	v_mul_f32_e32 v17, 0x3fb8aa3b, v15
	v_fma_f32 v18, v13, s6, -v16
	v_rndne_f32_e32 v19, v16
	v_fma_f32 v20, v15, s6, -v17
	v_rndne_f32_e32 v21, v17
	v_fmac_f32_e32 v18, 0x32a5705f, v13
	v_sub_f32_e32 v16, v16, v19
	v_fmac_f32_e32 v20, 0x32a5705f, v15
	v_sub_f32_e32 v17, v17, v21
	v_add_f32_e32 v16, v16, v18
	v_cvt_i32_f32_e32 v19, v19
	v_add_f32_e32 v17, v17, v20
	v_exp_f32_e32 v16, v16
	v_cvt_i32_f32_e32 v21, v21
	v_exp_f32_e32 v17, v17
	v_cmp_ngt_f32_e32 vcc, s7, v13
	v_ldexp_f32 v16, v16, v19
	v_cndmask_b32_e32 v16, 0, v16, vcc
	v_ldexp_f32 v17, v17, v21
	v_cmp_ngt_f32_e32 vcc, s7, v15
	v_cndmask_b32_e32 v17, 0, v17, vcc
	v_cmp_nlt_f32_e32 vcc, s13, v13
	v_cndmask_b32_e32 v16, v12, v16, vcc
	v_cmp_nlt_f32_e32 vcc, s13, v15
	v_cndmask_b32_e32 v17, v12, v17, vcc
	v_cmp_le_f32_e32 vcc, s14, v13
	v_cndmask_b32_e32 v16, 0, v16, vcc
	v_cmp_le_f32_e32 vcc, s14, v15
	v_cndmask_b32_e32 v15, 0, v17, vcc
	v_mul_f32_e32 v13, s5, v15
	v_fmac_f32_e32 v13, v6, v16
	s_waitcnt vmcnt(0)
	v_mul_f32_e32 v14, v14, v15
	v_fmac_f32_e32 v14, v5, v16
	s_cbranch_execnz .LBB12_19
.LBB12_18:
	s_add_i32 s11, s12, -1
	s_mov_b64 s[0:1], 0
	v_mov_b32_e32 v0, v8
	v_mov_b32_e32 v13, v6
	;; [unrolled: 1-line block ×3, first 2 shown]
	s_waitcnt vmcnt(0)
	v_mov_b32_e32 v14, v5
.LBB12_19:
	s_andn2_b64 vcc, exec, s[0:1]
	s_cbranch_vccz .LBB12_23
; %bb.20:
	v_mov_b32_e32 v8, v0
	s_mov_b32 s12, s11
	v_mov_b32_e32 v6, v13
	v_mov_b32_e32 v7, v1
	s_waitcnt vmcnt(0)
	v_mov_b32_e32 v5, v14
	s_mul_hi_i32 s11, s12, s15
	s_cmp_lg_u64 s[10:11], 0
	s_mul_i32 s4, s12, s15
	s_cbranch_scc1 .LBB12_9
	s_branch .LBB12_15
.LBB12_21:
                                        ; implicit-def: $sgpr20_sgpr21
	s_load_dwordx4 s[16:19], s[4:5], 0x44
	s_branch .LBB12_2
.LBB12_22:
                                        ; implicit-def: $vgpr2_vgpr3
	s_branch .LBB12_5
.LBB12_23:
	v_div_scale_f32 v0, s[0:1], v13, v13, v14
	v_rcp_f32_e32 v1, v0
	v_div_scale_f32 v4, vcc, v14, v13, v14
	s_waitcnt vmcnt(0)
	v_fma_f32 v5, -v0, v1, 1.0
	v_fmac_f32_e32 v1, v5, v1
	v_mul_f32_e32 v5, v4, v1
	v_fma_f32 v6, -v0, v5, v4
	v_fmac_f32_e32 v5, v6, v1
	v_fma_f32 v0, -v0, v5, v4
	v_div_fmas_f32 v0, v0, v1, v5
	v_div_fixup_f32 v0, v0, v13, v14
	global_store_dword v[2:3], v0, off
.LBB12_24:
	s_endpgm
	.section	.rodata,"a",@progbits
	.p2align	6, 0x0
	.amdhsa_kernel _ZL33flash_attn_stream_k_fixup_generalILi80ELi64ELi1EEvPfPK15HIP_vector_typeIfLj2EEiiiiS1_IjLj3EES5_S5_S5_
		.amdhsa_group_segment_fixed_size 0
		.amdhsa_private_segment_fixed_size 0
		.amdhsa_kernarg_size 336
		.amdhsa_user_sgpr_count 6
		.amdhsa_user_sgpr_private_segment_buffer 1
		.amdhsa_user_sgpr_dispatch_ptr 0
		.amdhsa_user_sgpr_queue_ptr 0
		.amdhsa_user_sgpr_kernarg_segment_ptr 1
		.amdhsa_user_sgpr_dispatch_id 0
		.amdhsa_user_sgpr_flat_scratch_init 0
		.amdhsa_user_sgpr_kernarg_preload_length 0
		.amdhsa_user_sgpr_kernarg_preload_offset 0
		.amdhsa_user_sgpr_private_segment_size 0
		.amdhsa_uses_dynamic_stack 0
		.amdhsa_system_sgpr_private_segment_wavefront_offset 0
		.amdhsa_system_sgpr_workgroup_id_x 1
		.amdhsa_system_sgpr_workgroup_id_y 1
		.amdhsa_system_sgpr_workgroup_id_z 1
		.amdhsa_system_sgpr_workgroup_info 0
		.amdhsa_system_vgpr_workitem_id 0
		.amdhsa_next_free_vgpr 22
		.amdhsa_next_free_sgpr 32
		.amdhsa_accum_offset 24
		.amdhsa_reserve_vcc 1
		.amdhsa_reserve_flat_scratch 0
		.amdhsa_float_round_mode_32 0
		.amdhsa_float_round_mode_16_64 0
		.amdhsa_float_denorm_mode_32 3
		.amdhsa_float_denorm_mode_16_64 3
		.amdhsa_dx10_clamp 1
		.amdhsa_ieee_mode 1
		.amdhsa_fp16_overflow 0
		.amdhsa_tg_split 0
		.amdhsa_exception_fp_ieee_invalid_op 0
		.amdhsa_exception_fp_denorm_src 0
		.amdhsa_exception_fp_ieee_div_zero 0
		.amdhsa_exception_fp_ieee_overflow 0
		.amdhsa_exception_fp_ieee_underflow 0
		.amdhsa_exception_fp_ieee_inexact 0
		.amdhsa_exception_int_div_zero 0
	.end_amdhsa_kernel
	.section	.text._ZL33flash_attn_stream_k_fixup_generalILi80ELi64ELi1EEvPfPK15HIP_vector_typeIfLj2EEiiiiS1_IjLj3EES5_S5_S5_,"axG",@progbits,_ZL33flash_attn_stream_k_fixup_generalILi80ELi64ELi1EEvPfPK15HIP_vector_typeIfLj2EEiiiiS1_IjLj3EES5_S5_S5_,comdat
.Lfunc_end12:
	.size	_ZL33flash_attn_stream_k_fixup_generalILi80ELi64ELi1EEvPfPK15HIP_vector_typeIfLj2EEiiiiS1_IjLj3EES5_S5_S5_, .Lfunc_end12-_ZL33flash_attn_stream_k_fixup_generalILi80ELi64ELi1EEvPfPK15HIP_vector_typeIfLj2EEiiiiS1_IjLj3EES5_S5_S5_
                                        ; -- End function
	.section	.AMDGPU.csdata,"",@progbits
; Kernel info:
; codeLenInByte = 2820
; NumSgprs: 36
; NumVgprs: 22
; NumAgprs: 0
; TotalNumVgprs: 22
; ScratchSize: 0
; MemoryBound: 0
; FloatMode: 240
; IeeeMode: 1
; LDSByteSize: 0 bytes/workgroup (compile time only)
; SGPRBlocks: 4
; VGPRBlocks: 2
; NumSGPRsForWavesPerEU: 36
; NumVGPRsForWavesPerEU: 22
; AccumOffset: 24
; Occupancy: 8
; WaveLimiterHint : 0
; COMPUTE_PGM_RSRC2:SCRATCH_EN: 0
; COMPUTE_PGM_RSRC2:USER_SGPR: 6
; COMPUTE_PGM_RSRC2:TRAP_HANDLER: 0
; COMPUTE_PGM_RSRC2:TGID_X_EN: 1
; COMPUTE_PGM_RSRC2:TGID_Y_EN: 1
; COMPUTE_PGM_RSRC2:TGID_Z_EN: 1
; COMPUTE_PGM_RSRC2:TIDIG_COMP_CNT: 0
; COMPUTE_PGM_RSRC3_GFX90A:ACCUM_OFFSET: 5
; COMPUTE_PGM_RSRC3_GFX90A:TG_SPLIT: 0
	.section	.text._ZL26flash_attn_combine_resultsILi80EEvPKfPK15HIP_vector_typeIfLj2EEPfi,"axG",@progbits,_ZL26flash_attn_combine_resultsILi80EEvPKfPK15HIP_vector_typeIfLj2EEPfi,comdat
	.globl	_ZL26flash_attn_combine_resultsILi80EEvPKfPK15HIP_vector_typeIfLj2EEPfi ; -- Begin function _ZL26flash_attn_combine_resultsILi80EEvPKfPK15HIP_vector_typeIfLj2EEPfi
	.p2align	8
	.type	_ZL26flash_attn_combine_resultsILi80EEvPKfPK15HIP_vector_typeIfLj2EEPfi,@function
_ZL26flash_attn_combine_resultsILi80EEvPKfPK15HIP_vector_typeIfLj2EEPfi: ; @_ZL26flash_attn_combine_resultsILi80EEvPKfPK15HIP_vector_typeIfLj2EEPfi
; %bb.0:
	s_load_dwordx2 s[0:1], s[4:5], 0x20
	s_load_dword s21, s[4:5], 0x18
	s_load_dwordx4 s[16:19], s[4:5], 0x0
	s_load_dwordx2 s[14:15], s[4:5], 0x10
	s_waitcnt lgkmcnt(0)
	s_mul_i32 s0, s0, s8
	s_add_i32 s0, s0, s6
	s_mul_i32 s20, s0, s1
	s_add_i32 s20, s20, s7
	s_lshl_b32 s10, s21, 1
	s_mul_i32 s0, s20, s21
	v_cmp_gt_i32_e32 vcc, s10, v0
	s_and_saveexec_b64 s[2:3], vcc
	s_cbranch_execz .LBB13_13
; %bb.1:
	v_xad_u32 v1, v0, -1, s10
	s_movk_i32 s4, 0x4f
	s_ashr_i32 s1, s0, 31
	v_cmp_lt_u32_e32 vcc, s4, v1
	s_mov_b64 s[6:7], -1
	v_mov_b32_e32 v2, v0
	s_and_saveexec_b64 s[4:5], vcc
	s_cbranch_execz .LBB13_10
; %bb.2:
	s_mov_b32 s6, 0xcccccccd
	v_mul_hi_u32 v1, v1, s6
	v_lshrrev_b32_e32 v6, 6, v1
	s_lshl_b64 s[6:7], s[0:1], 3
	v_add_u32_e32 v2, -1, v6
	s_add_u32 s11, s18, s6
	v_add_u32_e32 v1, 0x50, v0
	v_lshrrev_b32_e32 v3, 1, v2
	s_addc_u32 s12, s19, s7
	v_add_u32_e32 v7, 1, v3
	v_cmp_lt_u32_e32 vcc, 13, v2
	v_mov_b32_e32 v4, 0
	v_pk_mov_b32 v[2:3], v[0:1], v[0:1] op_sel:[0,1]
	s_and_saveexec_b64 s[6:7], vcc
	s_cbranch_execz .LBB13_6
; %bb.3:
	v_and_b32_e32 v8, -8, v7
	s_mov_b32 s13, 0
	v_lshl_add_u32 v9, v0, 2, 0
	s_mov_b64 s[8:9], 0
	v_mov_b32_e32 v10, s12
	v_mov_b32_e32 v5, 0
	v_pk_mov_b32 v[2:3], v[0:1], v[0:1] op_sel:[0,1]
.LBB13_4:                               ; =>This Inner Loop Header: Depth=1
	v_mov_b32_e32 v4, v2
	v_lshlrev_b64 v[26:27], 2, v[4:5]
	v_add_u32_e32 v12, 0xa0, v3
	v_mov_b32_e32 v13, v5
	v_add_co_u32_e32 v26, vcc, s11, v26
	v_lshlrev_b64 v[12:13], 2, v[12:13]
	v_addc_co_u32_e32 v27, vcc, v10, v27, vcc
	v_add_u32_e32 v14, 0x140, v3
	v_mov_b32_e32 v15, v5
	v_add_co_u32_e32 v12, vcc, s11, v12
	v_lshlrev_b64 v[14:15], 2, v[14:15]
	v_addc_co_u32_e32 v13, vcc, v10, v13, vcc
	;; [unrolled: 5-line block ×7, first 2 shown]
	v_mov_b32_e32 v4, v3
	v_add_co_u32_e32 v24, vcc, s11, v24
	v_lshlrev_b64 v[28:29], 2, v[4:5]
	v_addc_co_u32_e32 v25, vcc, v10, v25, vcc
	v_add_u32_e32 v4, 0xa0, v2
	v_add_co_u32_e32 v28, vcc, s11, v28
	v_addc_co_u32_e32 v29, vcc, v10, v29, vcc
	global_load_dword v1, v[26:27], off
	v_lshlrev_b64 v[26:27], 2, v[4:5]
	v_add_u32_e32 v4, 0x140, v2
	v_add_co_u32_e32 v26, vcc, s11, v26
	v_addc_co_u32_e32 v27, vcc, v10, v27, vcc
	v_lshlrev_b64 v[30:31], 2, v[4:5]
	v_add_u32_e32 v4, 0x1e0, v2
	global_load_dword v11, v[28:29], off
	global_load_dword v32, v[26:27], off
	;; [unrolled: 1-line block ×3, first 2 shown]
	v_add_co_u32_e32 v12, vcc, s11, v30
	v_addc_co_u32_e32 v13, vcc, v10, v31, vcc
	v_lshlrev_b64 v[26:27], 2, v[4:5]
	v_add_u32_e32 v4, 0x280, v2
	v_add_co_u32_e32 v26, vcc, s11, v26
	v_addc_co_u32_e32 v27, vcc, v10, v27, vcc
	v_lshlrev_b64 v[28:29], 2, v[4:5]
	v_add_u32_e32 v4, 0x320, v2
	global_load_dword v30, v[12:13], off
	global_load_dword v31, v[14:15], off
	;; [unrolled: 1-line block ×4, first 2 shown]
	v_add_co_u32_e32 v12, vcc, s11, v28
	v_addc_co_u32_e32 v13, vcc, v10, v29, vcc
	v_lshlrev_b64 v[14:15], 2, v[4:5]
	v_add_u32_e32 v4, 0x3c0, v2
	v_add_co_u32_e32 v14, vcc, s11, v14
	v_addc_co_u32_e32 v15, vcc, v10, v15, vcc
	v_lshlrev_b64 v[16:17], 2, v[4:5]
	v_add_u32_e32 v4, 0x460, v2
	global_load_dword v26, v[12:13], off
	global_load_dword v27, v[18:19], off
	;; [unrolled: 1-line block ×4, first 2 shown]
	v_add_co_u32_e32 v12, vcc, s11, v16
	v_addc_co_u32_e32 v13, vcc, v10, v17, vcc
	v_lshlrev_b64 v[14:15], 2, v[4:5]
	v_add_co_u32_e32 v14, vcc, s11, v14
	v_addc_co_u32_e32 v15, vcc, v10, v15, vcc
	global_load_dword v16, v[12:13], off
	global_load_dword v17, v[22:23], off
	;; [unrolled: 1-line block ×4, first 2 shown]
	v_add_u32_e32 v8, -8, v8
	s_add_i32 s13, s13, 16
	v_cmp_eq_u32_e32 vcc, 0, v8
	v_add_u32_e32 v12, 0x400, v9
	v_add_u32_e32 v13, 0x600, v9
	;; [unrolled: 1-line block ×7, first 2 shown]
	v_mov_b32_e32 v4, s13
	s_or_b64 s[8:9], vcc, s[8:9]
	v_add_u32_e32 v2, 0x500, v2
	s_waitcnt vmcnt(14)
	ds_write2_b32 v9, v1, v11 offset1:80
	s_waitcnt vmcnt(12)
	ds_write2_b32 v9, v32, v33 offset0:160 offset1:240
	v_add_u32_e32 v9, 0x1400, v9
	s_waitcnt vmcnt(10)
	ds_write2_b32 v12, v30, v31 offset0:64 offset1:144
	s_waitcnt vmcnt(8)
	ds_write2_b32 v13, v34, v35 offset0:96 offset1:176
	;; [unrolled: 2-line block ×6, first 2 shown]
	s_andn2_b64 exec, exec, s[8:9]
	s_cbranch_execnz .LBB13_4
; %bb.5:
	s_or_b64 exec, exec, s[8:9]
.LBB13_6:
	s_or_b64 exec, exec, s[6:7]
	v_and_b32_e32 v1, 7, v7
	v_cmp_ne_u32_e32 vcc, 0, v1
	s_and_saveexec_b64 s[6:7], vcc
	s_cbranch_execz .LBB13_9
; %bb.7:
	s_movk_i32 s8, 0x140
	v_mul_lo_u32 v4, v4, s8
	v_lshlrev_b32_e32 v5, 2, v0
	v_add3_u32 v7, v4, v5, 0
	s_mov_b64 s[8:9], 0
	v_mov_b32_e32 v8, s12
	v_mov_b32_e32 v5, 0
.LBB13_8:                               ; =>This Inner Loop Header: Depth=1
	v_mov_b32_e32 v4, v2
	v_lshlrev_b64 v[10:11], 2, v[4:5]
	v_mov_b32_e32 v4, v3
	v_add_co_u32_e32 v10, vcc, s11, v10
	v_addc_co_u32_e32 v11, vcc, v8, v11, vcc
	v_lshlrev_b64 v[12:13], 2, v[4:5]
	v_add_co_u32_e32 v12, vcc, s11, v12
	v_addc_co_u32_e32 v13, vcc, v8, v13, vcc
	global_load_dword v4, v[10:11], off
	global_load_dword v9, v[12:13], off
	v_add_u32_e32 v1, -1, v1
	v_cmp_eq_u32_e32 vcc, 0, v1
	v_add_u32_e32 v2, 0xa0, v2
	v_add_u32_e32 v3, 0xa0, v3
	s_or_b64 s[8:9], vcc, s[8:9]
	s_waitcnt vmcnt(0)
	ds_write2_b32 v7, v4, v9 offset1:80
	v_add_u32_e32 v7, 0x280, v7
	s_andn2_b64 exec, exec, s[8:9]
	s_cbranch_execnz .LBB13_8
.LBB13_9:
	s_or_b64 exec, exec, s[6:7]
	v_add_u32_e32 v1, 1, v6
	v_and_b32_e32 v4, 0x7fffffe, v1
	s_movk_i32 s6, 0x50
	v_mad_u64_u32 v[2:3], s[6:7], v4, s6, v[0:1]
	v_cmp_ne_u32_e32 vcc, v1, v4
	s_orn2_b64 s[6:7], vcc, exec
.LBB13_10:
	s_or_b64 exec, exec, s[4:5]
	s_and_b64 exec, exec, s[6:7]
	s_cbranch_execz .LBB13_13
; %bb.11:
	s_lshl_b64 s[4:5], s[0:1], 3
	v_mov_b32_e32 v3, 0
	s_add_u32 s1, s18, s4
	v_lshlrev_b64 v[4:5], 2, v[2:3]
	s_addc_u32 s4, s19, s5
	v_mov_b32_e32 v1, s4
	v_add_co_u32_e32 v4, vcc, s1, v4
	v_addc_co_u32_e32 v5, vcc, v1, v5, vcc
	v_lshl_add_u32 v1, v2, 2, 0
	s_mov_b64 s[4:5], 0
.LBB13_12:                              ; =>This Inner Loop Header: Depth=1
	global_load_dword v3, v[4:5], off
	v_add_co_u32_e32 v4, vcc, 0x140, v4
	v_add_u32_e32 v2, 0x50, v2
	v_addc_co_u32_e32 v5, vcc, 0, v5, vcc
	v_cmp_le_i32_e32 vcc, s10, v2
	s_or_b64 s[4:5], vcc, s[4:5]
	s_waitcnt vmcnt(0)
	ds_write_b32 v1, v3
	v_add_u32_e32 v1, 0x140, v1
	s_andn2_b64 exec, exec, s[4:5]
	s_cbranch_execnz .LBB13_12
.LBB13_13:
	s_or_b64 exec, exec, s[2:3]
	v_mov_b32_e32 v1, 0
	s_waitcnt lgkmcnt(0)
	s_barrier
	ds_read_b32 v1, v1
	s_cmp_lt_i32 s21, 2
	s_cbranch_scc1 .LBB13_21
; %bb.14:
	s_add_i32 s1, s21, -1
	s_add_i32 s2, s21, -2
	s_cmp_lt_u32 s2, 7
	s_cbranch_scc1 .LBB13_18
; %bb.15:
	s_mov_b32 s4, 0
	s_add_i32 s2, 0, 8
	s_and_b32 s3, s1, -8
.LBB13_16:                              ; =>This Inner Loop Header: Depth=1
	v_mov_b32_e32 v8, s2
	ds_read2_b32 v[2:3], v8 offset1:2
	ds_read2_b32 v[4:5], v8 offset0:4 offset1:6
	ds_read2_b32 v[6:7], v8 offset0:8 offset1:10
	;; [unrolled: 1-line block ×3, first 2 shown]
	s_mov_b32 s5, s4
	s_waitcnt lgkmcnt(3)
	v_max3_f32 v1, v1, v2, v3
	s_waitcnt lgkmcnt(2)
	v_max3_f32 v1, v1, v4, v5
	s_add_i32 s2, s2, 64
	s_add_i32 s4, s4, 8
	s_waitcnt lgkmcnt(1)
	v_max3_f32 v1, v1, v6, v7
	s_cmp_eq_u32 s3, s4
	s_waitcnt lgkmcnt(0)
	v_max3_f32 v1, v1, v8, v9
	s_cbranch_scc0 .LBB13_16
; %bb.17:
	s_add_i32 s2, s5, 9
	s_and_b32 s1, s1, 7
	s_cmp_eq_u32 s1, 0
	s_cbranch_scc0 .LBB13_19
	s_branch .LBB13_21
.LBB13_18:
	s_mov_b32 s2, 1
	s_and_b32 s1, s1, 7
	s_cmp_eq_u32 s1, 0
	s_cbranch_scc1 .LBB13_21
.LBB13_19:
	s_lshl_b32 s2, s2, 3
	s_add_i32 s2, s2, 0
.LBB13_20:                              ; =>This Inner Loop Header: Depth=1
	v_mov_b32_e32 v2, s2
	ds_read_b32 v2, v2
	s_waitcnt lgkmcnt(1)
	v_max_f32_e32 v1, v1, v1
	s_add_i32 s2, s2, 8
	s_add_i32 s1, s1, -1
	s_cmp_lg_u32 s1, 0
	s_waitcnt lgkmcnt(0)
	v_max_f32_e32 v2, v2, v2
	v_max_f32_e32 v1, v1, v2
	s_cbranch_scc1 .LBB13_20
.LBB13_21:
	s_cmp_lt_i32 s21, 1
	s_cbranch_scc1 .LBB13_26
; %bb.22:
	s_mul_i32 s18, s0, 0x50
	s_ashr_i32 s19, s18, 31
	s_cmp_lt_u32 s21, 8
	v_mov_b32_e32 v8, 0
	s_cbranch_scc1 .LBB13_27
; %bb.23:
	s_lshl_b64 s[0:1], s[18:19], 2
	s_add_u32 s23, s16, s0
	s_addc_u32 s0, s17, s1
	v_lshlrev_b32_e32 v2, 2, v0
	v_mov_b32_e32 v10, s0
	v_add_co_u32_e32 v2, vcc, s23, v2
	v_addc_co_u32_e32 v3, vcc, 0, v10, vcc
	v_add_co_u32_e32 v2, vcc, 0x140, v2
	s_and_b32 s22, s21, 0x7ffffff8
	v_addc_co_u32_e32 v3, vcc, 0, v3, vcc
	v_add_u32_e32 v4, 0x140, v0
	s_mov_b32 s24, 0
	v_mov_b32_e32 v7, 0
	s_mov_b32 s25, 0x3fb8aa3b
	s_mov_b32 s26, 0xc2ce8ed0
	;; [unrolled: 1-line block ×3, first 2 shown]
	v_mov_b32_e32 v11, 0x7f800000
	s_mov_b32 s28, 0
	v_mov_b32_e32 v9, 0
	v_mov_b32_e32 v8, 0
.LBB13_24:                              ; =>This Inner Loop Header: Depth=1
	v_add_u32_e32 v6, 0xfffffec0, v4
	global_load_dword v36, v[2:3], off
	global_load_dword v37, v[2:3], off offset:320
	v_add_co_u32_e32 v2, vcc, 0xa00, v2
	v_lshlrev_b64 v[28:29], 2, v[6:7]
	v_addc_co_u32_e32 v3, vcc, 0, v3, vcc
	v_mov_b32_e32 v5, v7
	v_add_co_u32_e32 v28, vcc, s23, v28
	v_lshlrev_b64 v[30:31], 2, v[4:5]
	v_addc_co_u32_e32 v29, vcc, v10, v29, vcc
	v_add_u32_e32 v6, 0xffffffb0, v4
	v_add_co_u32_e32 v30, vcc, s23, v30
	v_mov_b32_e32 v24, s24
	v_lshlrev_b64 v[32:33], 2, v[6:7]
	v_addc_co_u32_e32 v31, vcc, v10, v31, vcc
	ds_read2_b64 v[12:15], v24 offset1:1
	ds_read2_b64 v[16:19], v24 offset0:2 offset1:3
	ds_read2_b64 v[20:23], v24 offset0:4 offset1:5
	;; [unrolled: 1-line block ×3, first 2 shown]
	v_add_u32_e32 v6, 0x50, v4
	global_load_dword v5, v[28:29], off
	v_add_co_u32_e32 v28, vcc, s23, v32
	v_addc_co_u32_e32 v29, vcc, v10, v33, vcc
	v_lshlrev_b64 v[32:33], 2, v[6:7]
	v_add_u32_e32 v6, 0xa0, v4
	v_add_co_u32_e32 v32, vcc, s23, v32
	v_addc_co_u32_e32 v33, vcc, v10, v33, vcc
	v_lshlrev_b64 v[34:35], 2, v[6:7]
	v_add_u32_e32 v6, 0xf0, v4
	global_load_dword v38, v[28:29], off
	global_load_dword v39, v[30:31], off
	;; [unrolled: 1-line block ×3, first 2 shown]
	v_add_co_u32_e32 v28, vcc, s23, v34
	v_addc_co_u32_e32 v29, vcc, v10, v35, vcc
	v_lshlrev_b64 v[30:31], 2, v[6:7]
	v_add_co_u32_e32 v30, vcc, s23, v30
	s_waitcnt lgkmcnt(3)
	v_sub_f32_e32 v6, v12, v1
	v_sub_f32_e32 v12, v14, v1
	s_waitcnt lgkmcnt(2)
	v_sub_f32_e32 v14, v16, v1
	v_sub_f32_e32 v16, v18, v1
	;; [unrolled: 3-line block ×4, first 2 shown]
	v_addc_co_u32_e32 v31, vcc, v10, v31, vcc
	global_load_dword v26, v[28:29], off
	v_mul_f32_e32 v32, 0x3fb8aa3b, v14
	global_load_dword v30, v[30:31], off
	v_mul_f32_e32 v28, 0x3fb8aa3b, v6
	v_fma_f32 v31, v6, s25, -v28
	v_rndne_f32_e32 v43, v28
	v_mul_f32_e32 v29, 0x3fb8aa3b, v12
	v_mul_f32_e32 v33, 0x3fb8aa3b, v16
	;; [unrolled: 1-line block ×3, first 2 shown]
	v_fmac_f32_e32 v31, 0x32a5705f, v6
	v_sub_f32_e32 v28, v28, v43
	v_fma_f32 v44, v12, s25, -v29
	v_rndne_f32_e32 v45, v29
	v_fma_f32 v46, v14, s25, -v32
	v_rndne_f32_e32 v47, v32
	;; [unrolled: 2-line block ×3, first 2 shown]
	v_fma_f32 v50, v18, s25, -v34
	v_add_f32_e32 v28, v28, v31
	v_rndne_f32_e32 v31, v34
	v_mul_f32_e32 v35, 0x3fb8aa3b, v20
	v_mul_f32_e32 v41, 0x3fb8aa3b, v22
	v_fmac_f32_e32 v44, 0x32a5705f, v12
	v_sub_f32_e32 v29, v29, v45
	v_fmac_f32_e32 v46, 0x32a5705f, v14
	v_sub_f32_e32 v32, v32, v47
	;; [unrolled: 2-line block ×4, first 2 shown]
	v_add_f32_e32 v29, v29, v44
	v_fma_f32 v44, v20, s25, -v35
	v_add_f32_e32 v32, v32, v46
	v_rndne_f32_e32 v46, v35
	v_add_f32_e32 v33, v33, v48
	v_fma_f32 v48, v22, s25, -v41
	v_add_f32_e32 v34, v34, v50
	v_rndne_f32_e32 v50, v41
	v_mul_f32_e32 v42, 0x3fb8aa3b, v24
	v_fmac_f32_e32 v44, 0x32a5705f, v20
	v_sub_f32_e32 v35, v35, v46
	v_fmac_f32_e32 v48, 0x32a5705f, v22
	v_sub_f32_e32 v41, v41, v50
	v_add_f32_e32 v35, v35, v44
	v_fma_f32 v44, v24, s25, -v42
	v_add_f32_e32 v41, v41, v48
	v_rndne_f32_e32 v48, v42
	v_cvt_i32_f32_e32 v43, v43
	v_fmac_f32_e32 v44, 0x32a5705f, v24
	v_sub_f32_e32 v42, v42, v48
	v_exp_f32_e32 v28, v28
	v_cvt_i32_f32_e32 v45, v45
	v_add_f32_e32 v42, v42, v44
	v_exp_f32_e32 v29, v29
	v_cvt_i32_f32_e32 v47, v47
	v_cvt_i32_f32_e32 v49, v49
	;; [unrolled: 1-line block ×6, first 2 shown]
	v_exp_f32_e32 v32, v32
	v_exp_f32_e32 v33, v33
	;; [unrolled: 1-line block ×6, first 2 shown]
	v_ldexp_f32 v28, v28, v43
	v_cmp_ngt_f32_e64 s[12:13], s26, v6
	v_ldexp_f32 v29, v29, v45
	v_cmp_ngt_f32_e32 vcc, s26, v12
	v_cndmask_b32_e64 v28, 0, v28, s[12:13]
	v_cmp_nlt_f32_e64 s[12:13], s27, v6
	v_ldexp_f32 v32, v32, v47
	v_cmp_ngt_f32_e64 s[0:1], s26, v14
	v_ldexp_f32 v33, v33, v49
	v_cmp_ngt_f32_e64 s[2:3], s26, v16
	v_ldexp_f32 v31, v34, v31
	v_cmp_ngt_f32_e64 s[4:5], s26, v18
	v_ldexp_f32 v34, v35, v46
	v_cmp_ngt_f32_e64 s[6:7], s26, v20
	v_ldexp_f32 v35, v41, v50
	v_cmp_ngt_f32_e64 s[8:9], s26, v22
	v_ldexp_f32 v41, v42, v48
	v_cmp_ngt_f32_e64 s[10:11], s26, v24
	v_cndmask_b32_e32 v29, 0, v29, vcc
	v_cmp_nlt_f32_e32 vcc, s27, v12
	v_cndmask_b32_e64 v6, v11, v28, s[12:13]
	v_cndmask_b32_e64 v12, 0, v32, s[0:1]
	v_cmp_nlt_f32_e64 s[0:1], s27, v14
	v_cndmask_b32_e64 v14, 0, v33, s[2:3]
	v_cmp_nlt_f32_e64 s[2:3], s27, v16
	;; [unrolled: 2-line block ×6, first 2 shown]
	v_cndmask_b32_e32 v24, v11, v29, vcc
	v_fmac_f32_e32 v9, v6, v13
	s_waitcnt vmcnt(5)
	v_fmac_f32_e32 v8, v5, v6
	v_cndmask_b32_e64 v12, v11, v12, s[0:1]
	v_fmac_f32_e32 v9, v24, v15
	v_fmac_f32_e32 v8, v36, v24
	v_cndmask_b32_e64 v14, v11, v14, s[2:3]
	v_fmac_f32_e32 v9, v12, v17
	;; [unrolled: 3-line block ×3, first 2 shown]
	s_waitcnt vmcnt(4)
	v_fmac_f32_e32 v8, v38, v14
	v_cndmask_b32_e64 v18, v11, v18, s[6:7]
	v_fmac_f32_e32 v9, v16, v21
	s_waitcnt vmcnt(3)
	v_fmac_f32_e32 v8, v39, v16
	v_cndmask_b32_e64 v20, v11, v20, s[8:9]
	v_fmac_f32_e32 v9, v18, v23
	s_waitcnt vmcnt(2)
	v_fmac_f32_e32 v8, v40, v18
	s_add_i32 s28, s28, 8
	s_add_i32 s24, s24, 64
	v_cndmask_b32_e64 v22, v11, v22, s[10:11]
	v_fmac_f32_e32 v9, v20, v25
	s_waitcnt vmcnt(1)
	v_fmac_f32_e32 v8, v26, v20
	s_cmp_eq_u32 s22, s28
	v_add_u32_e32 v4, 0x280, v4
	v_fmac_f32_e32 v9, v22, v27
	s_waitcnt vmcnt(0)
	v_fmac_f32_e32 v8, v30, v22
	s_cbranch_scc0 .LBB13_24
; %bb.25:
	s_and_b32 s0, s21, 7
	s_cmp_eq_u32 s0, 0
	s_cbranch_scc0 .LBB13_28
	s_branch .LBB13_30
.LBB13_26:
	s_waitcnt lgkmcnt(0)
	v_mov_b32_e32 v1, 0x7fc00000
	s_branch .LBB13_31
.LBB13_27:
	s_mov_b32 s22, 0
	v_mov_b32_e32 v9, 0
	s_and_b32 s0, s21, 7
	s_cmp_eq_u32 s0, 0
	s_cbranch_scc1 .LBB13_30
.LBB13_28:
	s_lshl_b64 s[2:3], s[18:19], 2
	s_mul_i32 s1, s22, 0x50
	v_add_u32_e32 v2, s1, v0
	v_mov_b32_e32 v3, 0
	s_add_u32 s1, s16, s2
	v_lshlrev_b64 v[2:3], 2, v[2:3]
	s_addc_u32 s2, s17, s3
	v_mov_b32_e32 v4, s2
	v_add_co_u32_e32 v2, vcc, s1, v2
	s_lshl_b32 s1, s22, 3
	v_addc_co_u32_e32 v3, vcc, v4, v3, vcc
	s_add_i32 s1, s1, 0
	s_mov_b32 s2, 0x3fb8aa3b
	s_mov_b32 s3, 0xc2ce8ed0
	;; [unrolled: 1-line block ×3, first 2 shown]
	v_mov_b32_e32 v4, 0x7f800000
.LBB13_29:                              ; =>This Inner Loop Header: Depth=1
	global_load_dword v5, v[2:3], off
	v_mov_b32_e32 v6, s1
	ds_read_b64 v[6:7], v6
	v_add_co_u32_e32 v2, vcc, 0x140, v2
	v_addc_co_u32_e32 v3, vcc, 0, v3, vcc
	s_waitcnt lgkmcnt(0)
	v_sub_f32_e32 v6, v6, v1
	v_mul_f32_e32 v10, 0x3fb8aa3b, v6
	v_fma_f32 v11, v6, s2, -v10
	v_rndne_f32_e32 v12, v10
	v_fmac_f32_e32 v11, 0x32a5705f, v6
	v_sub_f32_e32 v10, v10, v12
	v_add_f32_e32 v10, v10, v11
	v_cvt_i32_f32_e32 v12, v12
	v_exp_f32_e32 v10, v10
	v_cmp_ngt_f32_e32 vcc, s3, v6
	s_add_i32 s1, s1, 8
	s_add_i32 s0, s0, -1
	v_ldexp_f32 v10, v10, v12
	v_cndmask_b32_e32 v10, 0, v10, vcc
	v_cmp_nlt_f32_e32 vcc, s4, v6
	v_cndmask_b32_e32 v6, v4, v10, vcc
	s_cmp_lg_u32 s0, 0
	v_fmac_f32_e32 v9, v6, v7
	s_waitcnt vmcnt(0)
	v_fmac_f32_e32 v8, v5, v6
	s_cbranch_scc1 .LBB13_29
.LBB13_30:
	s_waitcnt lgkmcnt(0)
	v_div_scale_f32 v1, s[0:1], v9, v9, v8
	v_rcp_f32_e32 v2, v1
	v_div_scale_f32 v3, vcc, v8, v9, v8
	v_fma_f32 v4, -v1, v2, 1.0
	v_fmac_f32_e32 v2, v4, v2
	v_mul_f32_e32 v4, v3, v2
	v_fma_f32 v5, -v1, v4, v3
	v_fmac_f32_e32 v4, v5, v2
	v_fma_f32 v1, -v1, v4, v3
	v_div_fmas_f32 v1, v1, v2, v4
	v_div_fixup_f32 v1, v1, v9, v8
.LBB13_31:
	s_mul_i32 s0, s20, 0x50
	s_ashr_i32 s1, s0, 31
	s_lshl_b64 s[0:1], s[0:1], 2
	s_add_u32 s0, s14, s0
	s_addc_u32 s1, s15, s1
	v_lshlrev_b32_e32 v0, 2, v0
	global_store_dword v0, v1, s[0:1]
	s_endpgm
	.section	.rodata,"a",@progbits
	.p2align	6, 0x0
	.amdhsa_kernel _ZL26flash_attn_combine_resultsILi80EEvPKfPK15HIP_vector_typeIfLj2EEPfi
		.amdhsa_group_segment_fixed_size 0
		.amdhsa_private_segment_fixed_size 0
		.amdhsa_kernarg_size 288
		.amdhsa_user_sgpr_count 6
		.amdhsa_user_sgpr_private_segment_buffer 1
		.amdhsa_user_sgpr_dispatch_ptr 0
		.amdhsa_user_sgpr_queue_ptr 0
		.amdhsa_user_sgpr_kernarg_segment_ptr 1
		.amdhsa_user_sgpr_dispatch_id 0
		.amdhsa_user_sgpr_flat_scratch_init 0
		.amdhsa_user_sgpr_kernarg_preload_length 0
		.amdhsa_user_sgpr_kernarg_preload_offset 0
		.amdhsa_user_sgpr_private_segment_size 0
		.amdhsa_uses_dynamic_stack 0
		.amdhsa_system_sgpr_private_segment_wavefront_offset 0
		.amdhsa_system_sgpr_workgroup_id_x 1
		.amdhsa_system_sgpr_workgroup_id_y 1
		.amdhsa_system_sgpr_workgroup_id_z 1
		.amdhsa_system_sgpr_workgroup_info 0
		.amdhsa_system_vgpr_workitem_id 0
		.amdhsa_next_free_vgpr 51
		.amdhsa_next_free_sgpr 29
		.amdhsa_accum_offset 52
		.amdhsa_reserve_vcc 1
		.amdhsa_reserve_flat_scratch 0
		.amdhsa_float_round_mode_32 0
		.amdhsa_float_round_mode_16_64 0
		.amdhsa_float_denorm_mode_32 3
		.amdhsa_float_denorm_mode_16_64 3
		.amdhsa_dx10_clamp 1
		.amdhsa_ieee_mode 1
		.amdhsa_fp16_overflow 0
		.amdhsa_tg_split 0
		.amdhsa_exception_fp_ieee_invalid_op 0
		.amdhsa_exception_fp_denorm_src 0
		.amdhsa_exception_fp_ieee_div_zero 0
		.amdhsa_exception_fp_ieee_overflow 0
		.amdhsa_exception_fp_ieee_underflow 0
		.amdhsa_exception_fp_ieee_inexact 0
		.amdhsa_exception_int_div_zero 0
	.end_amdhsa_kernel
	.section	.text._ZL26flash_attn_combine_resultsILi80EEvPKfPK15HIP_vector_typeIfLj2EEPfi,"axG",@progbits,_ZL26flash_attn_combine_resultsILi80EEvPKfPK15HIP_vector_typeIfLj2EEPfi,comdat
.Lfunc_end13:
	.size	_ZL26flash_attn_combine_resultsILi80EEvPKfPK15HIP_vector_typeIfLj2EEPfi, .Lfunc_end13-_ZL26flash_attn_combine_resultsILi80EEvPKfPK15HIP_vector_typeIfLj2EEPfi
                                        ; -- End function
	.section	.AMDGPU.csdata,"",@progbits
; Kernel info:
; codeLenInByte = 3136
; NumSgprs: 33
; NumVgprs: 51
; NumAgprs: 0
; TotalNumVgprs: 51
; ScratchSize: 0
; MemoryBound: 0
; FloatMode: 240
; IeeeMode: 1
; LDSByteSize: 0 bytes/workgroup (compile time only)
; SGPRBlocks: 4
; VGPRBlocks: 6
; NumSGPRsForWavesPerEU: 33
; NumVGPRsForWavesPerEU: 51
; AccumOffset: 52
; Occupancy: 8
; WaveLimiterHint : 1
; COMPUTE_PGM_RSRC2:SCRATCH_EN: 0
; COMPUTE_PGM_RSRC2:USER_SGPR: 6
; COMPUTE_PGM_RSRC2:TRAP_HANDLER: 0
; COMPUTE_PGM_RSRC2:TGID_X_EN: 1
; COMPUTE_PGM_RSRC2:TGID_Y_EN: 1
; COMPUTE_PGM_RSRC2:TGID_Z_EN: 1
; COMPUTE_PGM_RSRC2:TIDIG_COMP_CNT: 0
; COMPUTE_PGM_RSRC3_GFX90A:ACCUM_OFFSET: 12
; COMPUTE_PGM_RSRC3_GFX90A:TG_SPLIT: 0
	.section	.text._ZL18flash_attn_ext_f16ILi96ELi96ELi64ELi1ELb0ELb0EEvPKcS1_S1_S1_S1_PKiPfP15HIP_vector_typeIfLj2EEffffjfiS5_IjLj3EEiiiiiiiiiiiliiliiiiil,"axG",@progbits,_ZL18flash_attn_ext_f16ILi96ELi96ELi64ELi1ELb0ELb0EEvPKcS1_S1_S1_S1_PKiPfP15HIP_vector_typeIfLj2EEffffjfiS5_IjLj3EEiiiiiiiiiiiliiliiiiil,comdat
	.globl	_ZL18flash_attn_ext_f16ILi96ELi96ELi64ELi1ELb0ELb0EEvPKcS1_S1_S1_S1_PKiPfP15HIP_vector_typeIfLj2EEffffjfiS5_IjLj3EEiiiiiiiiiiiliiliiiiil ; -- Begin function _ZL18flash_attn_ext_f16ILi96ELi96ELi64ELi1ELb0ELb0EEvPKcS1_S1_S1_S1_PKiPfP15HIP_vector_typeIfLj2EEffffjfiS5_IjLj3EEiiiiiiiiiiiliiliiiiil
	.p2align	8
	.type	_ZL18flash_attn_ext_f16ILi96ELi96ELi64ELi1ELb0ELb0EEvPKcS1_S1_S1_S1_PKiPfP15HIP_vector_typeIfLj2EEffffjfiS5_IjLj3EEiiiiiiiiiiiliiliiiiil,@function
_ZL18flash_attn_ext_f16ILi96ELi96ELi64ELi1ELb0ELb0EEvPKcS1_S1_S1_S1_PKiPfP15HIP_vector_typeIfLj2EEffffjfiS5_IjLj3EEiiiiiiiiiiiliiliiiiil: ; @_ZL18flash_attn_ext_f16ILi96ELi96ELi64ELi1ELb0ELb0EEvPKcS1_S1_S1_S1_PKiPfP15HIP_vector_typeIfLj2EEffffjfiS5_IjLj3EEiiiiiiiiiiiliiliiiiil
; %bb.0:
	s_load_dwordx2 s[14:15], s[4:5], 0x80
	s_load_dwordx4 s[88:91], s[4:5], 0x64
	s_add_u32 flat_scratch_lo, s6, s9
	s_addc_u32 flat_scratch_hi, s7, 0
	s_add_u32 s0, s0, s9
	s_addc_u32 s1, s1, 0
	s_waitcnt lgkmcnt(0)
	s_abs_i32 s7, s15
	v_mov_b32_e32 v4, v0
	v_cvt_f32_u32_e32 v0, s7
	s_sub_i32 s10, 0, s7
	s_abs_i32 s9, s89
	s_mov_b32 s23, s8
	v_rcp_iflag_f32_e32 v0, v0
	s_xor_b32 s8, s89, s15
	s_ashr_i32 s8, s8, 31
                                        ; implicit-def: $vgpr253 : SGPR spill to VGPR lane
	s_load_dword s24, s[4:5], 0xd0
	v_mul_f32_e32 v0, 0x4f7ffffe, v0
	v_cvt_u32_f32_e32 v0, v0
	s_mov_b32 s6, 0
	v_cvt_f32_ubyte0_e32 v3, 0
	s_waitcnt lgkmcnt(0)
	v_cvt_f32_u32_e32 v2, s24
	v_readfirstlane_b32 s11, v0
	s_mul_i32 s10, s10, s11
	s_mul_hi_u32 s10, s11, s10
	s_add_i32 s11, s11, s10
	s_mul_hi_u32 s10, s9, s11
	s_mul_i32 s11, s10, s7
	s_sub_i32 s9, s9, s11
	s_add_i32 s12, s10, 1
	s_sub_i32 s11, s9, s7
	s_cmp_ge_u32 s9, s7
	s_cselect_b32 s10, s12, s10
	s_cselect_b32 s9, s11, s9
	s_add_i32 s11, s10, 1
	s_cmp_ge_u32 s9, s7
	s_cselect_b32 s7, s11, s10
	s_add_i32 s9, s14, 63
	s_xor_b32 s7, s7, s8
	s_ashr_i32 s10, s9, 31
	s_sub_i32 s8, s7, s8
	s_lshr_b32 s7, s10, 26
	s_add_i32 s9, s9, s7
	s_add_i32 s7, s88, 63
	s_lshr_b32 s7, s7, 6
	s_ashr_i32 s9, s9, 6
	v_writelane_b32 v253, s7, 0
	v_writelane_b32 v253, s9, 1
	s_mul_i32 s7, s7, s9
	v_writelane_b32 v253, s8, 2
	v_writelane_b32 v253, s7, 3
	s_mul_i32 s7, s7, s8
	s_mov_b32 s8, s14
	v_writelane_b32 v253, s8, 4
	v_writelane_b32 v253, s9, 5
	;; [unrolled: 1-line block ×3, first 2 shown]
	s_mul_i32 s7, s7, s15
	s_mul_i32 s10, s7, s90
	s_ashr_i32 s11, s10, 31
	v_writelane_b32 v253, s7, 7
	s_mul_i32 s7, s11, s23
	s_mul_hi_u32 s8, s10, s23
	s_add_i32 s7, s8, s7
	s_add_u32 s8, s4, 0xd0
	s_addc_u32 s9, s5, 0
	v_writelane_b32 v253, s8, 8
	s_mul_i32 s12, s10, s23
	v_writelane_b32 v253, s9, 9
	s_cmp_lg_u64 s[6:7], 0
	s_cbranch_scc0 .LBB14_2
; %bb.1:
	v_madmk_f32 v0, v3, 0x4f800000, v2
	v_rcp_f32_e32 v0, v0
	s_sub_u32 s6, 0, s24
	s_subb_u32 s13, 0, 0
	s_mov_b64 s[8:9], 0
	v_mul_f32_e32 v0, 0x5f7ffffc, v0
	v_mul_f32_e32 v1, 0x2f800000, v0
	v_trunc_f32_e32 v1, v1
	v_madmk_f32 v0, v1, 0xcf800000, v0
	v_cvt_u32_f32_e32 v1, v1
	v_cvt_u32_f32_e32 v0, v0
	v_readfirstlane_b32 s14, v1
	v_readfirstlane_b32 s15, v0
	s_mul_hi_u32 s17, s6, s15
	s_mul_i32 s18, s6, s14
	s_mul_i32 s16, s13, s15
	s_add_i32 s17, s17, s18
	s_add_i32 s17, s17, s16
	s_mul_i32 s19, s6, s15
	s_mul_hi_u32 s16, s15, s17
	s_mul_i32 s18, s15, s17
	s_mul_hi_u32 s15, s15, s19
	s_add_u32 s15, s15, s18
	s_addc_u32 s16, 0, s16
	s_mul_hi_u32 s20, s14, s19
	s_mul_i32 s19, s14, s19
	s_add_u32 s15, s15, s19
	s_mul_hi_u32 s18, s14, s17
	s_addc_u32 s15, s16, s20
	s_addc_u32 s16, s18, 0
	s_mul_i32 s17, s14, s17
	s_add_u32 s15, s15, s17
	s_addc_u32 s16, 0, s16
	v_add_co_u32_e32 v0, vcc, s15, v0
	s_cmp_lg_u64 vcc, 0
	s_addc_u32 s14, s14, s16
	v_readfirstlane_b32 s16, v0
	s_mul_i32 s15, s6, s14
	s_mul_hi_u32 s17, s6, s16
	s_add_i32 s15, s17, s15
	s_mul_i32 s13, s13, s16
	s_add_i32 s15, s15, s13
	s_mul_i32 s6, s6, s16
	s_mul_hi_u32 s17, s14, s6
	s_mul_i32 s18, s14, s6
	s_mul_i32 s20, s16, s15
	s_mul_hi_u32 s6, s16, s6
	s_mul_hi_u32 s19, s16, s15
	s_add_u32 s6, s6, s20
	s_addc_u32 s16, 0, s19
	s_add_u32 s6, s6, s18
	s_mul_hi_u32 s13, s14, s15
	s_addc_u32 s6, s16, s17
	s_addc_u32 s13, s13, 0
	s_mul_i32 s15, s14, s15
	s_add_u32 s6, s6, s15
	s_addc_u32 s13, 0, s13
	v_add_co_u32_e32 v0, vcc, s6, v0
	s_cmp_lg_u64 vcc, 0
	s_addc_u32 s13, s14, s13
	s_ashr_i32 s14, s7, 31
	s_add_u32 s6, s12, s14
	s_mov_b32 s15, s14
	s_addc_u32 s7, s7, s14
	s_xor_b64 s[6:7], s[6:7], s[14:15]
	v_readfirstlane_b32 s18, v0
	s_mul_i32 s17, s6, s13
	s_mul_hi_u32 s19, s6, s18
	s_mul_hi_u32 s16, s6, s13
	s_add_u32 s17, s19, s17
	s_addc_u32 s16, 0, s16
	s_mul_hi_u32 s20, s7, s18
	s_mul_i32 s18, s7, s18
	s_add_u32 s17, s17, s18
	s_mul_hi_u32 s19, s7, s13
	s_addc_u32 s16, s16, s20
	s_addc_u32 s17, s19, 0
	s_mul_i32 s13, s7, s13
	s_add_u32 s13, s16, s13
	s_addc_u32 s16, 0, s17
	s_add_u32 s17, s13, 1
	s_addc_u32 s18, s16, 0
	s_add_u32 s19, s13, 2
	s_mul_i32 s21, s24, s16
	s_mul_hi_u32 s22, s24, s13
	s_addc_u32 s20, s16, 0
	s_add_i32 s22, s22, s21
	s_mul_i32 s21, s24, s13
	v_mov_b32_e32 v0, s21
	v_sub_co_u32_e32 v0, vcc, s6, v0
	s_cmp_lg_u64 vcc, 0
	s_subb_u32 s6, s7, s22
	v_subrev_co_u32_e32 v1, vcc, s24, v0
	s_cmp_lg_u64 vcc, 0
	s_subb_u32 s7, s6, 0
	v_readfirstlane_b32 s21, v1
	s_cmp_ge_u32 s21, s24
	s_cselect_b32 s21, -1, 0
	s_cmp_eq_u32 s7, 0
	s_cselect_b32 s7, s21, -1
	s_cmp_lg_u32 s7, 0
	s_cselect_b32 s7, s20, s18
	v_readfirstlane_b32 s18, v0
	s_cselect_b32 s17, s19, s17
	s_cmp_ge_u32 s18, s24
	s_cselect_b32 s18, -1, 0
	s_cmp_eq_u32 s6, 0
	s_cselect_b32 s6, s18, -1
	s_cmp_lg_u32 s6, 0
	s_cselect_b32 s7, s7, s16
	s_cselect_b32 s6, s17, s13
	s_xor_b64 s[6:7], s[6:7], s[14:15]
	s_sub_u32 s98, s6, s14
	s_branch .LBB14_3
.LBB14_2:
	s_mov_b64 s[8:9], -1
                                        ; implicit-def: $sgpr98_sgpr99
.LBB14_3:
	s_load_dwordx2 s[6:7], s[4:5], 0x74
	v_cvt_f32_u32_e32 v1, s24
	s_andn2_b64 vcc, exec, s[8:9]
	s_waitcnt lgkmcnt(0)
	v_writelane_b32 v253, s6, 10
	v_writelane_b32 v253, s7, 11
	s_cbranch_vccnz .LBB14_5
; %bb.4:
	v_rcp_iflag_f32_e32 v0, v1
	s_sub_i32 s6, 0, s24
	v_mul_f32_e32 v0, 0x4f7ffffe, v0
	v_cvt_u32_f32_e32 v0, v0
	v_readfirstlane_b32 s7, v0
	s_mul_i32 s6, s6, s7
	s_mul_hi_u32 s6, s7, s6
	s_add_i32 s7, s7, s6
	s_mul_hi_u32 s6, s12, s7
	s_mul_i32 s8, s6, s24
	s_sub_i32 s8, s12, s8
	s_add_i32 s7, s6, 1
	s_sub_i32 s9, s8, s24
	s_cmp_ge_u32 s8, s24
	s_cselect_b32 s6, s7, s6
	s_cselect_b32 s8, s9, s8
	s_add_i32 s7, s6, 1
	s_cmp_ge_u32 s8, s24
	s_cselect_b32 s98, s7, s6
.LBB14_5:
	s_add_i32 s6, s23, 1
	s_mul_i32 s7, s11, s6
	s_mul_hi_u32 s8, s10, s6
	s_add_i32 s9, s8, s7
	s_mov_b32 s8, 0
	s_cmp_lg_u64 s[8:9], 0
	s_mul_i32 s8, s10, s6
	s_cbranch_scc0 .LBB14_7
; %bb.6:
	v_madmk_f32 v0, v3, 0x4f800000, v2
	v_rcp_f32_e32 v0, v0
	s_sub_u32 s10, 0, s24
	s_subb_u32 s11, 0, 0
	s_mov_b64 s[6:7], 0
	v_mul_f32_e32 v0, 0x5f7ffffc, v0
	v_mul_f32_e32 v2, 0x2f800000, v0
	v_trunc_f32_e32 v2, v2
	v_madmk_f32 v0, v2, 0xcf800000, v0
	v_cvt_u32_f32_e32 v2, v2
	v_cvt_u32_f32_e32 v0, v0
	v_readfirstlane_b32 s12, v2
	v_readfirstlane_b32 s13, v0
	s_mul_hi_u32 s15, s10, s13
	s_mul_i32 s16, s10, s12
	s_mul_i32 s14, s11, s13
	s_add_i32 s15, s15, s16
	s_add_i32 s15, s15, s14
	s_mul_i32 s17, s10, s13
	s_mul_hi_u32 s14, s13, s15
	s_mul_i32 s16, s13, s15
	s_mul_hi_u32 s13, s13, s17
	s_add_u32 s13, s13, s16
	s_addc_u32 s14, 0, s14
	s_mul_hi_u32 s18, s12, s17
	s_mul_i32 s17, s12, s17
	s_add_u32 s13, s13, s17
	s_mul_hi_u32 s16, s12, s15
	s_addc_u32 s13, s14, s18
	s_addc_u32 s14, s16, 0
	s_mul_i32 s15, s12, s15
	s_add_u32 s13, s13, s15
	s_addc_u32 s14, 0, s14
	v_add_co_u32_e32 v0, vcc, s13, v0
	s_cmp_lg_u64 vcc, 0
	s_addc_u32 s12, s12, s14
	v_readfirstlane_b32 s14, v0
	s_mul_i32 s13, s10, s12
	s_mul_hi_u32 s15, s10, s14
	s_add_i32 s13, s15, s13
	s_mul_i32 s11, s11, s14
	s_add_i32 s13, s13, s11
	s_mul_i32 s10, s10, s14
	s_mul_hi_u32 s15, s12, s10
	s_mul_i32 s16, s12, s10
	s_mul_i32 s18, s14, s13
	s_mul_hi_u32 s10, s14, s10
	s_mul_hi_u32 s17, s14, s13
	s_add_u32 s10, s10, s18
	s_addc_u32 s14, 0, s17
	s_add_u32 s10, s10, s16
	s_mul_hi_u32 s11, s12, s13
	s_addc_u32 s10, s14, s15
	s_addc_u32 s11, s11, 0
	s_mul_i32 s13, s12, s13
	s_add_u32 s10, s10, s13
	s_addc_u32 s11, 0, s11
	v_add_co_u32_e32 v0, vcc, s10, v0
	s_cmp_lg_u64 vcc, 0
	s_addc_u32 s14, s12, s11
	s_ashr_i32 s10, s9, 31
	s_add_u32 s12, s8, s10
	s_mov_b32 s11, s10
	s_addc_u32 s13, s9, s10
	s_xor_b64 s[12:13], s[12:13], s[10:11]
	v_readfirstlane_b32 s16, v0
	s_mul_i32 s15, s12, s14
	s_mul_hi_u32 s17, s12, s16
	s_mul_hi_u32 s9, s12, s14
	s_add_u32 s15, s17, s15
	s_addc_u32 s9, 0, s9
	s_mul_hi_u32 s18, s13, s16
	s_mul_i32 s16, s13, s16
	s_add_u32 s15, s15, s16
	s_mul_hi_u32 s17, s13, s14
	s_addc_u32 s9, s9, s18
	s_addc_u32 s15, s17, 0
	s_mul_i32 s14, s13, s14
	s_add_u32 s9, s9, s14
	s_addc_u32 s14, 0, s15
	s_add_u32 s15, s9, 1
	s_addc_u32 s16, s14, 0
	s_add_u32 s17, s9, 2
	s_mul_i32 s19, s24, s14
	s_mul_hi_u32 s20, s24, s9
	s_addc_u32 s18, s14, 0
	s_add_i32 s20, s20, s19
	s_mul_i32 s19, s24, s9
	v_mov_b32_e32 v0, s19
	v_sub_co_u32_e32 v0, vcc, s12, v0
	s_cmp_lg_u64 vcc, 0
	s_subb_u32 s12, s13, s20
	v_subrev_co_u32_e32 v2, vcc, s24, v0
	s_cmp_lg_u64 vcc, 0
	s_subb_u32 s13, s12, 0
	v_readfirstlane_b32 s19, v2
	s_cmp_ge_u32 s19, s24
	s_cselect_b32 s19, -1, 0
	s_cmp_eq_u32 s13, 0
	s_cselect_b32 s13, s19, -1
	s_cmp_lg_u32 s13, 0
	s_cselect_b32 s13, s18, s16
	v_readfirstlane_b32 s16, v0
	s_cselect_b32 s15, s17, s15
	s_cmp_ge_u32 s16, s24
	s_cselect_b32 s16, -1, 0
	s_cmp_eq_u32 s12, 0
	s_cselect_b32 s12, s16, -1
	s_cmp_lg_u32 s12, 0
	s_cselect_b32 s13, s13, s14
	s_cselect_b32 s12, s15, s9
	s_xor_b64 s[12:13], s[12:13], s[10:11]
	s_sub_u32 s10, s12, s10
	v_writelane_b32 v253, s10, 15
	v_writelane_b32 v253, s11, 16
	s_branch .LBB14_8
.LBB14_7:
	s_mov_b64 s[6:7], -1
                                        ; implicit-def: $sgpr10_sgpr11
                                        ; kill: killed $sgpr10_sgpr11
.LBB14_8:
	s_load_dwordx2 s[10:11], s[4:5], 0x5c
	v_writelane_b32 v253, s23, 12
	s_andn2_b64 vcc, exec, s[6:7]
	s_waitcnt lgkmcnt(0)
	v_writelane_b32 v253, s10, 13
	v_writelane_b32 v253, s11, 14
	s_cbranch_vccnz .LBB14_10
; %bb.9:
	v_rcp_iflag_f32_e32 v0, v1
	s_sub_i32 s6, 0, s24
	v_mul_f32_e32 v0, 0x4f7ffffe, v0
	v_cvt_u32_f32_e32 v0, v0
	v_readfirstlane_b32 s7, v0
	s_mul_i32 s6, s6, s7
	s_mul_hi_u32 s6, s7, s6
	s_add_i32 s7, s7, s6
	s_mul_hi_u32 s6, s8, s7
	s_mul_i32 s9, s6, s24
	s_sub_i32 s8, s8, s9
	s_add_i32 s7, s6, 1
	s_sub_i32 s9, s8, s24
	s_cmp_ge_u32 s8, s24
	s_cselect_b32 s6, s7, s6
	s_cselect_b32 s8, s9, s8
	s_add_i32 s7, s6, 1
	s_cmp_ge_u32 s8, s24
	s_cselect_b32 s6, s7, s6
	v_writelane_b32 v253, s6, 15
	v_writelane_b32 v253, s7, 16
.LBB14_10:
	s_load_dwordx16 s[72:87], s[4:5], 0x0
	s_load_dwordx4 s[92:95], s[4:5], 0x40
	s_load_dword s6, s[4:5], 0x50
	v_writelane_b32 v253, s24, 17
	s_ashr_i32 s96, s91, 3
	v_bfe_u32 v109, v4, 10, 10
	s_mov_b32 s63, 0
	s_waitcnt lgkmcnt(0)
	v_writelane_b32 v253, s6, 18
	s_load_dwordx2 s[6:7], s[4:5], 0x8c
	s_load_dwordx4 s[8:11], s[4:5], 0x98
	s_load_dwordx2 s[12:13], s[4:5], 0xa8
	s_load_dwordx2 s[20:21], s[4:5], 0xb8
	s_nop 0
	s_load_dwordx2 s[4:5], s[4:5], 0xc8
	v_lshlrev_b32_e32 v164, 4, v109
	s_waitcnt lgkmcnt(0)
	s_ashr_i32 s46, s6, 2
	s_ashr_i32 s54, s10, 2
	v_writelane_b32 v253, s12, 19
	v_writelane_b32 v253, s13, 20
	;; [unrolled: 1-line block ×4, first 2 shown]
	v_readlane_b32 s13, v253, 1
	s_abs_i32 s12, s13
	v_cvt_f32_u32_e32 v0, s12
	s_mov_b32 s5, s7
	v_writelane_b32 v253, s4, 23
	v_writelane_b32 v253, s5, 24
	v_rcp_iflag_f32_e32 v0, v0
	s_mov_b64 s[4:5], s[8:9]
	s_mov_b32 s7, s11
	v_writelane_b32 v253, s4, 25
	v_mul_f32_e32 v0, 0x4f7ffffe, v0
	v_cvt_u32_f32_e32 v0, v0
	v_writelane_b32 v253, s5, 26
	v_writelane_b32 v253, s6, 27
	;; [unrolled: 1-line block ×3, first 2 shown]
	s_sub_i32 s6, 0, s12
	v_readfirstlane_b32 s7, v0
	s_mul_i32 s6, s6, s7
	s_ashr_i32 s5, s13, 31
	s_mul_hi_u32 s6, s7, s6
	v_writelane_b32 v253, s5, 29
	s_abs_i32 s5, s98
	s_add_i32 s6, s7, s6
	v_writelane_b32 v253, s6, 30
	s_mul_hi_u32 s6, s5, s6
	s_mul_i32 s6, s6, s12
	s_sub_i32 s5, s5, s6
	s_ashr_i32 s90, s21, 1
	s_ashr_i32 s4, s98, 31
	s_sub_i32 s6, s5, s12
	s_cmp_ge_u32 s5, s12
	s_cselect_b32 s5, s6, s5
	s_sub_i32 s6, s5, s12
	s_cmp_ge_u32 s5, s12
	s_cselect_b32 s5, s6, s5
	v_writelane_b32 v253, s12, 31
	s_xor_b32 s5, s5, s4
	s_sub_i32 s70, s5, s4
	v_readlane_b32 s4, v253, 15
	s_mov_b32 s10, s4
	s_sub_i32 s4, s4, s98
	s_add_i32 s6, s4, s70
	s_min_i32 s18, s13, s6
	s_cmp_gt_i32 s10, s98
	v_readlane_b32 s5, v253, 16
	s_cselect_b64 s[8:9], -1, 0
	s_cmp_le_i32 s10, s98
	v_cvt_f16_f32_e32 v0, s92
	s_cselect_b64 s[4:5], -1, 0
	s_cmp_gt_i32 s13, s6
	s_cselect_b64 s[6:7], -1, 0
	s_or_b64 s[4:5], s[6:7], s[4:5]
	v_writelane_b32 v253, s20, 32
	s_and_b64 vcc, exec, s[4:5]
	v_pack_b32_f16 v47, v0, v0
	v_writelane_b32 v253, s21, 33
	buffer_store_dword v4, off, s[0:3], 0 offset:76 ; 4-byte Folded Spill
	s_cbranch_vccz .LBB14_13
; %bb.11:
	s_andn2_b64 vcc, exec, s[8:9]
	s_cbranch_vccz .LBB14_328
.LBB14_12:
	s_endpgm
.LBB14_13:
	s_cmp_lg_u64 s[78:79], 0
	v_writelane_b32 v253, s18, 34
	s_cselect_b64 s[4:5], -1, 0
	v_writelane_b32 v253, s4, 35
	v_writelane_b32 v253, s5, 36
	s_mul_i32 s4, s88, s89
	s_cmp_eq_u64 s[80:81], 0
	v_writelane_b32 v253, s4, 37
	s_cselect_b64 s[4:5], -1, 0
	v_writelane_b32 v253, s4, 38
	v_writelane_b32 v253, s5, 39
	v_cmp_nle_f32_e64 s[4:5], s93, 0
	v_writelane_b32 v253, s4, 40
	s_cmp_lg_u64 s[82:83], 0
	v_writelane_b32 v253, s5, 41
	s_cselect_b64 s[4:5], -1, 0
	v_and_b32_e32 v30, 0x3ff, v4
	v_writelane_b32 v253, s4, 42
	v_lshrrev_b32_e32 v0, 5, v30
	v_writelane_b32 v253, s5, 43
	v_lshl_add_u32 v57, v109, 1, v0
	v_lshrrev_b32_e32 v0, 4, v30
	s_movk_i32 s4, 0xd00
	v_lshl_add_u32 v110, v109, 2, v0
	v_mad_u32_u24 v0, v109, s4, 0
	v_lshrrev_b32_e32 v2, 3, v30
	v_mul_i32_i24_e32 v3, 0xfffff390, v109
	v_lshlrev_b32_e32 v34, 1, v30
	v_and_b32_e32 v32, 15, v30
	v_lshlrev_b32_e32 v8, 2, v2
	v_add3_u32 v112, v0, v3, v34
	v_lshrrev_b32_e32 v9, 2, v30
	v_lshlrev_b32_e32 v3, 2, v30
	s_movk_i32 s8, 0xd0
	v_mul_u32_u24_e32 v1, 0xd0, v32
	v_and_b32_e32 v5, 0x78, v8
	v_add_u32_e32 v113, v164, v9
	v_and_b32_e32 v36, 12, v3
	v_add3_u32 v111, v0, v1, v5
	v_mad_u32_u24 v0, v113, s8, 0
	v_lshlrev_b32_e32 v4, 2, v36
	s_movk_i32 s33, 0x80
	v_lshl_add_u32 v115, v109, 3, v2
	v_and_b32_e32 v38, 28, v3
	v_and_b32_e32 v118, 60, v9
	v_add3_u32 v114, v0, v4, s33
	v_mul_u32_u24_e32 v0, 0xd0, v115
	v_lshlrev_b32_e32 v2, 2, v38
	v_add3_u32 v117, 0, v1, v5
	v_mul_u32_u24_e32 v5, 0x68, v118
	v_add3_u32 v116, 0, v0, v2
	v_or_b32_e32 v0, v164, v32
	s_movk_i32 s8, 0x90
	v_or_b32_e32 v5, v5, v32
	v_mad_u32_u24 v10, v0, s8, 0
	v_lshlrev_b32_e32 v12, 1, v5
	s_add_i32 s8, 0, 0xd00
	v_add_u32_e32 v125, s8, v12
	s_add_i32 s8, 0, 0x1a00
	v_add_u32_e32 v126, s8, v12
	;; [unrolled: 2-line block ×5, first 2 shown]
	s_add_i32 s8, 0, 0x2720
	v_readlane_b32 s14, v253, 12
	v_add_u32_e32 v130, s8, v12
	s_add_i32 s8, 0, 0xd40
	s_lshl_b32 s62, s14, 6
	s_ashr_i32 s91, s90, 31
	s_ashr_i32 s47, s46, 31
	;; [unrolled: 1-line block ×3, first 2 shown]
	v_add_u32_e32 v131, s8, v12
	s_add_i32 s13, 0, 0x1a40
	s_add_i32 s16, 0, 0x2740
	;; [unrolled: 1-line block ×14, first 2 shown]
	s_lshl_b64 s[14:15], s[62:63], 3
	v_or_b32_e32 v122, 3, v9
	s_add_u32 s14, s86, s14
	v_readlane_b32 s37, v253, 7
	v_mul_u32_u24_e32 v11, 0xd0, v118
	v_mul_u32_u24_e32 v9, 0xd0, v122
	v_lshlrev_b32_e32 v5, 1, v32
	s_addc_u32 s15, s87, s15
	s_abs_i32 s38, s37
	v_add3_u32 v123, 0, v11, v5
	v_add3_u32 v124, 0, v9, v5
	v_cvt_f32_u32_e32 v5, s38
	v_or_b32_e32 v9, v164, v30
	v_lshlrev_b32_e32 v9, 3, v9
	v_mul_lo_u32 v0, s54, v113
	v_rcp_iflag_f32_e32 v5, v5
	v_mov_b32_e32 v11, s15
	v_add_co_u32_e32 v40, vcc, s14, v9
	v_ashrrev_i32_e32 v1, 31, v0
	v_addc_co_u32_e32 v41, vcc, 0, v11, vcc
	v_and_b32_e32 v11, 3, v30
	v_lshlrev_b32_e32 v11, 4, v11
	v_lshlrev_b64 v[42:43], 2, v[0:1]
	v_add_co_u32_e32 v0, vcc, v11, v42
	v_mul_lo_u32 v6, s46, v113
	v_mul_f32_e32 v5, 0x4f7ffffe, v5
	v_addc_co_u32_e32 v1, vcc, 0, v43, vcc
	v_ashrrev_i32_e32 v7, 31, v6
	v_cvt_u32_f32_e32 v5, v5
	v_mov_b32_e32 v13, s77
	v_add_co_u32_e32 v14, vcc, s76, v0
	v_addc_co_u32_e32 v1, vcc, v1, v13, vcc
	v_lshlrev_b64 v[44:45], 2, v[6:7]
	v_readlane_b32 s36, v253, 6
	v_add_co_u32_e32 v0, vcc, v11, v44
	v_add_u32_e32 v132, s13, v12
	s_abs_i32 s39, s36
	v_addc_co_u32_e32 v6, vcc, 0, v45, vcc
	s_abs_i32 s13, s20
	v_readfirstlane_b32 s30, v5
	v_cvt_f32_u32_e32 v5, s39
	v_add_co_u32_e32 v11, vcc, s74, v0
	v_cvt_f32_u32_e32 v0, s13
	v_rcp_iflag_f32_e32 v5, v5
	v_readlane_b32 s35, v253, 3
	v_writelane_b32 v253, s13, 44
	v_rcp_iflag_f32_e32 v0, v0
	v_mul_f32_e32 v5, 0x4f7ffffe, v5
	v_cvt_u32_f32_e32 v5, v5
	s_sub_i32 s13, 0, s13
	v_mul_f32_e32 v0, 0x4f7ffffe, v0
	v_cvt_u32_f32_e32 v0, v0
	v_readfirstlane_b32 s31, v5
	v_add_u32_e32 v120, 16, v118
	v_add_u32_e32 v136, 32, v118
	v_mul_lo_u32 v5, s13, v0
	v_mul_hi_u32 v5, v0, v5
	v_add_u32_e32 v137, v0, v5
	v_or_b32_e32 v0, 4, v8
	v_add_u32_e32 v140, v10, v0
	v_add_u32_e32 v141, 48, v118
	;; [unrolled: 1-line block ×3, first 2 shown]
	v_and_b32_e32 v46, 31, v30
	v_lshl_add_u32 v119, v118, 1, v10
	v_lshl_add_u32 v121, v120, 1, v10
	;; [unrolled: 1-line block ×4, first 2 shown]
	v_mul_u32_u24_e32 v10, 0xd0, v0
	v_mad_u32_u24 v0, v57, 52, v46
	v_lshl_add_u32 v155, v0, 2, 0
	v_mad_u32_u24 v0, v110, 52, v32
	v_add_u32_e32 v147, s8, v12
	v_lshl_add_u32 v156, v0, 2, 0
	s_movk_i32 s8, 0x7f0
	v_add_u32_e32 v157, 16, v57
	v_and_b32_e32 v0, 15, v57
	v_add_u32_e32 v133, s16, v12
	v_add_u32_e32 v134, s17, v12
	;; [unrolled: 1-line block ×5, first 2 shown]
	v_add3_u32 v144, 0, 32, v12
	v_add3_u32 v145, 0, 64, v12
	v_add_u32_e32 v146, s18, v12
	v_add_u32_e32 v148, s9, v12
	;; [unrolled: 1-line block ×8, first 2 shown]
	v_and_or_b32 v12, v157, s8, v0
	v_mul_u32_u24_e32 v15, 52, v12
	v_mad_u32_u24 v12, v12, 52, v46
	v_lshl_add_u32 v12, v12, 2, 0
	v_add_u32_e32 v159, 32, v57
	buffer_store_dword v12, off, s[0:3], 0 offset:60 ; 4-byte Folded Spill
	v_and_or_b32 v12, v159, s8, v0
	v_mul_u32_u24_e32 v16, 52, v12
	v_mad_u32_u24 v12, v12, 52, v46
	v_add_u32_e32 v161, 48, v57
	v_lshl_add_u32 v12, v12, 2, 0
	v_and_or_b32 v0, v161, s8, v0
	buffer_store_dword v12, off, s[0:3], 0 offset:88 ; 4-byte Folded Spill
	v_mul_u32_u24_e32 v12, 52, v0
	v_mad_u32_u24 v0, v0, 52, v46
	v_lshl_add_u32 v0, v0, 2, 0
	buffer_store_dword v0, off, s[0:3], 0 offset:100 ; 4-byte Folded Spill
	s_movk_i32 s8, 0xff0
	v_add_u32_e32 v163, 16, v110
	v_and_b32_e32 v0, 15, v110
	v_and_or_b32 v17, v163, s8, v0
	v_mul_u32_u24_e32 v18, 52, v17
	v_mad_u32_u24 v17, v17, 52, v32
	s_abs_i32 s40, s35
	v_lshl_add_u32 v17, v17, 2, 0
	v_add_u32_e32 v165, 32, v110
	v_cvt_f32_u32_e32 v9, s40
	buffer_store_dword v17, off, s[0:3], 0 offset:20 ; 4-byte Folded Spill
	v_and_or_b32 v17, v165, s8, v0
	v_mul_u32_u24_e32 v19, 52, v17
	v_mad_u32_u24 v17, v17, 52, v32
	v_add_u32_e32 v167, 48, v110
	v_lshl_add_u32 v17, v17, 2, 0
	v_and_or_b32 v0, v167, s8, v0
	v_mov_b32_e32 v7, s75
	buffer_store_dword v17, off, s[0:3], 0 offset:64 ; 4-byte Folded Spill
	v_mul_u32_u24_e32 v17, 52, v0
	v_mad_u32_u24 v0, v0, 52, v32
	v_addc_co_u32_e32 v13, vcc, v6, v7, vcc
	v_rcp_iflag_f32_e32 v6, v9
	v_lshl_add_u32 v0, v0, 2, 0
	s_ashr_i32 s8, s37, 31
	buffer_store_dword v0, off, s[0:3], 0 offset:72 ; 4-byte Folded Spill
	v_mul_u32_u24_e32 v0, 52, v57
	v_writelane_b32 v253, s8, 45
	s_sub_i32 s8, 0, s38
	v_lshl_add_u32 v0, v0, 2, 0
	s_mul_i32 s8, s8, s30
	buffer_store_dword v0, off, s[0:3], 0 offset:16 ; 4-byte Folded Spill
	v_lshl_add_u32 v0, v15, 2, 0
	s_mul_hi_u32 s8, s30, s8
	v_mul_f32_e32 v6, 0x4f7ffffe, v6
	buffer_store_dword v0, off, s[0:3], 0 offset:80 ; 4-byte Folded Spill
	v_lshl_add_u32 v0, v16, 2, 0
	v_writelane_b32 v253, s38, 46
	s_add_i32 s8, s30, s8
	v_cvt_u32_f32_e32 v6, v6
	buffer_store_dword v0, off, s[0:3], 0 offset:96 ; 4-byte Folded Spill
	v_lshl_add_u32 v0, v12, 2, 0
	v_mul_u32_u24_e32 v12, 52, v110
	v_writelane_b32 v253, s8, 47
	s_ashr_i32 s8, s36, 31
	buffer_store_dword v0, off, s[0:3], 0 offset:104 ; 4-byte Folded Spill
	v_lshl_add_u32 v0, v12, 2, 0
	v_writelane_b32 v253, s8, 48
	s_sub_i32 s8, 0, s39
	buffer_store_dword v0, off, s[0:3], 0 offset:24 ; 4-byte Folded Spill
	v_lshl_add_u32 v0, v18, 2, 0
	s_mul_i32 s8, s8, s31
	buffer_store_dword v0, off, s[0:3], 0 offset:68 ; 4-byte Folded Spill
	v_lshl_add_u32 v0, v19, 2, 0
	s_mul_hi_u32 s8, s31, s8
	v_readfirstlane_b32 s34, v6
	v_mul_lo_u32 v6, s54, v115
	buffer_store_dword v0, off, s[0:3], 0 offset:84 ; 4-byte Folded Spill
	v_lshl_add_u32 v0, v17, 2, 0
	v_writelane_b32 v253, s39, 49
	s_add_i32 s8, s31, s8
	v_ashrrev_i32_e32 v7, 31, v6
	buffer_store_dword v0, off, s[0:3], 0 offset:92 ; 4-byte Folded Spill
	v_writelane_b32 v253, s8, 50
	s_ashr_i32 s8, s35, 31
	v_add_co_u32_e32 v0, vcc, s33, v14
	v_lshl_add_u32 v8, s54, 5, v6
	v_writelane_b32 v253, s8, 51
	s_sub_i32 s8, 0, s40
	buffer_store_dword v0, off, s[0:3], 0 offset:28 ; 4-byte Folded Spill
	v_addc_co_u32_e32 v0, vcc, 0, v1, vcc
	v_lshlrev_b64 v[48:49], 2, v[6:7]
	v_ashrrev_i32_e32 v9, 31, v8
	s_mul_i32 s8, s8, s34
	buffer_store_dword v0, off, s[0:3], 0 offset:32 ; 4-byte Folded Spill
	v_mov_b32_e32 v1, s77
	v_add_co_u32_e32 v0, vcc, s76, v48
	s_mul_hi_u32 s8, s34, s8
	buffer_store_dword v0, off, s[0:3], 0 offset:36 ; 4-byte Folded Spill
	v_addc_co_u32_e32 v0, vcc, v1, v49, vcc
	v_lshlrev_b64 v[50:51], 2, v[8:9]
	v_writelane_b32 v253, s40, 52
	s_add_i32 s8, s34, s8
	buffer_store_dword v0, off, s[0:3], 0 offset:40 ; 4-byte Folded Spill
	v_add_co_u32_e32 v0, vcc, s76, v50
	v_mul_lo_u32 v2, s46, v115
	v_writelane_b32 v253, s8, 53
	buffer_store_dword v0, off, s[0:3], 0 offset:44 ; 4-byte Folded Spill
	v_addc_co_u32_e32 v0, vcc, v1, v51, vcc
	v_cmp_gt_u32_e64 s[8:9], 16, v30
	v_ashrrev_i32_e32 v3, 31, v2
	buffer_store_dword v0, off, s[0:3], 0 offset:48 ; 4-byte Folded Spill
	v_add_co_u32_e32 v0, vcc, s33, v11
	v_writelane_b32 v253, s8, 54
	v_lshl_add_u32 v4, s46, 5, v2
	v_addc_co_u32_e32 v186, vcc, 0, v13, vcc
	v_lshlrev_b64 v[52:53], 2, v[2:3]
	v_writelane_b32 v253, s9, 55
	s_lshl_b64 s[8:9], s[90:91], 1
	v_ashrrev_i32_e32 v5, 31, v4
	v_mov_b32_e32 v1, s75
	v_add_co_u32_e32 v187, vcc, s74, v52
	v_writelane_b32 v253, s8, 56
	v_addc_co_u32_e32 v188, vcc, v1, v53, vcc
	v_lshlrev_b64 v[54:55], 2, v[4:5]
	v_writelane_b32 v253, s9, 57
                                        ; implicit-def: $vgpr254 : SGPR spill to VGPR lane
	v_add_co_u32_e32 v184, vcc, s74, v54
	v_writelane_b32 v253, s72, 58
	v_writelane_b32 v254, s78, 0
	;; [unrolled: 1-line block ×10, first 2 shown]
	v_cmp_gt_u32_e64 s[10:11], 64, v115
	v_writelane_b32 v254, s87, 9
	s_mov_b32 s8, s88
	v_writelane_b32 v254, s8, 10
	v_writelane_b32 v254, s9, 11
	v_writelane_b32 v254, s10, 12
	v_writelane_b32 v254, s11, 13
	s_mov_b32 s8, s90
	v_writelane_b32 v254, s8, 14
	v_writelane_b32 v254, s9, 15
	;; [unrolled: 1-line block ×3, first 2 shown]
	s_mov_b64 s[42:43], s[94:95]
	s_mov_b32 s41, s93
	v_writelane_b32 v253, s73, 59
	v_writelane_b32 v254, s40, 17
	;; [unrolled: 1-line block ×4, first 2 shown]
	v_addc_co_u32_e32 v185, vcc, v1, v55, vcc
	v_mbcnt_lo_u32_b32 v1, -1, 0
	v_writelane_b32 v253, s75, 61
	v_writelane_b32 v254, s42, 19
	s_mov_b64 s[64:65], src_private_base
	s_movk_i32 s14, 0x100
	s_movk_i32 s16, 0xc0
	s_mul_i32 s89, s89, 48
	v_mbcnt_hi_u32_b32 v190, -1, v1
	v_and_b32_e32 v1, 7, v30
	v_writelane_b32 v253, s76, 62
	v_writelane_b32 v254, s43, 20
	v_cmp_gt_u32_e64 s[4:5], 64, v30
	v_cmp_lt_u32_e64 s[6:7], 63, v30
	s_mov_b32 s64, 0
	v_cmp_gt_u32_e64 s[52:53], 64, v113
	v_cmp_gt_u32_e64 s[12:13], 32, v115
	v_cmp_gt_u32_e64 s[14:15], s14, v30
	v_cmp_gt_u32_e64 s[16:17], s16, v30
	v_cmp_gt_u32_e64 s[18:19], 47, v118
	v_cmp_gt_u32_e64 s[20:21], 46, v118
	v_cmp_gt_u32_e64 s[22:23], 45, v118
	buffer_store_dword v0, off, s[0:3], 0 offset:52 ; 4-byte Folded Spill
	s_mov_b32 s57, 0x42b17218
	s_mov_b32 s48, 0x3fb8aa3b
	;; [unrolled: 1-line block ×4, first 2 shown]
	v_add_u32_e32 v0, 0, v10
	v_mov_b32_e32 v191, 0
	v_add_u32_e32 v192, 4, v109
	v_add_u32_e32 v193, 0x240, v112
	;; [unrolled: 1-line block ×35, first 2 shown]
	v_or_b32_e32 v227, 1, v118
	v_or_b32_e32 v228, 2, v118
	v_add_u32_e32 v229, 17, v118
	v_add_u32_e32 v230, 19, v118
	;; [unrolled: 1-line block ×10, first 2 shown]
	v_lshlrev_b32_e32 v56, 4, v1
	v_mov_b32_e32 v240, 0x3ecccdef
	v_mov_b32_e32 v249, 0x37000000
	;; [unrolled: 1-line block ×4, first 2 shown]
	s_mov_b32 s56, 0x5040100
	v_cmp_gt_u32_e64 s[24:25], s33, v30
	v_cmp_gt_u32_e64 s[26:27], 31, v118
	;; [unrolled: 1-line block ×7, first 2 shown]
	s_lshl_b64 s[60:61], s[54:55], 8
	s_lshl_b64 s[58:59], s[46:47], 8
	v_writelane_b32 v253, s77, 63
	v_writelane_b32 v254, s89, 21
	buffer_store_dword v0, off, s[0:3], 0 offset:56 ; 4-byte Folded Spill
	s_branch .LBB14_15
.LBB14_14:                              ;   in Loop: Header=BB14_15 Depth=1
	s_or_b64 exec, exec, s[8:9]
	v_readlane_b32 s43, v253, 1
	s_add_i32 s8, s98, s43
	s_abs_i32 s40, s8
	v_readlane_b32 s41, v253, 30
	s_mul_hi_u32 s41, s40, s41
	v_readlane_b32 s42, v253, 31
	s_mul_i32 s41, s41, s42
	s_sub_i32 s40, s40, s41
	s_ashr_i32 s9, s8, 31
	s_sub_i32 s41, s40, s42
	s_cmp_ge_u32 s40, s42
	s_cselect_b32 s40, s41, s40
	s_sub_i32 s41, s40, s42
	s_cmp_ge_u32 s40, s42
	s_cselect_b32 s40, s41, s40
	s_xor_b32 s40, s40, s9
	s_sub_i32 s9, s9, s40
	s_add_i32 s98, s8, s9
	v_readlane_b32 s8, v253, 15
	v_readlane_b32 s9, v253, 16
	s_sub_i32 s40, s8, s98
	s_min_i32 s9, s43, s40
	s_cmp_gt_i32 s8, s98
	v_writelane_b32 v253, s9, 34
	s_cselect_b64 s[8:9], -1, 0
	s_cmp_le_i32 s43, s40
	s_cselect_b64 s[40:41], -1, 0
	s_and_b64 s[40:41], s[40:41], s[8:9]
	s_mov_b32 s70, 0
	s_and_b64 vcc, exec, s[40:41]
	s_cbranch_vccz .LBB14_327
.LBB14_15:                              ; =>This Loop Header: Depth=1
                                        ;     Child Loop BB14_73 Depth 2
                                        ;     Child Loop BB14_234 Depth 2
	s_ashr_i32 s8, s98, 31
	v_readlane_b32 s9, v253, 45
	s_xor_b32 s8, s8, s9
	s_abs_i32 s9, s98
	v_readlane_b32 s40, v253, 47
	s_mul_hi_u32 s40, s9, s40
	v_readlane_b32 s43, v253, 46
	s_mul_i32 s41, s40, s43
	s_sub_i32 s9, s9, s41
	s_add_i32 s41, s40, 1
	s_sub_i32 s42, s9, s43
	s_cmp_ge_u32 s9, s43
	s_cselect_b32 s40, s41, s40
	s_cselect_b32 s9, s42, s9
	s_add_i32 s41, s40, 1
	s_cmp_ge_u32 s9, s43
	s_cselect_b32 s9, s41, s40
	s_xor_b32 s9, s9, s8
	s_sub_i32 s50, s9, s8
	v_readlane_b32 s8, v253, 35
	v_readlane_b32 s9, v253, 36
	s_andn2_b64 vcc, exec, s[8:9]
	s_ashr_i32 s51, s50, 31
	s_cbranch_vccnz .LBB14_17
; %bb.16:                               ;   in Loop: Header=BB14_15 Depth=1
	s_abs_i32 s8, s50
	v_mul_hi_u32 v1, s8, v137
	v_readlane_b32 s9, v253, 44
	v_mul_lo_u32 v1, v1, s9
	v_sub_u32_e32 v1, s8, v1
	v_subrev_u32_e32 v2, s9, v1
	v_cmp_le_u32_e32 vcc, s9, v1
	v_cndmask_b32_e32 v1, v1, v2, vcc
	v_subrev_u32_e32 v2, s9, v1
	v_cmp_le_u32_e32 vcc, s9, v1
	v_cndmask_b32_e32 v1, v1, v2, vcc
	v_xor_b32_e32 v1, s51, v1
	v_readlane_b32 s8, v253, 21
	v_subrev_u32_e32 v1, s51, v1
	v_readlane_b32 s9, v253, 22
	v_ashrrev_i32_e32 v2, 31, v1
	v_mul_lo_u32 v3, v1, s9
	v_mul_hi_u32 v4, v1, s8
	v_add_u32_e32 v3, v4, v3
	v_mul_lo_u32 v2, v2, s8
	v_mul_lo_u32 v1, v1, s8
	v_add_u32_e32 v2, v3, v2
	v_mov_b32_e32 v3, s79
	v_add_co_u32_e32 v60, vcc, s78, v1
	v_addc_co_u32_e32 v61, vcc, v3, v2, vcc
	s_branch .LBB14_18
.LBB14_17:                              ;   in Loop: Header=BB14_15 Depth=1
	v_pk_mov_b32 v[60:61], 0, 0
.LBB14_18:                              ;   in Loop: Header=BB14_15 Depth=1
	v_readlane_b32 s8, v253, 7
	s_mul_i32 s8, s50, s8
	s_sub_i32 s8, s98, s8
	s_ashr_i32 s9, s8, 31
	v_readlane_b32 s40, v253, 48
	s_xor_b32 s9, s9, s40
	s_abs_i32 s40, s8
	v_readlane_b32 s41, v253, 50
	s_mul_hi_u32 s41, s40, s41
	v_readlane_b32 s44, v253, 49
	s_mul_i32 s42, s41, s44
	s_sub_i32 s40, s40, s42
	s_add_i32 s42, s41, 1
	s_sub_i32 s43, s40, s44
	s_cmp_ge_u32 s40, s44
	s_cselect_b32 s41, s42, s41
	s_cselect_b32 s40, s43, s40
	s_add_i32 s42, s41, 1
	s_cmp_ge_u32 s40, s44
	s_cselect_b32 s40, s42, s41
	s_xor_b32 s40, s40, s9
	s_sub_i32 s66, s40, s9
	v_readlane_b32 s9, v253, 6
	s_mul_i32 s9, s66, s9
	s_sub_i32 s9, s8, s9
	s_ashr_i32 s8, s9, 31
	v_readlane_b32 s40, v253, 51
	s_xor_b32 s8, s8, s40
	s_abs_i32 s40, s9
	v_readlane_b32 s41, v253, 53
	s_mul_hi_u32 s41, s40, s41
	v_readlane_b32 s44, v253, 52
	s_mul_i32 s42, s41, s44
	s_sub_i32 s40, s40, s42
	s_add_i32 s42, s41, 1
	s_sub_i32 s43, s40, s44
	s_cmp_ge_u32 s40, s44
	s_cselect_b32 s41, s42, s41
	s_cselect_b32 s40, s43, s40
	s_add_i32 s42, s41, 1
	s_cmp_ge_u32 s40, s44
	s_cselect_b32 s40, s42, s41
	s_xor_b32 s40, s40, s8
	s_sub_i32 s62, s40, s8
	v_readlane_b32 s8, v253, 2
	v_readlane_b32 s40, v253, 40
	s_mul_i32 s8, s66, s8
	v_readlane_b32 s41, v253, 41
	s_add_i32 s8, s8, s62
	s_andn2_b64 vcc, exec, s[40:41]
	v_mov_b32_e32 v178, 1.0
	s_cbranch_vccnz .LBB14_20
; %bb.19:                               ;   in Loop: Header=BB14_15 Depth=1
	v_readlane_b32 s41, v253, 18
	s_sub_i32 s40, s8, s41
	s_lshl_b32 s40, s40, 1
	s_add_i32 s42, s8, 1
	s_or_b32 s43, s40, 1
	s_cmp_lt_u32 s8, s41
	s_cselect_b64 vcc, -1, 0
	s_and_b64 s[40:41], vcc, exec
	v_mov_b32_e32 v1, s95
	v_mov_b32_e32 v2, s94
	s_cselect_b32 s40, s42, s43
	v_cndmask_b32_e32 v18, v1, v2, vcc
	v_cvt_f32_i32_e32 v1, s40
	v_cmp_neq_f32_e32 vcc, 1.0, v18
	s_mov_b32 s40, 0x3f2aaaab
	s_movk_i32 s42, 0x204
	v_cndmask_b32_e32 v19, 1.0, v1, vcc
	v_cmp_eq_f32_e32 vcc, 0, v19
	v_cndmask_b32_e64 v20, |v18|, 1.0, vcc
	v_frexp_mant_f32_e32 v1, v20
	v_cmp_gt_f32_e64 s[40:41], s40, v1
	v_cndmask_b32_e64 v2, 1.0, 2.0, s[40:41]
	v_mul_f32_e32 v1, v1, v2
	v_add_f32_e32 v2, 1.0, v1
	v_rcp_f32_e32 v10, v2
	v_add_f32_e32 v3, -1.0, v2
	v_sub_f32_e32 v5, v1, v3
	v_add_f32_e32 v3, -1.0, v1
	v_mul_f32_e32 v1, v3, v10
	v_mul_f32_e32 v4, v2, v1
	v_fma_f32 v6, v1, v2, -v4
	v_fmac_f32_e32 v6, v1, v5
	v_add_f32_e32 v2, v4, v6
	v_sub_f32_e32 v5, v3, v2
	v_pk_add_f32 v[8:9], v[2:3], v[4:5] neg_lo:[0,1] neg_hi:[0,1]
	v_mov_b32_e32 v7, v2
	v_pk_add_f32 v[2:3], v[8:9], v[6:7] neg_lo:[0,1] neg_hi:[0,1]
	v_add_f32_e32 v2, v2, v3
	v_add_f32_e32 v2, v5, v2
	v_mul_f32_e32 v3, v10, v2
	v_add_f32_e32 v2, v1, v3
	v_sub_f32_e32 v1, v2, v1
	v_sub_f32_e32 v1, v3, v1
	v_mul_f32_e32 v3, v2, v2
	v_fma_f32 v5, v2, v2, -v3
	v_add_f32_e32 v4, v1, v1
	v_fmac_f32_e32 v5, v2, v4
	v_add_f32_e32 v4, v3, v5
	v_mov_b32_e32 v6, 0x3e91f4c4
	v_fmac_f32_e32 v6, 0x3e76c4e1, v4
	v_fma_f32 v6, v4, v6, v240
	v_sub_f32_e32 v3, v4, v3
	v_sub_f32_e32 v12, v5, v3
	v_mul_f32_e32 v3, v4, v6
	v_fma_f32 v5, v4, v6, -v3
	v_fmac_f32_e32 v5, v12, v6
	v_add_f32_e32 v6, v3, v5
	v_add_f32_e32 v7, 0x3f2aaaaa, v6
	v_sub_f32_e32 v3, v6, v3
	v_sub_f32_e32 v3, v5, v3
	v_add_f32_e32 v5, 0xbf2aaaaa, v7
	v_add_f32_e32 v3, 0x31739010, v3
	v_sub_f32_e32 v5, v6, v5
	v_pk_mul_f32 v[8:9], v[2:3], v[4:5]
	v_fma_f32 v6, v4, v2, -v8
	v_pk_add_f32 v[10:11], v[2:3], v[4:5]
	v_fmac_f32_e32 v6, v4, v1
	v_mov_b32_e32 v9, v11
	v_fmac_f32_e32 v6, v12, v2
	v_pk_add_f32 v[4:5], v[8:9], v[6:7]
	v_sub_f32_e32 v3, v4, v8
	v_sub_f32_e32 v3, v6, v3
	;; [unrolled: 1-line block ×3, first 2 shown]
	v_add_f32_e32 v10, v11, v6
	v_mov_b32_e32 v6, v5
	v_pk_mul_f32 v[6:7], v[4:5], v[6:7]
	v_cvt_f64_f32_e32 v[8:9], v20
	v_frexp_exp_i32_f64_e32 v7, v[8:9]
	v_subbrev_co_u32_e64 v7, s[40:41], 0, v7, s[40:41]
	v_cvt_f32_i32_e32 v7, v7
	v_fma_f32 v8, v4, v5, -v6
	v_fmac_f32_e32 v8, v4, v10
	s_mov_b32 s40, 0x3f317218
	v_mul_f32_e32 v4, 0x3f317218, v7
	v_fmac_f32_e32 v8, v3, v5
	v_fma_f32 v10, v7, s40, -v4
	v_fmac_f32_e32 v10, 0xb102e308, v7
	v_ldexp_f32 v11, v2, 1
	v_add_f32_e32 v5, v6, v8
	v_pk_add_f32 v[2:3], v[4:5], v[10:11]
	v_mov_b32_e32 v12, v5
	v_mov_b32_e32 v13, v3
	;; [unrolled: 1-line block ×3, first 2 shown]
	v_pk_add_f32 v[6:7], v[12:13], v[6:7] neg_lo:[0,1] neg_hi:[0,1]
	v_mov_b32_e32 v9, v5
	v_ldexp_f32 v1, v1, 1
	v_pk_add_f32 v[6:7], v[8:9], v[6:7] neg_lo:[0,1] neg_hi:[0,1]
	v_add_f32_e32 v1, v1, v6
	v_add_f32_e32 v5, v1, v7
	v_pk_add_f32 v[6:7], v[2:3], v[4:5] neg_lo:[0,1] neg_hi:[0,1]
	v_pk_add_f32 v[8:9], v[2:3], v[4:5]
	v_mov_b32_e32 v12, v6
	v_mov_b32_e32 v13, v9
	v_mov_b32_e32 v11, v2
	v_pk_add_f32 v[12:13], v[10:11], v[12:13]
	v_mov_b32_e32 v4, v13
	v_pk_add_f32 v[14:15], v[4:5], v[2:3] neg_lo:[0,1] neg_hi:[0,1]
	v_mov_b32_e32 v1, v14
	v_mov_b32_e32 v12, v9
	;; [unrolled: 1-line block ×4, first 2 shown]
	v_pk_add_f32 v[6:7], v[10:11], v[6:7] neg_lo:[0,1] neg_hi:[0,1]
	v_pk_add_f32 v[16:17], v[8:9], v[0:1] neg_lo:[0,1] neg_hi:[0,1]
	v_pk_add_f32 v[2:3], v[12:13], v[2:3] neg_lo:[0,1] neg_hi:[0,1]
	v_mov_b32_e32 v10, v5
	v_pk_add_f32 v[2:3], v[10:11], v[2:3] neg_lo:[0,1] neg_hi:[0,1]
	v_mov_b32_e32 v16, v6
	v_pk_add_f32 v[8:9], v[16:17], v[2:3]
	v_mov_b32_e32 v10, v9
	v_pk_add_f32 v[10:11], v[8:9], v[10:11]
	v_pk_add_f32 v[4:5], v[4:5], v[10:11]
	v_mov_b32_e32 v7, v13
	v_mov_b32_e32 v9, v4
	v_pk_add_f32 v[12:13], v[8:9], v[6:7] neg_lo:[0,1] neg_hi:[0,1]
	v_mov_b32_e32 v3, v10
	v_sub_f32_e32 v1, v8, v12
	v_pk_add_f32 v[2:3], v[2:3], v[12:13] neg_lo:[0,1] neg_hi:[0,1]
	v_sub_f32_e32 v1, v6, v1
	v_add_f32_e32 v1, v2, v1
	v_add_f32_e32 v1, v1, v3
	;; [unrolled: 1-line block ×3, first 2 shown]
	v_sub_f32_e32 v3, v2, v4
	v_sub_f32_e32 v1, v1, v3
	v_mul_f32_e32 v3, v19, v2
	v_fma_f32 v2, v19, v2, -v3
	v_fmac_f32_e32 v2, v19, v1
	v_add_f32_e32 v1, v3, v2
	v_cmp_class_f32_e64 s[40:41], v3, s42
	v_sub_f32_e32 v4, v1, v3
	v_cndmask_b32_e64 v1, v1, v3, s[40:41]
	v_cmp_eq_f32_e64 s[40:41], s57, v1
	v_cndmask_b32_e64 v3, 0, v249, s[40:41]
	v_sub_f32_e32 v2, v2, v4
	v_sub_f32_e32 v4, v1, v3
	v_mul_f32_e32 v5, 0x3fb8aa3b, v4
	v_fma_f32 v6, v4, s48, -v5
	v_rndne_f32_e32 v7, v5
	v_fmac_f32_e32 v6, 0x32a5705f, v4
	v_sub_f32_e32 v5, v5, v7
	v_add_f32_e32 v5, v5, v6
	v_exp_f32_e32 v5, v5
	v_cvt_i32_f32_e32 v6, v7
	s_mov_b32 s43, 0x7f800000
	v_cmp_neq_f32_e64 s[40:41], |v1|, s43
	v_cndmask_b32_e64 v1, 0, v2, s[40:41]
	v_ldexp_f32 v2, v5, v6
	v_cmp_ngt_f32_e64 s[40:41], s49, v4
	v_cndmask_b32_e64 v2, 0, v2, s[40:41]
	v_cmp_nlt_f32_e64 s[40:41], s57, v4
	v_add_f32_e32 v1, v3, v1
	v_cndmask_b32_e64 v2, v241, v2, s[40:41]
	v_fma_f32 v1, v2, v1, v2
	v_cmp_class_f32_e64 s[40:41], v2, s42
	v_trunc_f32_e32 v3, v19
	v_cndmask_b32_e64 v1, v1, v2, s[40:41]
	v_cndmask_b32_e64 v2, v18, 1.0, vcc
	v_cmp_eq_f32_e32 vcc, v3, v19
	v_mul_f32_e32 v3, 0.5, v19
	v_trunc_f32_e32 v4, v3
	v_cmp_neq_f32_e64 s[40:41], v4, v3
	s_and_b64 s[40:41], vcc, s[40:41]
	v_cndmask_b32_e64 v3, 1.0, v2, s[40:41]
	s_brev_b32 s67, -2
	v_bfi_b32 v1, s67, v1, v3
	v_cndmask_b32_e32 v3, v242, v1, vcc
	v_cmp_gt_f32_e32 vcc, 0, v2
	v_cndmask_b32_e32 v1, v1, v3, vcc
	v_cmp_eq_f32_e32 vcc, s43, v20
	v_cmp_eq_f32_e64 s[42:43], 0, v2
	v_cmp_gt_f32_e64 s[44:45], 0, v19
	s_xor_b64 s[44:45], s[44:45], s[42:43]
	v_cndmask_b32_e64 v3, v241, 0, s[44:45]
	v_cndmask_b32_e64 v4, 0, v2, s[40:41]
	v_bfi_b32 v3, s67, v3, v4
	s_or_b64 vcc, vcc, s[42:43]
	v_cndmask_b32_e32 v1, v1, v3, vcc
	v_cmp_o_f32_e32 vcc, v2, v2
	v_cndmask_b32_e32 v178, v242, v1, vcc
.LBB14_20:                              ;   in Loop: Header=BB14_15 Depth=1
	v_readlane_b32 s40, v253, 3
	s_mul_i32 s62, s62, s40
	s_sub_i32 s9, s9, s62
	s_ashr_i32 s40, s9, 31
	v_readlane_b32 s41, v253, 29
	s_xor_b32 s40, s40, s41
	s_abs_i32 s9, s9
	v_readlane_b32 s41, v253, 30
	s_mul_hi_u32 s41, s9, s41
	v_readlane_b32 s44, v253, 31
	s_mul_i32 s42, s41, s44
	s_sub_i32 s9, s9, s42
	s_add_i32 s42, s41, 1
	s_sub_i32 s43, s9, s44
	s_cmp_ge_u32 s9, s44
	s_cselect_b32 s41, s42, s41
	s_cselect_b32 s9, s43, s9
	s_add_i32 s42, s41, 1
	s_cmp_ge_u32 s9, s44
	s_cselect_b32 s9, s42, s41
	v_readlane_b32 s42, v253, 42
	s_xor_b32 s9, s9, s40
	v_readlane_b32 s43, v253, 43
	s_andn2_b64 vcc, exec, s[42:43]
	s_sub_i32 s44, s9, s40
	s_cbranch_vccnz .LBB14_22
; %bb.21:                               ;   in Loop: Header=BB14_15 Depth=1
	v_readlane_b32 s9, v253, 0
	s_mul_i32 s9, s50, s9
	s_add_i32 s40, s44, s9
	s_ashr_i32 s41, s40, 31
	s_lshl_b64 s[40:41], s[40:41], 2
	s_add_u32 s40, s82, s40
	s_addc_u32 s41, s83, s41
	global_load_dword v1, v191, s[40:41]
	s_waitcnt vmcnt(0)
	v_readfirstlane_b32 s9, v1
	s_ashr_i32 s40, s9, 31
	s_lshr_b32 s40, s40, 26
	s_add_i32 s9, s9, s40
	s_ashr_i32 s9, s9, 6
	v_readlane_b32 s40, v253, 34
	s_min_i32 s40, s40, s9
	v_writelane_b32 v253, s40, 34
.LBB14_22:                              ;   in Loop: Header=BB14_15 Depth=1
	v_readlane_b32 s9, v253, 37
	s_mul_i32 s9, s9, s50
	s_add_i32 s9, s8, s9
	s_mul_i32 s62, s9, 48
	v_readlane_b32 s42, v253, 19
	s_lshl_b64 s[40:41], s[62:63], 3
	v_readlane_b32 s43, v253, 20
	s_add_u32 s91, s84, s40
	s_mul_i32 s9, s50, s43
	s_mul_hi_u32 s40, s50, s42
	s_addc_u32 s99, s85, s41
	s_add_i32 s9, s40, s9
	s_mul_i32 s40, s51, s42
	v_readlane_b32 s92, v253, 25
	s_add_i32 s40, s9, s40
	s_mul_i32 s9, s50, s42
	v_readlane_b32 s95, v253, 28
	v_writelane_b32 v254, s9, 22
	s_add_u32 s9, s76, s9
	s_mul_i32 s41, s66, s95
	v_writelane_b32 v254, s40, 23
	s_addc_u32 s40, s77, s40
	v_readlane_b32 s93, v253, 26
	s_ashr_i32 s42, s41, 31
	s_mov_b64 s[68:69], s[92:93]
	v_writelane_b32 v254, s41, 24
	s_add_u32 s92, s9, s41
	v_writelane_b32 v254, s42, 25
	s_addc_u32 s9, s40, s42
	v_writelane_b32 v254, s9, 26
	s_ashr_i32 s9, s8, 31
	s_lshl_b64 s[40:41], s[8:9], 2
	s_add_u32 s9, s80, s40
	s_addc_u32 s42, s81, s41
	v_readlane_b32 s40, v253, 38
	v_readlane_b32 s41, v253, 39
	s_and_b64 s[40:41], s[40:41], exec
	s_cselect_b32 s41, 0, s42
	v_readlane_b32 s42, v253, 10
	s_cselect_b32 s40, 0, s9
	v_readlane_b32 s43, v253, 11
	v_writelane_b32 v254, s40, 27
	s_mul_i32 s9, s50, s43
	v_writelane_b32 v254, s41, 28
	s_ashr_i32 s40, s9, 31
	s_add_u32 s9, s72, s9
	s_mul_i32 s8, s8, s42
	s_addc_u32 s40, s73, s40
	s_ashr_i32 s41, s8, 31
	s_add_u32 s8, s9, s8
	v_writelane_b32 v254, s8, 29
	s_mul_i32 s8, s50, s69
	s_mul_hi_u32 s9, s50, s68
	s_addc_u32 s62, s40, s41
	s_add_i32 s8, s9, s8
	s_mul_i32 s51, s51, s68
	s_add_i32 s9, s8, s51
	s_mul_i32 s8, s50, s68
	v_readlane_b32 s40, v253, 23
	v_writelane_b32 v254, s8, 30
	v_readlane_b32 s41, v253, 24
	s_add_u32 s8, s74, s8
	v_writelane_b32 v254, s9, 31
	s_mul_i32 s40, s66, s41
	s_addc_u32 s9, s75, s9
	s_ashr_i32 s41, s40, 31
	v_writelane_b32 v254, s40, 32
	s_add_u32 s42, s8, s40
	v_writelane_b32 v254, s41, 33
	s_addc_u32 s43, s9, s41
	v_writelane_b32 v254, s92, 34
	s_cmp_lg_u32 s70, 0
	v_writelane_b32 v254, s44, 35
	v_readlane_b32 s94, v253, 27
	s_cbranch_scc0 .LBB14_87
; %bb.23:                               ;   in Loop: Header=BB14_15 Depth=1
	s_lshl_b32 s71, s44, 6
	v_add_u32_e32 v100, s71, v57
	v_cmp_gt_i32_e64 s[8:9], s88, v100
	v_writelane_b32 v254, s8, 61
	v_writelane_b32 v254, s9, 62
	v_cmp_le_i32_e32 vcc, s88, v100
	s_and_saveexec_b64 s[8:9], vcc
	s_xor_b64 s[8:9], exec, s[8:9]
	s_cbranch_execz .LBB14_25
; %bb.24:                               ;   in Loop: Header=BB14_15 Depth=1
	ds_write_b32 v155, v191
.LBB14_25:                              ;   in Loop: Header=BB14_15 Depth=1
	s_or_saveexec_b64 s[8:9], s[8:9]
	v_readlane_b32 s51, v254, 26
	v_readlane_b32 s44, v254, 29
	s_xor_b64 exec, exec, s[8:9]
	s_cbranch_execz .LBB14_27
; %bb.26:                               ;   in Loop: Header=BB14_15 Depth=1
	v_mad_u64_u32 v[2:3], s[40:41], v100, s96, v[46:47]
	v_ashrrev_i32_e32 v3, 31, v2
	v_lshlrev_b64 v[2:3], 3, v[2:3]
	v_mov_b32_e32 v0, s62
	v_add_co_u32_e32 v2, vcc, s44, v2
	v_addc_co_u32_e32 v3, vcc, v0, v3, vcc
	global_load_dwordx2 v[2:3], v[2:3], off
	s_waitcnt vmcnt(0)
	v_cvt_f16_f32_e32 v0, v2
	v_cvt_f16_f32_e32 v1, v3
	v_pack_b32_f16 v0, v0, v1
	v_pk_mul_f16 v0, v47, v0
	ds_write_b32 v155, v0
.LBB14_27:                              ;   in Loop: Header=BB14_15 Depth=1
	s_or_b64 exec, exec, s[8:9]
	v_add_u32_e32 v99, s71, v235
	v_cmp_gt_i32_e64 s[8:9], s88, v99
                                        ; implicit-def: $vgpr255 : SGPR spill to VGPR lane
	v_writelane_b32 v254, s8, 63
	v_writelane_b32 v255, s9, 0
	v_cmp_le_i32_e32 vcc, s88, v99
	s_and_saveexec_b64 s[8:9], vcc
	s_xor_b64 s[8:9], exec, s[8:9]
	s_cbranch_execz .LBB14_29
; %bb.28:                               ;   in Loop: Header=BB14_15 Depth=1
	ds_write_b32 v155, v191 offset:1664
.LBB14_29:                              ;   in Loop: Header=BB14_15 Depth=1
	s_andn2_saveexec_b64 s[8:9], s[8:9]
	s_cbranch_execz .LBB14_31
; %bb.30:                               ;   in Loop: Header=BB14_15 Depth=1
	v_mad_u64_u32 v[2:3], s[40:41], v99, s96, v[46:47]
	v_ashrrev_i32_e32 v3, 31, v2
	v_lshlrev_b64 v[2:3], 3, v[2:3]
	v_mov_b32_e32 v0, s62
	v_add_co_u32_e32 v2, vcc, s44, v2
	v_addc_co_u32_e32 v3, vcc, v0, v3, vcc
	global_load_dwordx2 v[2:3], v[2:3], off
	s_waitcnt vmcnt(0)
	v_cvt_f16_f32_e32 v0, v2
	v_cvt_f16_f32_e32 v1, v3
	v_pack_b32_f16 v0, v0, v1
	v_pk_mul_f16 v0, v47, v0
	ds_write_b32 v155, v0 offset:1664
.LBB14_31:                              ;   in Loop: Header=BB14_15 Depth=1
	s_or_b64 exec, exec, s[8:9]
	v_add_u32_e32 v98, s71, v157
	v_cmp_gt_i32_e64 s[8:9], s88, v98
	v_writelane_b32 v255, s8, 1
	v_writelane_b32 v255, s9, 2
	v_cmp_le_i32_e32 vcc, s88, v98
	s_and_saveexec_b64 s[8:9], vcc
	s_xor_b64 s[8:9], exec, s[8:9]
	s_cbranch_execz .LBB14_33
; %bb.32:                               ;   in Loop: Header=BB14_15 Depth=1
	ds_write_b32 v155, v191 offset:3328
.LBB14_33:                              ;   in Loop: Header=BB14_15 Depth=1
	s_andn2_saveexec_b64 s[8:9], s[8:9]
	s_cbranch_execz .LBB14_35
; %bb.34:                               ;   in Loop: Header=BB14_15 Depth=1
	v_mad_u64_u32 v[2:3], s[40:41], v98, s96, v[46:47]
	v_ashrrev_i32_e32 v3, 31, v2
	v_lshlrev_b64 v[2:3], 3, v[2:3]
	v_mov_b32_e32 v0, s62
	v_add_co_u32_e32 v2, vcc, s44, v2
	v_addc_co_u32_e32 v3, vcc, v0, v3, vcc
	global_load_dwordx2 v[2:3], v[2:3], off
	s_waitcnt vmcnt(0)
	v_cvt_f16_f32_e32 v0, v2
	v_cvt_f16_f32_e32 v1, v3
	v_pack_b32_f16 v0, v0, v1
	v_pk_mul_f16 v0, v47, v0
	ds_write_b32 v155, v0 offset:3328
.LBB14_35:                              ;   in Loop: Header=BB14_15 Depth=1
	s_or_b64 exec, exec, s[8:9]
	v_add_u32_e32 v97, s71, v236
	v_cmp_gt_i32_e64 s[8:9], s88, v97
	;; [unrolled: 29-line block ×7, first 2 shown]
	v_writelane_b32 v255, s8, 13
	v_writelane_b32 v255, s9, 14
	v_cmp_le_i32_e32 vcc, s88, v35
	s_and_saveexec_b64 s[8:9], vcc
	s_xor_b64 s[8:9], exec, s[8:9]
	s_cbranch_execz .LBB14_57
; %bb.56:                               ;   in Loop: Header=BB14_15 Depth=1
	ds_write_b32 v156, v191 offset:128
.LBB14_57:                              ;   in Loop: Header=BB14_15 Depth=1
	s_andn2_saveexec_b64 s[8:9], s[8:9]
	s_cbranch_execz .LBB14_59
; %bb.58:                               ;   in Loop: Header=BB14_15 Depth=1
	v_mul_lo_u32 v0, v35, s96
	v_ashrrev_i32_e32 v1, 31, v0
	v_add_co_u32_e32 v2, vcc, v0, v32
	v_addc_co_u32_e32 v3, vcc, 0, v1, vcc
	v_lshlrev_b64 v[2:3], 3, v[2:3]
	v_mov_b32_e32 v0, s62
	v_add_co_u32_e32 v2, vcc, s44, v2
	v_addc_co_u32_e32 v3, vcc, v0, v3, vcc
	global_load_dwordx2 v[2:3], v[2:3], off offset:256
	s_waitcnt vmcnt(0)
	v_cvt_f16_f32_e32 v0, v2
	v_cvt_f16_f32_e32 v1, v3
	v_pack_b32_f16 v0, v0, v1
	v_pk_mul_f16 v0, v47, v0
	ds_write_b32 v156, v0 offset:128
.LBB14_59:                              ;   in Loop: Header=BB14_15 Depth=1
	s_or_b64 exec, exec, s[8:9]
	v_add_u32_e32 v31, s71, v163
	v_cmp_gt_i32_e64 s[8:9], s88, v31
	v_writelane_b32 v255, s8, 15
	v_writelane_b32 v255, s9, 16
	v_cmp_le_i32_e32 vcc, s88, v31
	s_and_saveexec_b64 s[8:9], vcc
	s_xor_b64 s[8:9], exec, s[8:9]
	s_cbranch_execz .LBB14_61
; %bb.60:                               ;   in Loop: Header=BB14_15 Depth=1
	ds_write_b32 v156, v191 offset:3456
.LBB14_61:                              ;   in Loop: Header=BB14_15 Depth=1
	s_andn2_saveexec_b64 s[8:9], s[8:9]
	s_cbranch_execz .LBB14_63
; %bb.62:                               ;   in Loop: Header=BB14_15 Depth=1
	v_mul_lo_u32 v0, v31, s96
	v_ashrrev_i32_e32 v1, 31, v0
	v_add_co_u32_e32 v2, vcc, v0, v32
	v_addc_co_u32_e32 v3, vcc, 0, v1, vcc
	v_lshlrev_b64 v[2:3], 3, v[2:3]
	v_mov_b32_e32 v0, s62
	v_add_co_u32_e32 v2, vcc, s44, v2
	v_addc_co_u32_e32 v3, vcc, v0, v3, vcc
	global_load_dwordx2 v[2:3], v[2:3], off offset:256
	s_waitcnt vmcnt(0)
	v_cvt_f16_f32_e32 v0, v2
	v_cvt_f16_f32_e32 v1, v3
	v_pack_b32_f16 v0, v0, v1
	v_pk_mul_f16 v0, v47, v0
	ds_write_b32 v156, v0 offset:3456
.LBB14_63:                              ;   in Loop: Header=BB14_15 Depth=1
	s_or_b64 exec, exec, s[8:9]
	v_add_u32_e32 v1, s71, v165
	v_cmp_gt_i32_e64 s[8:9], s88, v1
	;; [unrolled: 31-line block ×3, first 2 shown]
	v_writelane_b32 v255, s8, 19
	v_writelane_b32 v255, s9, 20
	v_cmp_le_i32_e32 vcc, s88, v243
	s_and_saveexec_b64 s[8:9], vcc
	s_xor_b64 s[8:9], exec, s[8:9]
	s_cbranch_execz .LBB14_69
; %bb.68:                               ;   in Loop: Header=BB14_15 Depth=1
	ds_write_b32 v156, v191 offset:10112
.LBB14_69:                              ;   in Loop: Header=BB14_15 Depth=1
	s_andn2_saveexec_b64 s[8:9], s[8:9]
	s_cbranch_execz .LBB14_71
; %bb.70:                               ;   in Loop: Header=BB14_15 Depth=1
	v_mul_lo_u32 v0, v243, s96
	v_ashrrev_i32_e32 v3, 31, v0
	v_add_co_u32_e32 v2, vcc, v0, v32
	v_addc_co_u32_e32 v3, vcc, 0, v3, vcc
	v_lshlrev_b64 v[2:3], 3, v[2:3]
	v_mov_b32_e32 v0, s62
	v_add_co_u32_e32 v2, vcc, s44, v2
	v_addc_co_u32_e32 v3, vcc, v0, v3, vcc
	global_load_dwordx2 v[2:3], v[2:3], off offset:256
	s_waitcnt vmcnt(0)
	v_cvt_f16_f32_e32 v0, v2
	v_cvt_f16_f32_e32 v2, v3
	v_pack_b32_f16 v0, v0, v2
	v_pk_mul_f16 v0, v47, v0
	ds_write_b32 v156, v0 offset:10112
.LBB14_71:                              ;   in Loop: Header=BB14_15 Depth=1
	s_or_b64 exec, exec, s[8:9]
	s_waitcnt lgkmcnt(0)
	s_barrier
	ds_read2_b64 v[10:13], v111 offset1:4
	ds_read2_b64 v[6:9], v111 offset0:8 offset1:12
	ds_read2_b64 v[2:5], v111 offset0:16 offset1:20
	v_readlane_b32 s8, v253, 34
	s_add_i32 s50, s8, -1
	s_cmp_le_i32 s50, s70
	v_mov_b32_e32 v158, 0
	s_waitcnt lgkmcnt(0)
	s_barrier
	s_cbranch_scc1 .LBB14_88
; %bb.72:                               ;   in Loop: Header=BB14_15 Depth=1
	v_lshlrev_b32_e32 v0, 1, v30
	v_add_co_u32_e32 v101, vcc, v60, v0
	v_add_u32_e32 v0, s71, v109
	v_readlane_b32 s40, v253, 13
	v_mul_hi_u32 v14, s40, v0
	v_readlane_b32 s41, v253, 14
	v_add_u32_e32 v14, v0, v14
	v_lshrrev_b32_e32 v14, s41, v14
	v_mul_lo_u32 v14, v14, s88
	v_sub_u32_e32 v0, v0, v14
	v_mad_i64_i32 v[14:15], s[8:9], v0, s90, 0
	v_add_u32_e32 v0, s71, v192
	v_mul_hi_u32 v16, s40, v0
	v_add_u32_e32 v16, v0, v16
	v_lshrrev_b32_e32 v16, s41, v16
	v_mul_lo_u32 v16, v16, s88
	v_sub_u32_e32 v0, v0, v16
	v_mad_i64_i32 v[16:17], s[8:9], v0, s90, 0
	v_add_u32_e32 v0, s71, v194
	v_mul_hi_u32 v18, s40, v0
	;; [unrolled: 7-line block ×15, first 2 shown]
	v_add_u32_e32 v62, v0, v62
	v_lshrrev_b32_e32 v62, s41, v62
	v_mul_lo_u32 v62, v62, s88
	v_sub_u32_e32 v0, v0, v62
	v_mad_i64_i32 v[94:95], s[8:9], v0, s90, 0
	v_and_b32_e32 v0, 64, v190
	v_addc_co_u32_e32 v102, vcc, 0, v61, vcc
	v_add_u32_e32 v0, 64, v0
	v_xor_b32_e32 v62, 32, v190
	v_cmp_lt_i32_e32 vcc, v62, v0
	v_cndmask_b32_e32 v62, v190, v62, vcc
	v_lshlrev_b32_e32 v103, 2, v62
	v_xor_b32_e32 v62, 16, v190
	v_cmp_lt_i32_e32 vcc, v62, v0
	v_cndmask_b32_e32 v0, v190, v62, vcc
	v_cmp_ne_u64_e64 s[66:67], 0, v[60:61]
	v_mov_b32_e32 v160, 0
	v_lshlrev_b32_e32 v104, 2, v0
	v_mov_b32_e32 v62, v178
	v_mov_b32_e32 v63, v178
	s_lshl_b32 s8, s70, 6
	v_mov_b32_e32 v166, 0
	v_mov_b32_e32 v245, 0xfeffffff
	v_lshlrev_b64 v[64:65], 1, v[14:15]
	v_lshlrev_b64 v[66:67], 1, v[16:17]
	;; [unrolled: 1-line block ×16, first 2 shown]
	v_mov_b32_e32 v170, 0
	v_mov_b32_e32 v172, 0
	v_mov_b32_e32 v171, 0
	v_mov_b32_e32 v162, 0
	v_mov_b32_e32 v107, 0
	v_mov_b32_e32 v106, 0
	v_mov_b32_e32 v105, 0
	v_mov_b32_e32 v175, 0
	v_mov_b32_e32 v168, 0
	v_mov_b32_e32 v174, 0
	v_mov_b32_e32 v158, 0
.LBB14_73:                              ;   Parent Loop BB14_15 Depth=1
                                        ; =>  This Inner Loop Header: Depth=2
	v_cndmask_b32_e64 v0, 0, 1, s[66:67]
	v_cmp_ne_u32_e64 s[68:69], 1, v0
	s_andn2_b64 vcc, exec, s[66:67]
	s_ashr_i32 s9, s8, 31
	s_cbranch_vccnz .LBB14_83
; %bb.74:                               ;   in Loop: Header=BB14_73 Depth=2
                                        ; implicit-def: $sgpr44
	s_and_saveexec_b64 s[40:41], s[6:7]
	s_xor_b64 s[40:41], exec, s[40:41]
	s_cbranch_execz .LBB14_76
; %bb.75:                               ;   in Loop: Header=BB14_73 Depth=2
	ds_write_b16 v112, v191 offset:13312
	ds_write_b16 v193, v191 offset:13312
	;; [unrolled: 1-line block ×4, first 2 shown]
	s_mov_b32 s44, 0
.LBB14_76:                              ;   in Loop: Header=BB14_73 Depth=2
	s_or_saveexec_b64 s[40:41], s[40:41]
	s_lshl_b64 s[72:73], s[8:9], 1
	v_mov_b32_e32 v0, s73
	v_add_co_u32_e32 v14, vcc, s72, v101
	v_addc_co_u32_e32 v15, vcc, v102, v0, vcc
	v_mov_b32_e32 v16, s44
	v_mov_b32_e32 v17, s44
	;; [unrolled: 1-line block ×4, first 2 shown]
	s_xor_b64 exec, exec, s[40:41]
	s_cbranch_execz .LBB14_78
; %bb.77:                               ;   in Loop: Header=BB14_73 Depth=2
	v_add_co_u32_e32 v16, vcc, v14, v64
	v_addc_co_u32_e32 v17, vcc, v15, v65, vcc
	flat_load_ushort v0, v[16:17]
	v_add_co_u32_e32 v16, vcc, v14, v66
	v_addc_co_u32_e32 v17, vcc, v15, v67, vcc
	flat_load_ushort v18, v[16:17]
	;; [unrolled: 3-line block ×4, first 2 shown]
	s_waitcnt vmcnt(0) lgkmcnt(0)
	ds_write_b16 v112, v0 offset:13312
	ds_write_b16 v193, v18 offset:13312
	;; [unrolled: 1-line block ×4, first 2 shown]
	v_add_co_u32_e32 v16, vcc, v14, v72
	v_addc_co_u32_e32 v17, vcc, v15, v73, vcc
	v_add_co_u32_e32 v18, vcc, v14, v74
	v_addc_co_u32_e32 v19, vcc, v15, v75, vcc
	flat_load_ushort v16, v[16:17]
	s_nop 0
	flat_load_ushort v17, v[18:19]
	v_add_co_u32_e32 v18, vcc, v14, v76
	v_addc_co_u32_e32 v19, vcc, v15, v77, vcc
	v_add_co_u32_e32 v20, vcc, v14, v78
	v_addc_co_u32_e32 v21, vcc, v15, v79, vcc
	flat_load_ushort v18, v[18:19]
	s_nop 0
	flat_load_ushort v19, v[20:21]
.LBB14_78:                              ;   in Loop: Header=BB14_73 Depth=2
	s_or_b64 exec, exec, s[40:41]
	s_waitcnt vmcnt(0) lgkmcnt(0)
	ds_write_b16 v199, v16 offset:13312
	ds_write_b16 v201, v17 offset:13312
	;; [unrolled: 1-line block ×4, first 2 shown]
                                        ; implicit-def: $sgpr9
	s_and_saveexec_b64 s[40:41], s[6:7]
	s_xor_b64 s[40:41], exec, s[40:41]
	s_cbranch_execz .LBB14_80
; %bb.79:                               ;   in Loop: Header=BB14_73 Depth=2
	ds_write_b16 v207, v191 offset:13312
	ds_write_b16 v209, v191 offset:13312
	;; [unrolled: 1-line block ×4, first 2 shown]
	s_mov_b32 s9, 0
                                        ; implicit-def: $vgpr14
                                        ; implicit-def: $vgpr15
.LBB14_80:                              ;   in Loop: Header=BB14_73 Depth=2
	s_or_saveexec_b64 s[40:41], s[40:41]
	v_mov_b32_e32 v16, s9
	v_mov_b32_e32 v17, s9
	;; [unrolled: 1-line block ×4, first 2 shown]
	s_xor_b64 exec, exec, s[40:41]
	s_cbranch_execz .LBB14_82
; %bb.81:                               ;   in Loop: Header=BB14_73 Depth=2
	v_add_co_u32_e32 v16, vcc, v14, v80
	v_addc_co_u32_e32 v17, vcc, v15, v81, vcc
	flat_load_ushort v0, v[16:17]
	v_add_co_u32_e32 v16, vcc, v14, v82
	v_addc_co_u32_e32 v17, vcc, v15, v83, vcc
	flat_load_ushort v18, v[16:17]
	;; [unrolled: 3-line block ×4, first 2 shown]
	s_waitcnt vmcnt(0) lgkmcnt(0)
	ds_write_b16 v207, v0 offset:13312
	ds_write_b16 v209, v18 offset:13312
	;; [unrolled: 1-line block ×4, first 2 shown]
	v_add_co_u32_e32 v16, vcc, v14, v88
	v_addc_co_u32_e32 v17, vcc, v15, v89, vcc
	v_add_co_u32_e32 v18, vcc, v14, v90
	v_addc_co_u32_e32 v19, vcc, v15, v91, vcc
	flat_load_ushort v16, v[16:17]
	s_nop 0
	flat_load_ushort v17, v[18:19]
	v_add_co_u32_e32 v18, vcc, v14, v92
	v_addc_co_u32_e32 v19, vcc, v15, v93, vcc
	v_add_co_u32_e32 v14, vcc, v14, v94
	v_addc_co_u32_e32 v15, vcc, v15, v95, vcc
	flat_load_ushort v18, v[18:19]
	s_nop 0
	flat_load_ushort v19, v[14:15]
.LBB14_82:                              ;   in Loop: Header=BB14_73 Depth=2
	s_or_b64 exec, exec, s[40:41]
	s_waitcnt vmcnt(0) lgkmcnt(0)
	ds_write_b16 v215, v16 offset:13312
	ds_write_b16 v217, v17 offset:13312
	;; [unrolled: 1-line block ×4, first 2 shown]
.LBB14_83:                              ;   in Loop: Header=BB14_73 Depth=2
	s_mul_hi_i32 s41, s8, s46
	s_mul_i32 s40, s8, s46
	s_lshl_b64 s[40:41], s[40:41], 2
	s_add_u32 s9, s42, s40
	s_addc_u32 s40, s43, s41
	v_add_co_u32_e32 v0, vcc, s9, v44
	v_mov_b32_e32 v14, s40
	v_addc_co_u32_e32 v14, vcc, v14, v45, vcc
	v_lshlrev_b32_e32 v244, 2, v36
	v_add_co_u32_e32 v0, vcc, v0, v244
	v_addc_co_u32_e32 v14, vcc, 0, v14, vcc
	v_add_co_u32_e32 v0, vcc, s33, v0
	v_addc_co_u32_e32 v14, vcc, 0, v14, vcc
	v_mov_b32_e32 v18, s65
	v_mov_b32_e32 v19, s64
	buffer_store_dword v191, off, s[0:3], 0
	buffer_store_dword v191, off, s[0:3], 0 offset:4
	buffer_store_dword v191, off, s[0:3], 0 offset:8
	;; [unrolled: 1-line block ×3, first 2 shown]
	v_cndmask_b32_e64 v15, v18, v14, s[52:53]
	v_cndmask_b32_e64 v14, v19, v0, s[52:53]
	flat_load_dwordx4 v[14:17], v[14:15]
	v_add_co_u32_e32 v0, vcc, s9, v52
	v_lshlrev_b32_e32 v176, 2, v38
	s_waitcnt vmcnt(0) lgkmcnt(0)
	ds_write_b128 v114, v[14:17]
	v_mov_b32_e32 v14, s40
	v_addc_co_u32_e32 v14, vcc, v14, v53, vcc
	v_add_co_u32_e32 v0, vcc, v0, v176
	v_addc_co_u32_e32 v14, vcc, 0, v14, vcc
	v_cndmask_b32_e64 v15, v18, v14, s[10:11]
	v_cndmask_b32_e64 v14, v19, v0, s[10:11]
	flat_load_dwordx4 v[14:17], v[14:15]
	v_add_co_u32_e32 v0, vcc, s9, v54
	s_waitcnt vmcnt(0) lgkmcnt(0)
	ds_write_b128 v116, v[14:17]
	v_mov_b32_e32 v14, s40
	v_addc_co_u32_e32 v14, vcc, v14, v55, vcc
	v_add_co_u32_e32 v0, vcc, v0, v176
	v_addc_co_u32_e32 v14, vcc, 0, v14, vcc
	v_cndmask_b32_e64 v15, v18, v14, s[12:13]
	v_cndmask_b32_e64 v14, v19, v0, s[12:13]
	flat_load_dwordx4 v[14:17], v[14:15]
	v_add_u32_e32 v0, 0x800, v117
	s_and_b64 vcc, exec, s[68:69]
	s_waitcnt vmcnt(0) lgkmcnt(0)
	ds_write_b128 v223, v[14:17]
	s_waitcnt lgkmcnt(0)
	s_barrier
	ds_read2_b64 v[14:17], v117 offset1:4
	s_waitcnt lgkmcnt(0)
	v_mfma_f32_16x16x16f16 v[18:21], v[14:15], v[10:11], 0
	v_mfma_f32_16x16x16f16 v[14:17], v[16:17], v[12:13], v[18:21]
	s_nop 7
	s_nop 1
	ds_read2_b64 v[18:21], v117 offset0:8 offset1:12
	s_waitcnt lgkmcnt(0)
	v_mfma_f32_16x16x16f16 v[14:17], v[18:19], v[6:7], v[14:17]
	v_mfma_f32_16x16x16f16 v[14:17], v[20:21], v[8:9], v[14:17]
	ds_read2_b64 v[18:21], v117 offset0:16 offset1:20
	s_waitcnt lgkmcnt(0)
	v_mfma_f32_16x16x16f16 v[14:17], v[18:19], v[2:3], v[14:17]
	v_mfma_f32_16x16x16f16 v[26:29], v[20:21], v[4:5], v[14:17]
	s_nop 7
	s_nop 1
	ds_read2_b64 v[14:17], v0 offset0:160 offset1:164
	s_waitcnt lgkmcnt(0)
	v_mfma_f32_16x16x16f16 v[18:21], v[14:15], v[10:11], 0
	v_mfma_f32_16x16x16f16 v[14:17], v[16:17], v[12:13], v[18:21]
	s_nop 7
	s_nop 1
	ds_read2_b64 v[18:21], v0 offset0:168 offset1:172
	s_waitcnt lgkmcnt(0)
	v_mfma_f32_16x16x16f16 v[14:17], v[18:19], v[6:7], v[14:17]
	v_mfma_f32_16x16x16f16 v[14:17], v[20:21], v[8:9], v[14:17]
	ds_read2_b64 v[18:21], v0 offset0:176 offset1:180
	v_add_u32_e32 v0, 0x1800, v117
	s_waitcnt lgkmcnt(0)
	v_mfma_f32_16x16x16f16 v[14:17], v[18:19], v[2:3], v[14:17]
	v_mfma_f32_16x16x16f16 v[22:25], v[20:21], v[4:5], v[14:17]
	s_nop 7
	s_nop 1
	ds_read2_b64 v[14:17], v0 offset0:64 offset1:68
	s_waitcnt lgkmcnt(0)
	v_mfma_f32_16x16x16f16 v[18:21], v[14:15], v[10:11], 0
	v_mfma_f32_16x16x16f16 v[14:17], v[16:17], v[12:13], v[18:21]
	s_nop 7
	s_nop 1
	ds_read2_b64 v[18:21], v0 offset0:72 offset1:76
	s_waitcnt lgkmcnt(0)
	v_mfma_f32_16x16x16f16 v[14:17], v[18:19], v[6:7], v[14:17]
	v_mfma_f32_16x16x16f16 v[14:17], v[20:21], v[8:9], v[14:17]
	ds_read2_b64 v[18:21], v0 offset0:80 offset1:84
	v_add_u32_e32 v0, 0x2000, v117
	s_waitcnt lgkmcnt(0)
	v_mfma_f32_16x16x16f16 v[14:17], v[18:19], v[2:3], v[14:17]
	v_mfma_f32_16x16x16f16 v[14:17], v[20:21], v[4:5], v[14:17]
	ds_read2_b64 v[18:21], v0 offset0:224 offset1:228
	s_waitcnt lgkmcnt(0)
	v_mfma_f32_16x16x16f16 v[180:183], v[18:19], v[10:11], 0
	v_mfma_f32_16x16x16f16 v[18:21], v[20:21], v[12:13], v[180:183]
	s_nop 7
	s_nop 1
	ds_read2_b64 v[180:183], v0 offset0:232 offset1:236
	s_waitcnt lgkmcnt(0)
	v_mfma_f32_16x16x16f16 v[18:21], v[180:181], v[6:7], v[18:21]
	v_mfma_f32_16x16x16f16 v[18:21], v[182:183], v[8:9], v[18:21]
	ds_read2_b64 v[180:183], v0 offset0:240 offset1:244
	s_waitcnt lgkmcnt(0)
	s_barrier
	v_mfma_f32_16x16x16f16 v[18:21], v[180:181], v[2:3], v[18:21]
	v_mfma_f32_16x16x16f16 v[18:21], v[182:183], v[4:5], v[18:21]
	s_cbranch_vccnz .LBB14_85
; %bb.84:                               ;   in Loop: Header=BB14_73 Depth=2
	ds_read_b32 v0, v119 offset:13312
	v_mov_b32_e32 v179, v178
	s_waitcnt lgkmcnt(0)
	v_cvt_f32_f16_sdwa v59, v0 dst_sel:DWORD dst_unused:UNUSED_PAD src0_sel:WORD_1
	v_cvt_f32_f16_e32 v58, v0
	ds_read_b32 v0, v140 offset:13312
	v_pk_fma_f32 v[26:27], v[62:63], v[58:59], v[26:27]
	s_waitcnt lgkmcnt(0)
	v_cvt_f32_f16_sdwa v181, v0 dst_sel:DWORD dst_unused:UNUSED_PAD src0_sel:WORD_1
	v_cvt_f32_f16_e32 v180, v0
	v_add_u32_e32 v0, 0x3400, v121
	ds_read2_b32 v[58:59], v0 offset1:1
	v_add_u32_e32 v0, 0x3400, v138
	v_pk_fma_f32 v[28:29], v[178:179], v[180:181], v[28:29]
	s_waitcnt lgkmcnt(0)
	v_cvt_f32_f16_e32 v180, v58
	v_cvt_f32_f16_sdwa v181, v58 dst_sel:DWORD dst_unused:UNUSED_PAD src0_sel:WORD_1
	v_cvt_f32_f16_e32 v58, v59
	v_cvt_f32_f16_sdwa v59, v59 dst_sel:DWORD dst_unused:UNUSED_PAD src0_sel:WORD_1
	v_pk_fma_f32 v[22:23], v[62:63], v[180:181], v[22:23]
	v_pk_fma_f32 v[24:25], v[178:179], v[58:59], v[24:25]
	ds_read2_b32 v[58:59], v0 offset1:1
	v_add_u32_e32 v0, 0x3400, v142
	s_waitcnt lgkmcnt(0)
	v_cvt_f32_f16_e32 v180, v58
	v_cvt_f32_f16_sdwa v181, v58 dst_sel:DWORD dst_unused:UNUSED_PAD src0_sel:WORD_1
	v_cvt_f32_f16_e32 v58, v59
	v_cvt_f32_f16_sdwa v59, v59 dst_sel:DWORD dst_unused:UNUSED_PAD src0_sel:WORD_1
	v_pk_fma_f32 v[14:15], v[62:63], v[180:181], v[14:15]
	v_pk_fma_f32 v[16:17], v[178:179], v[58:59], v[16:17]
	ds_read2_b32 v[58:59], v0 offset1:1
	s_waitcnt lgkmcnt(0)
	v_cvt_f32_f16_e32 v180, v58
	v_cvt_f32_f16_sdwa v181, v58 dst_sel:DWORD dst_unused:UNUSED_PAD src0_sel:WORD_1
	v_cvt_f32_f16_e32 v58, v59
	v_cvt_f32_f16_sdwa v59, v59 dst_sel:DWORD dst_unused:UNUSED_PAD src0_sel:WORD_1
	v_pk_fma_f32 v[18:19], v[62:63], v[180:181], v[18:19]
	v_pk_fma_f32 v[20:21], v[178:179], v[58:59], v[20:21]
.LBB14_85:                              ;   in Loop: Header=BB14_73 Depth=2
	v_add_f32_e32 v0, 0x40051340, v26
	v_max_f32_e32 v58, v245, v245
	v_max_f32_e32 v0, v58, v0
	v_cndmask_b32_e64 v0, v245, v0, s[14:15]
	v_add_f32_e32 v58, 0x40051340, v27
	v_max_f32_e32 v0, v0, v0
	v_max_f32_e32 v0, v0, v58
	v_cndmask_b32_e64 v0, v245, v0, s[14:15]
	;; [unrolled: 4-line block ×16, first 2 shown]
	ds_bpermute_b32 v58, v103, v0
	v_max_f32_e32 v0, v0, v0
	v_cndmask_b32_e64 v28, v28, v28, s[14:15]
	v_cndmask_b32_e64 v29, v29, v29, s[14:15]
	;; [unrolled: 1-line block ×3, first 2 shown]
	s_waitcnt lgkmcnt(0)
	v_max_f32_e32 v58, v58, v58
	v_max_f32_e32 v0, v0, v58
	ds_bpermute_b32 v58, v104, v0
	v_cndmask_b32_e64 v24, v24, v24, s[16:17]
	v_cndmask_b32_e64 v25, v25, v25, s[16:17]
	;; [unrolled: 1-line block ×4, first 2 shown]
	s_waitcnt lgkmcnt(0)
	v_max_f32_e32 v58, v58, v58
	v_max_f32_e32 v59, v0, v58
	v_sub_f32_e32 v0, v26, v59
	v_mul_f32_e32 v26, 0x3fb8aa3b, v0
	v_fma_f32 v58, v0, s48, -v26
	v_rndne_f32_e32 v108, v26
	v_fmac_f32_e32 v58, 0x32a5705f, v0
	v_sub_f32_e32 v26, v26, v108
	v_add_f32_e32 v26, v26, v58
	v_exp_f32_e32 v26, v26
	v_cvt_i32_f32_e32 v58, v108
	v_sub_f32_e32 v27, v27, v59
	v_cmp_ngt_f32_e32 vcc, s49, v0
	v_sub_f32_e32 v22, v22, v59
	v_ldexp_f32 v26, v26, v58
	v_mul_f32_e32 v58, 0x3fb8aa3b, v27
	v_fma_f32 v108, v27, s48, -v58
	v_rndne_f32_e32 v164, v58
	v_fmac_f32_e32 v108, 0x32a5705f, v27
	v_sub_f32_e32 v58, v58, v164
	v_add_f32_e32 v58, v58, v108
	v_exp_f32_e32 v58, v58
	v_cvt_i32_f32_e32 v108, v164
	v_cndmask_b32_e32 v26, 0, v26, vcc
	v_cmp_nlt_f32_e32 vcc, s57, v0
	v_cndmask_b32_e32 v0, v241, v26, vcc
	v_ldexp_f32 v58, v58, v108
	v_cmp_ngt_f32_e32 vcc, s49, v27
	v_cndmask_b32_e32 v58, 0, v58, vcc
	v_cmp_nlt_f32_e32 vcc, s57, v27
	v_cndmask_b32_e32 v58, v241, v58, vcc
	v_mov_b32_e32 v27, s63
	v_cndmask_b32_e64 v26, 0, v0, s[14:15]
	v_add_f32_e32 v0, v0, v58
	v_cndmask_b32_e64 v58, v27, v58, s[14:15]
	v_sub_f32_e32 v27, v28, v59
	v_mul_f32_e32 v28, 0x3fb8aa3b, v27
	v_fma_f32 v108, v27, s48, -v28
	v_rndne_f32_e32 v164, v28
	v_fmac_f32_e32 v108, 0x32a5705f, v27
	v_sub_f32_e32 v28, v28, v164
	v_add_f32_e32 v28, v28, v108
	v_exp_f32_e32 v28, v28
	v_cvt_i32_f32_e32 v108, v164
	v_cmp_ngt_f32_e32 vcc, s49, v27
	v_sub_f32_e32 v14, v14, v59
	v_cndmask_b32_e64 v17, v17, v17, s[24:25]
	v_ldexp_f32 v28, v28, v108
	v_cndmask_b32_e32 v28, 0, v28, vcc
	v_cmp_nlt_f32_e32 vcc, s57, v27
	v_cndmask_b32_e32 v27, v241, v28, vcc
	v_mov_b32_e32 v28, s63
	v_add_f32_e32 v0, v0, v27
	v_cndmask_b32_e64 v108, v28, v27, s[14:15]
	v_sub_f32_e32 v27, v29, v59
	v_mul_f32_e32 v28, 0x3fb8aa3b, v27
	v_fma_f32 v29, v27, s48, -v28
	v_rndne_f32_e32 v164, v28
	v_fmac_f32_e32 v29, 0x32a5705f, v27
	v_sub_f32_e32 v28, v28, v164
	v_add_f32_e32 v28, v28, v29
	v_exp_f32_e32 v28, v28
	v_cvt_i32_f32_e32 v29, v164
	v_cmp_ngt_f32_e32 vcc, s49, v27
	v_cndmask_b32_e64 v19, v19, v19, s[4:5]
	v_cndmask_b32_e64 v20, v20, v20, s[4:5]
	v_ldexp_f32 v28, v28, v29
	v_cndmask_b32_e32 v28, 0, v28, vcc
	v_cmp_nlt_f32_e32 vcc, s57, v27
	v_cndmask_b32_e32 v28, v241, v28, vcc
	v_mov_b32_e32 v27, s63
	v_cndmask_b32_e64 v164, v27, v28, s[14:15]
	v_mul_f32_e32 v27, 0x3fb8aa3b, v22
	v_add_f32_e32 v0, v0, v28
	v_fma_f32 v28, v22, s48, -v27
	v_rndne_f32_e32 v29, v27
	v_fmac_f32_e32 v28, 0x32a5705f, v22
	v_sub_f32_e32 v27, v27, v29
	v_add_f32_e32 v27, v27, v28
	v_exp_f32_e32 v27, v27
	v_cvt_i32_f32_e32 v28, v29
	v_cmp_ngt_f32_e32 vcc, s49, v22
	v_cndmask_b32_e64 v0, 0, v0, s[14:15]
	s_mul_hi_i32 s41, s8, s54
	v_ldexp_f32 v27, v27, v28
	v_cndmask_b32_e32 v27, 0, v27, vcc
	v_cmp_nlt_f32_e32 vcc, s57, v22
	v_cndmask_b32_e32 v27, v241, v27, vcc
	v_mov_b32_e32 v22, s63
	v_cndmask_b32_e64 v169, v22, v27, s[16:17]
	v_sub_f32_e32 v22, v23, v59
	v_add_f32_e32 v28, v27, v0
	v_mul_f32_e32 v23, 0x3fb8aa3b, v22
	v_cndmask_b32_e64 v0, v0, v28, s[16:17]
	v_fma_f32 v27, v22, s48, -v23
	v_rndne_f32_e32 v28, v23
	v_fmac_f32_e32 v27, 0x32a5705f, v22
	v_sub_f32_e32 v23, v23, v28
	v_add_f32_e32 v23, v23, v27
	v_exp_f32_e32 v23, v23
	v_cvt_i32_f32_e32 v27, v28
	v_cmp_ngt_f32_e32 vcc, s49, v22
	s_mul_i32 s40, s8, s54
	s_lshl_b64 s[40:41], s[40:41], 2
	v_ldexp_f32 v23, v23, v27
	v_cndmask_b32_e32 v23, 0, v23, vcc
	v_cmp_nlt_f32_e32 vcc, s57, v22
	v_cndmask_b32_e32 v22, v241, v23, vcc
	v_mov_b32_e32 v23, s63
	v_add_f32_e32 v27, v22, v0
	v_cndmask_b32_e64 v173, v23, v22, s[18:19]
	v_sub_f32_e32 v22, v24, v59
	v_mul_f32_e32 v23, 0x3fb8aa3b, v22
	v_cndmask_b32_e64 v0, v0, v27, s[18:19]
	v_fma_f32 v24, v22, s48, -v23
	v_rndne_f32_e32 v27, v23
	v_fmac_f32_e32 v24, 0x32a5705f, v22
	v_sub_f32_e32 v23, v23, v27
	v_add_f32_e32 v23, v23, v24
	v_exp_f32_e32 v23, v23
	v_cvt_i32_f32_e32 v24, v27
	v_cmp_ngt_f32_e32 vcc, s49, v22
	s_add_u32 s40, s92, s40
	s_addc_u32 s9, s51, s41
	v_ldexp_f32 v23, v23, v24
	v_cndmask_b32_e32 v23, 0, v23, vcc
	v_cmp_nlt_f32_e32 vcc, s57, v22
	v_cndmask_b32_e32 v23, v241, v23, vcc
	v_mov_b32_e32 v22, s63
	v_cndmask_b32_e64 v177, v22, v23, s[20:21]
	v_sub_f32_e32 v22, v25, v59
	v_add_f32_e32 v24, v23, v0
	v_mul_f32_e32 v23, 0x3fb8aa3b, v22
	v_cndmask_b32_e64 v0, v0, v24, s[20:21]
	v_fma_f32 v24, v22, s48, -v23
	v_rndne_f32_e32 v25, v23
	v_fmac_f32_e32 v24, 0x32a5705f, v22
	v_sub_f32_e32 v23, v23, v25
	v_add_f32_e32 v23, v23, v24
	v_exp_f32_e32 v23, v23
	v_cvt_i32_f32_e32 v24, v25
	v_cmp_ngt_f32_e32 vcc, s49, v22
	buffer_store_dword v191, off, s[0:3], 0
	buffer_store_dword v191, off, s[0:3], 0 offset:4
	buffer_store_dword v191, off, s[0:3], 0 offset:8
	;; [unrolled: 1-line block ×3, first 2 shown]
	s_add_i32 s70, s70, 1
	v_ldexp_f32 v23, v23, v24
	v_cndmask_b32_e32 v23, 0, v23, vcc
	v_cmp_nlt_f32_e32 vcc, s57, v22
	v_cndmask_b32_e32 v22, v241, v23, vcc
	v_mov_b32_e32 v23, s63
	v_add_f32_e32 v24, v22, v0
	v_cndmask_b32_e64 v179, v23, v22, s[22:23]
	v_mul_f32_e32 v22, 0x3fb8aa3b, v14
	v_cndmask_b32_e64 v0, v0, v24, s[22:23]
	v_fma_f32 v23, v14, s48, -v22
	v_rndne_f32_e32 v24, v22
	v_fmac_f32_e32 v23, 0x32a5705f, v14
	v_sub_f32_e32 v22, v22, v24
	v_add_f32_e32 v22, v22, v23
	v_exp_f32_e32 v22, v22
	v_cvt_i32_f32_e32 v23, v24
	v_cmp_ngt_f32_e32 vcc, s49, v14
	s_add_i32 s8, s8, 64
	s_cmp_lt_i32 s70, s50
	v_ldexp_f32 v22, v22, v23
	v_cndmask_b32_e32 v22, 0, v22, vcc
	v_cmp_nlt_f32_e32 vcc, s57, v14
	v_cndmask_b32_e32 v22, v241, v22, vcc
	v_mov_b32_e32 v14, s63
	v_cndmask_b32_e64 v180, v14, v22, s[24:25]
	v_sub_f32_e32 v14, v15, v59
	v_add_f32_e32 v23, v22, v0
	v_mul_f32_e32 v15, 0x3fb8aa3b, v14
	v_cndmask_b32_e64 v0, v0, v23, s[24:25]
	v_fma_f32 v22, v14, s48, -v15
	v_rndne_f32_e32 v23, v15
	v_fmac_f32_e32 v22, 0x32a5705f, v14
	v_sub_f32_e32 v15, v15, v23
	v_add_f32_e32 v15, v15, v22
	v_exp_f32_e32 v15, v15
	v_cvt_i32_f32_e32 v22, v23
	v_cmp_ngt_f32_e32 vcc, s49, v14
	v_ldexp_f32 v15, v15, v22
	v_cndmask_b32_e32 v15, 0, v15, vcc
	v_cmp_nlt_f32_e32 vcc, s57, v14
	v_cndmask_b32_e32 v14, v241, v15, vcc
	v_mov_b32_e32 v15, s63
	v_add_f32_e32 v22, v14, v0
	v_cndmask_b32_e64 v181, v15, v14, s[26:27]
	v_sub_f32_e32 v14, v16, v59
	v_mul_f32_e32 v15, 0x3fb8aa3b, v14
	v_cndmask_b32_e64 v0, v0, v22, s[26:27]
	v_fma_f32 v16, v14, s48, -v15
	v_rndne_f32_e32 v22, v15
	v_fmac_f32_e32 v16, 0x32a5705f, v14
	v_sub_f32_e32 v15, v15, v22
	v_add_f32_e32 v15, v15, v16
	v_exp_f32_e32 v15, v15
	v_cvt_i32_f32_e32 v16, v22
	v_cmp_ngt_f32_e32 vcc, s49, v14
	v_ldexp_f32 v15, v15, v16
	v_cndmask_b32_e32 v15, 0, v15, vcc
	v_cmp_nlt_f32_e32 vcc, s57, v14
	v_cndmask_b32_e32 v15, v241, v15, vcc
	v_mov_b32_e32 v14, s63
	v_cndmask_b32_e64 v182, v14, v15, s[28:29]
	v_sub_f32_e32 v14, v17, v59
	v_add_f32_e32 v16, v15, v0
	v_mul_f32_e32 v15, 0x3fb8aa3b, v14
	v_cndmask_b32_e64 v0, v0, v16, s[28:29]
	v_fma_f32 v16, v14, s48, -v15
	v_rndne_f32_e32 v17, v15
	v_fmac_f32_e32 v16, 0x32a5705f, v14
	v_sub_f32_e32 v15, v15, v17
	v_add_f32_e32 v15, v15, v16
	v_exp_f32_e32 v15, v15
	v_cvt_i32_f32_e32 v16, v17
	v_cmp_ngt_f32_e32 vcc, s49, v14
	v_ldexp_f32 v15, v15, v16
	v_cndmask_b32_e32 v15, 0, v15, vcc
	v_cmp_nlt_f32_e32 vcc, s57, v14
	v_cndmask_b32_e32 v14, v241, v15, vcc
	v_mov_b32_e32 v15, s63
	v_add_f32_e32 v16, v14, v0
	v_cndmask_b32_e64 v17, v15, v14, s[30:31]
	v_sub_f32_e32 v14, v18, v59
	v_mul_f32_e32 v15, 0x3fb8aa3b, v14
	v_cndmask_b32_e64 v0, v0, v16, s[30:31]
	v_fma_f32 v16, v14, s48, -v15
	v_rndne_f32_e32 v18, v15
	v_fmac_f32_e32 v16, 0x32a5705f, v14
	v_sub_f32_e32 v15, v15, v18
	v_add_f32_e32 v15, v15, v16
	v_exp_f32_e32 v15, v15
	v_cvt_i32_f32_e32 v16, v18
	v_cmp_ngt_f32_e32 vcc, s49, v14
	v_cndmask_b32_e64 v18, v21, v21, s[4:5]
	v_ldexp_f32 v15, v15, v16
	v_cndmask_b32_e32 v15, 0, v15, vcc
	v_cmp_nlt_f32_e32 vcc, s57, v14
	v_cndmask_b32_e32 v15, v241, v15, vcc
	v_mov_b32_e32 v14, s63
	v_cndmask_b32_e64 v183, v14, v15, s[4:5]
	v_sub_f32_e32 v14, v19, v59
	v_add_f32_e32 v16, v15, v0
	v_mul_f32_e32 v15, 0x3fb8aa3b, v14
	v_cndmask_b32_e64 v0, v0, v16, s[4:5]
	v_fma_f32 v16, v14, s48, -v15
	v_rndne_f32_e32 v19, v15
	v_fmac_f32_e32 v16, 0x32a5705f, v14
	v_sub_f32_e32 v15, v15, v19
	v_add_f32_e32 v15, v15, v16
	v_exp_f32_e32 v15, v15
	v_cvt_i32_f32_e32 v16, v19
	v_cmp_ngt_f32_e32 vcc, s49, v14
	v_ldexp_f32 v15, v15, v16
	v_cndmask_b32_e32 v15, 0, v15, vcc
	v_cmp_nlt_f32_e32 vcc, s57, v14
	v_cndmask_b32_e32 v14, v241, v15, vcc
	v_mov_b32_e32 v15, s63
	v_add_f32_e32 v16, v14, v0
	v_cndmask_b32_e64 v189, v15, v14, s[34:35]
	v_sub_f32_e32 v14, v20, v59
	v_mul_f32_e32 v15, 0x3fb8aa3b, v14
	v_cndmask_b32_e64 v0, v0, v16, s[34:35]
	v_fma_f32 v16, v14, s48, -v15
	v_rndne_f32_e32 v19, v15
	v_fmac_f32_e32 v16, 0x32a5705f, v14
	v_sub_f32_e32 v15, v15, v19
	v_add_f32_e32 v15, v15, v16
	v_exp_f32_e32 v15, v15
	v_cvt_i32_f32_e32 v16, v19
	v_cmp_ngt_f32_e32 vcc, s49, v14
	v_ldexp_f32 v15, v15, v16
	v_cndmask_b32_e32 v15, 0, v15, vcc
	v_cmp_nlt_f32_e32 vcc, s57, v14
	v_cndmask_b32_e32 v15, v241, v15, vcc
	v_mov_b32_e32 v14, s63
	v_cndmask_b32_e64 v239, v14, v15, s[36:37]
	v_sub_f32_e32 v14, v18, v59
	v_add_f32_e32 v16, v15, v0
	v_mul_f32_e32 v15, 0x3fb8aa3b, v14
	v_cndmask_b32_e64 v0, v0, v16, s[36:37]
	v_fma_f32 v16, v14, s48, -v15
	v_rndne_f32_e32 v18, v15
	v_fmac_f32_e32 v16, 0x32a5705f, v14
	v_sub_f32_e32 v15, v15, v18
	v_add_f32_e32 v15, v15, v16
	v_exp_f32_e32 v15, v15
	v_cvt_i32_f32_e32 v16, v18
	v_cmp_ngt_f32_e32 vcc, s49, v14
	v_ldexp_f32 v15, v15, v16
	v_cndmask_b32_e32 v15, 0, v15, vcc
	v_cmp_nlt_f32_e32 vcc, s57, v14
	v_cndmask_b32_e32 v14, v241, v15, vcc
	v_add_f32_e32 v16, v14, v0
	v_mov_b32_e32 v15, s63
	v_cndmask_b32_e64 v22, v0, v16, s[38:39]
	v_sub_f32_e32 v0, v245, v59
	v_cndmask_b32_e64 v15, v15, v14, s[38:39]
	v_mul_f32_e32 v14, 0x3fb8aa3b, v0
	v_fma_f32 v16, v0, s48, -v14
	v_rndne_f32_e32 v18, v14
	v_fmac_f32_e32 v16, 0x32a5705f, v0
	v_sub_f32_e32 v14, v14, v18
	v_add_f32_e32 v14, v14, v16
	v_exp_f32_e32 v14, v14
	v_cvt_i32_f32_e32 v16, v18
	v_cmp_ngt_f32_e32 vcc, s49, v0
	v_cvt_f16_f32_e32 v15, v15
	v_ldexp_f32 v14, v14, v16
	v_cndmask_b32_e32 v14, 0, v14, vcc
	v_cmp_nlt_f32_e32 vcc, s57, v0
	v_cndmask_b32_e32 v14, v241, v14, vcc
	v_cmp_le_f32_e32 vcc, s97, v0
	v_cndmask_b32_e32 v0, 0, v14, vcc
	v_fmac_f32_e32 v22, v166, v0
	v_cvt_f16_f32_e32 v0, v0
	v_cvt_f16_f32_e32 v14, v58
	v_mov_b32_e32 v58, s65
	v_pk_mul_f16 v106, v0, v106 op_sel_hi:[0,1]
	v_pk_mul_f16 v105, v0, v105 op_sel_hi:[0,1]
	;; [unrolled: 1-line block ×12, first 2 shown]
	v_cvt_f16_f32_e32 v0, v26
	v_mov_b32_e32 v26, s9
	v_pack_b32_f16 v20, v0, v14
	v_cvt_f16_f32_e32 v0, v108
	v_cvt_f16_f32_e32 v14, v164
	v_mov_b32_e32 v108, s9
	v_pack_b32_f16 v21, v0, v14
	v_cvt_f16_f32_e32 v0, v169
	v_cvt_f16_f32_e32 v14, v173
	v_pack_b32_f16 v18, v0, v14
	v_cvt_f16_f32_e32 v0, v177
	v_cvt_f16_f32_e32 v14, v179
	;; [unrolled: 3-line block ×5, first 2 shown]
	v_pack_b32_f16 v14, v0, v14
	v_cvt_f16_f32_e32 v0, v239
	v_pack_b32_f16 v15, v0, v15
	v_add_co_u32_e32 v0, vcc, s40, v42
	v_addc_co_u32_e32 v26, vcc, v26, v43, vcc
	v_add_co_u32_e32 v0, vcc, v0, v244
	v_addc_co_u32_e32 v26, vcc, 0, v26, vcc
	v_add_co_u32_e32 v0, vcc, s33, v0
	v_addc_co_u32_e32 v26, vcc, 0, v26, vcc
	v_cndmask_b32_e64 v175, v58, v26, s[52:53]
	v_mov_b32_e32 v26, s64
	v_cndmask_b32_e64 v174, v26, v0, s[52:53]
	flat_load_dwordx4 v[180:183], v[174:175]
	v_add_co_u32_e32 v0, vcc, s40, v48
	v_addc_co_u32_e32 v108, vcc, v108, v49, vcc
	v_add_co_u32_e32 v0, vcc, v0, v176
	v_addc_co_u32_e32 v108, vcc, 0, v108, vcc
	v_cndmask_b32_e64 v175, v58, v108, s[10:11]
	v_cndmask_b32_e64 v174, v26, v0, s[10:11]
	v_add_co_u32_e32 v0, vcc, s40, v50
	v_mov_b32_e32 v108, s9
	v_addc_co_u32_e32 v108, vcc, v108, v51, vcc
	v_add_co_u32_e32 v0, vcc, v0, v176
	v_addc_co_u32_e32 v108, vcc, 0, v108, vcc
	s_waitcnt vmcnt(0) lgkmcnt(0)
	ds_write_b128 v114, v[180:183]
	flat_load_dwordx4 v[180:183], v[174:175]
	v_cndmask_b32_e64 v175, v58, v108, s[12:13]
	v_cndmask_b32_e64 v174, v26, v0, s[12:13]
	s_waitcnt vmcnt(0) lgkmcnt(0)
	ds_write_b128 v116, v[180:183]
	flat_load_dwordx4 v[180:183], v[174:175]
	s_waitcnt vmcnt(0) lgkmcnt(0)
	ds_write_b128 v223, v[180:183]
	s_waitcnt lgkmcnt(0)
	s_barrier
	ds_read_u16 v0, v123 offset:416
	ds_read_u16 v26, v124
	ds_read_u16 v58, v124 offset:32
	v_cvt_f32_f16_e32 v182, v105
	v_cvt_f32_f16_sdwa v183, v105 dst_sel:DWORD dst_unused:UNUSED_PAD src0_sel:WORD_1
	v_cvt_f32_f16_e32 v180, v106
	s_waitcnt lgkmcnt(1)
	v_perm_b32 v175, v26, v0, s56
	ds_read_u16 v0, v143
	ds_read_u16 v26, v143 offset:32
	ds_read_u16 v105, v123 offset:208
	;; [unrolled: 1-line block ×3, first 2 shown]
	v_cvt_f32_f16_sdwa v181, v106 dst_sel:DWORD dst_unused:UNUSED_PAD src0_sel:WORD_1
	ds_read_u16 v160, v143 offset:3328
	ds_read_u16 v164, v123 offset:3536
	;; [unrolled: 1-line block ×4, first 2 shown]
	s_waitcnt lgkmcnt(5)
	v_perm_b32 v174, v105, v0, s56
	s_nop 1
	v_mfma_f32_16x16x16f16 v[180:183], v[174:175], v[20:21], v[180:183]
	s_waitcnt lgkmcnt(0)
	v_perm_b32 v175, v168, v166, s56
	v_perm_b32 v174, v164, v160, s56
	ds_read_u16 v160, v143 offset:6656
	ds_read_u16 v164, v123 offset:6864
	;; [unrolled: 1-line block ×4, first 2 shown]
	s_nop 3
	v_cvt_f16_f32_e32 v0, v180
	v_cvt_f16_f32_e32 v105, v181
	;; [unrolled: 1-line block ×4, first 2 shown]
	v_cvt_f32_f16_e32 v180, v0
	v_cvt_f32_f16_e32 v181, v105
	v_cvt_f32_f16_e32 v182, v106
	v_cvt_f32_f16_e32 v183, v158
	s_nop 1
	v_mfma_f32_16x16x16f16 v[180:183], v[174:175], v[18:19], v[180:183]
	s_waitcnt lgkmcnt(0)
	v_perm_b32 v175, v168, v166, s56
	v_perm_b32 v174, v164, v160, s56
	ds_read_u16 v160, v143 offset:9984
	ds_read_u16 v164, v123 offset:10192
	;; [unrolled: 1-line block ×4, first 2 shown]
	s_nop 3
	v_cvt_f16_f32_e32 v0, v180
	v_cvt_f16_f32_e32 v105, v181
	;; [unrolled: 1-line block ×4, first 2 shown]
	v_cvt_f32_f16_e32 v180, v0
	v_cvt_f32_f16_e32 v181, v105
	;; [unrolled: 1-line block ×4, first 2 shown]
	s_nop 1
	v_mfma_f32_16x16x16f16 v[180:183], v[174:175], v[16:17], v[180:183]
	s_waitcnt lgkmcnt(0)
	v_perm_b32 v175, v168, v166, s56
	v_perm_b32 v174, v164, v160, s56
	s_nop 7
	v_cvt_f16_f32_e32 v0, v180
	v_cvt_f16_f32_e32 v105, v181
	;; [unrolled: 1-line block ×4, first 2 shown]
	v_cvt_f32_f16_e32 v180, v0
	v_cvt_f32_f16_e32 v181, v105
	;; [unrolled: 1-line block ×4, first 2 shown]
	s_nop 1
	v_mfma_f32_16x16x16f16 v[180:183], v[174:175], v[14:15], v[180:183]
	v_perm_b32 v174, v108, v26, s56
	s_nop 7
	s_nop 1
	v_cvt_f16_f32_e32 v0, v180
	v_cvt_f16_f32_e32 v105, v181
	;; [unrolled: 1-line block ×4, first 2 shown]
	v_cvt_f32_f16_e32 v180, v162
	v_pack_b32_f16 v106, v0, v105
	ds_read_u16 v0, v144 offset:416
	v_cvt_f32_f16_sdwa v181, v162 dst_sel:DWORD dst_unused:UNUSED_PAD src0_sel:WORD_1
	v_cvt_f32_f16_e32 v182, v107
	v_cvt_f32_f16_sdwa v183, v107 dst_sel:DWORD dst_unused:UNUSED_PAD src0_sel:WORD_1
	v_pack_b32_f16 v105, v158, v160
	s_waitcnt lgkmcnt(0)
	v_perm_b32 v175, v58, v0, s56
	ds_read_u16 v108, v143 offset:3360
	ds_read_u16 v158, v123 offset:3568
	;; [unrolled: 1-line block ×4, first 2 shown]
	v_mfma_f32_16x16x16f16 v[180:183], v[174:175], v[20:21], v[180:183]
	s_waitcnt lgkmcnt(0)
	v_perm_b32 v175, v162, v160, s56
	v_perm_b32 v174, v158, v108, s56
	ds_read_u16 v108, v143 offset:6688
	ds_read_u16 v158, v123 offset:6896
	;; [unrolled: 1-line block ×4, first 2 shown]
	s_nop 3
	v_cvt_f16_f32_e32 v0, v180
	v_cvt_f16_f32_e32 v26, v181
	;; [unrolled: 1-line block ×4, first 2 shown]
	v_cvt_f32_f16_e32 v180, v0
	v_cvt_f32_f16_e32 v181, v26
	;; [unrolled: 1-line block ×4, first 2 shown]
	s_nop 1
	v_mfma_f32_16x16x16f16 v[180:183], v[174:175], v[18:19], v[180:183]
	s_waitcnt lgkmcnt(0)
	v_perm_b32 v175, v162, v160, s56
	v_perm_b32 v174, v158, v108, s56
	ds_read_u16 v108, v143 offset:10016
	ds_read_u16 v158, v123 offset:10224
	ds_read_u16 v160, v130 offset:416
	ds_read_u16 v162, v124 offset:10016
	s_nop 3
	v_cvt_f16_f32_e32 v0, v180
	v_cvt_f16_f32_e32 v26, v181
	;; [unrolled: 1-line block ×4, first 2 shown]
	v_cvt_f32_f16_e32 v180, v0
	v_cvt_f32_f16_e32 v181, v26
	;; [unrolled: 1-line block ×4, first 2 shown]
	s_nop 1
	v_mfma_f32_16x16x16f16 v[180:183], v[174:175], v[16:17], v[180:183]
	s_waitcnt lgkmcnt(0)
	v_perm_b32 v175, v162, v160, s56
	v_perm_b32 v174, v158, v108, s56
	s_nop 7
	v_cvt_f16_f32_e32 v0, v180
	v_cvt_f16_f32_e32 v26, v181
	;; [unrolled: 1-line block ×4, first 2 shown]
	v_cvt_f32_f16_e32 v180, v0
	v_cvt_f32_f16_e32 v181, v26
	;; [unrolled: 1-line block ×4, first 2 shown]
	s_nop 1
	v_mfma_f32_16x16x16f16 v[180:183], v[174:175], v[14:15], v[180:183]
	s_nop 7
	s_nop 2
	v_cvt_f16_f32_e32 v0, v180
	v_cvt_f16_f32_e32 v26, v181
	;; [unrolled: 1-line block ×4, first 2 shown]
	v_cvt_f32_f16_e32 v182, v171
	v_pack_b32_f16 v162, v0, v26
	v_cvt_f32_f16_sdwa v183, v171 dst_sel:DWORD dst_unused:UNUSED_PAD src0_sel:WORD_1
	v_pack_b32_f16 v107, v58, v107
	ds_read_u16 v0, v143 offset:64
	ds_read_u16 v26, v123 offset:272
	;; [unrolled: 1-line block ×4, first 2 shown]
	v_cvt_f32_f16_e32 v180, v172
	v_cvt_f32_f16_sdwa v181, v172 dst_sel:DWORD dst_unused:UNUSED_PAD src0_sel:WORD_1
	s_waitcnt lgkmcnt(2)
	v_perm_b32 v170, v26, v0, s56
	ds_read_u16 v158, v143 offset:3392
	ds_read_u16 v160, v123 offset:3600
	;; [unrolled: 1-line block ×4, first 2 shown]
	s_waitcnt lgkmcnt(4)
	v_perm_b32 v171, v108, v58, s56
	s_nop 1
	v_mfma_f32_16x16x16f16 v[180:183], v[170:171], v[20:21], v[180:183]
	s_waitcnt lgkmcnt(0)
	v_perm_b32 v171, v166, v164, s56
	v_perm_b32 v170, v160, v158, s56
	ds_read_u16 v158, v143 offset:6720
	ds_read_u16 v160, v123 offset:6928
	;; [unrolled: 1-line block ×4, first 2 shown]
	s_nop 3
	v_cvt_f16_f32_e32 v0, v180
	v_cvt_f16_f32_e32 v26, v181
	;; [unrolled: 1-line block ×4, first 2 shown]
	v_cvt_f32_f16_e32 v180, v0
	v_cvt_f32_f16_e32 v181, v26
	v_cvt_f32_f16_e32 v182, v58
	v_cvt_f32_f16_e32 v183, v108
	s_nop 1
	v_mfma_f32_16x16x16f16 v[180:183], v[170:171], v[18:19], v[180:183]
	s_waitcnt lgkmcnt(0)
	v_perm_b32 v171, v166, v164, s56
	v_perm_b32 v170, v160, v158, s56
	ds_read_u16 v158, v143 offset:10048
	ds_read_u16 v160, v123 offset:10256
	;; [unrolled: 1-line block ×4, first 2 shown]
	s_nop 3
	v_cvt_f16_f32_e32 v0, v180
	v_cvt_f16_f32_e32 v26, v181
	;; [unrolled: 1-line block ×4, first 2 shown]
	v_cvt_f32_f16_e32 v180, v0
	v_cvt_f32_f16_e32 v181, v26
	;; [unrolled: 1-line block ×4, first 2 shown]
	s_nop 1
	v_mfma_f32_16x16x16f16 v[180:183], v[170:171], v[16:17], v[180:183]
	s_waitcnt lgkmcnt(0)
	v_perm_b32 v171, v166, v164, s56
	v_perm_b32 v170, v160, v158, s56
	s_nop 7
	v_cvt_f16_f32_e32 v0, v180
	v_cvt_f16_f32_e32 v26, v181
	;; [unrolled: 1-line block ×4, first 2 shown]
	v_cvt_f32_f16_e32 v180, v0
	v_cvt_f32_f16_e32 v181, v26
	;; [unrolled: 1-line block ×4, first 2 shown]
	s_nop 1
	v_mfma_f32_16x16x16f16 v[180:183], v[170:171], v[14:15], v[180:183]
	s_nop 7
	s_nop 2
	v_cvt_f16_f32_e32 v0, v180
	v_cvt_f16_f32_e32 v26, v181
	;; [unrolled: 1-line block ×4, first 2 shown]
	v_cvt_f32_f16_e32 v180, v29
	v_pack_b32_f16 v172, v0, v26
	v_cvt_f32_f16_sdwa v181, v29 dst_sel:DWORD dst_unused:UNUSED_PAD src0_sel:WORD_1
	v_pack_b32_f16 v171, v58, v108
	ds_read_u16 v0, v143 offset:96
	ds_read_u16 v26, v123 offset:304
	;; [unrolled: 1-line block ×4, first 2 shown]
	v_cvt_f32_f16_e32 v182, v28
	v_cvt_f32_f16_sdwa v183, v28 dst_sel:DWORD dst_unused:UNUSED_PAD src0_sel:WORD_1
	s_waitcnt lgkmcnt(2)
	v_perm_b32 v28, v26, v0, s56
	s_waitcnt lgkmcnt(0)
	v_perm_b32 v29, v108, v58, s56
	ds_read_u16 v58, v143 offset:3424
	ds_read_u16 v108, v123 offset:3632
	ds_read_u16 v158, v135 offset:416
	ds_read_u16 v160, v124 offset:3424
	v_mfma_f32_16x16x16f16 v[180:183], v[28:29], v[20:21], v[180:183]
	s_nop 7
	s_nop 2
	v_cvt_f16_f32_e32 v28, v182
	v_cvt_f16_f32_e32 v29, v183
	v_cvt_f16_f32_e32 v0, v180
	v_cvt_f16_f32_e32 v26, v181
	v_cvt_f32_f16_e32 v182, v28
	v_cvt_f32_f16_e32 v183, v29
	s_waitcnt lgkmcnt(0)
	v_perm_b32 v29, v160, v158, s56
	v_perm_b32 v28, v108, v58, s56
	v_cvt_f32_f16_e32 v180, v0
	v_cvt_f32_f16_e32 v181, v26
	ds_read_u16 v58, v143 offset:6752
	ds_read_u16 v108, v123 offset:6960
	ds_read_u16 v158, v139 offset:416
	ds_read_u16 v160, v124 offset:6752
	v_mfma_f32_16x16x16f16 v[180:183], v[28:29], v[18:19], v[180:183]
	s_nop 7
	s_nop 2
	v_cvt_f16_f32_e32 v28, v182
	v_cvt_f16_f32_e32 v29, v183
	v_cvt_f16_f32_e32 v0, v180
	v_cvt_f16_f32_e32 v26, v181
	v_cvt_f32_f16_e32 v182, v28
	v_cvt_f32_f16_e32 v183, v29
	s_waitcnt lgkmcnt(0)
	v_perm_b32 v29, v160, v158, s56
	v_perm_b32 v28, v108, v58, s56
	v_cvt_f32_f16_e32 v180, v0
	v_cvt_f32_f16_e32 v181, v26
	;; [unrolled: 18-line block ×3, first 2 shown]
	s_nop 1
	v_mfma_f32_16x16x16f16 v[180:183], v[28:29], v[14:15], v[180:183]
	s_nop 7
	s_nop 2
	v_cvt_f16_f32_e32 v0, v180
	v_cvt_f16_f32_e32 v26, v181
	;; [unrolled: 1-line block ×4, first 2 shown]
	v_pack_b32_f16 v160, v0, v26
	ds_read_u16 v0, v143 offset:128
	ds_read_u16 v58, v123 offset:336
	;; [unrolled: 1-line block ×4, first 2 shown]
	v_pack_b32_f16 v170, v28, v29
	v_cvt_f32_f16_e32 v26, v27
	s_waitcnt lgkmcnt(2)
	v_perm_b32 v174, v58, v0, s56
	v_cvt_f32_f16_sdwa v27, v27 dst_sel:DWORD dst_unused:UNUSED_PAD src0_sel:WORD_1
	s_waitcnt lgkmcnt(0)
	v_perm_b32 v175, v158, v108, s56
	v_cvt_f32_f16_e32 v28, v25
	v_cvt_f32_f16_sdwa v29, v25 dst_sel:DWORD dst_unused:UNUSED_PAD src0_sel:WORD_1
	ds_read_u16 v58, v143 offset:3456
	ds_read_u16 v108, v123 offset:3664
	;; [unrolled: 1-line block ×4, first 2 shown]
	v_mfma_f32_16x16x16f16 v[26:29], v[174:175], v[20:21], v[26:29]
	s_waitcnt lgkmcnt(2)
	v_perm_b32 v174, v108, v58, s56
	s_waitcnt lgkmcnt(0)
	v_perm_b32 v175, v164, v158, s56
	ds_read_u16 v58, v143 offset:6784
	ds_read_u16 v108, v123 offset:6992
	;; [unrolled: 1-line block ×4, first 2 shown]
	s_nop 2
	v_cvt_f16_f32_e32 v0, v26
	v_cvt_f16_f32_e32 v25, v27
	;; [unrolled: 1-line block ×4, first 2 shown]
	v_cvt_f32_f16_e32 v26, v0
	v_cvt_f32_f16_e32 v27, v25
	;; [unrolled: 1-line block ×4, first 2 shown]
	s_nop 1
	v_mfma_f32_16x16x16f16 v[26:29], v[174:175], v[18:19], v[26:29]
	s_waitcnt lgkmcnt(0)
	v_perm_b32 v175, v164, v158, s56
	v_perm_b32 v174, v108, v58, s56
	ds_read_u16 v58, v143 offset:10112
	ds_read_u16 v108, v123 offset:10320
	ds_read_u16 v158, v150 offset:416
	ds_read_u16 v164, v124 offset:10112
	s_nop 3
	v_cvt_f16_f32_e32 v0, v26
	v_cvt_f16_f32_e32 v25, v27
	;; [unrolled: 1-line block ×4, first 2 shown]
	v_cvt_f32_f16_e32 v26, v0
	v_cvt_f32_f16_e32 v27, v25
	;; [unrolled: 1-line block ×4, first 2 shown]
	s_nop 1
	v_mfma_f32_16x16x16f16 v[26:29], v[174:175], v[16:17], v[26:29]
	s_waitcnt lgkmcnt(0)
	v_perm_b32 v175, v164, v158, s56
	v_perm_b32 v174, v108, v58, s56
	s_nop 7
	v_cvt_f16_f32_e32 v0, v26
	v_cvt_f16_f32_e32 v25, v27
	;; [unrolled: 1-line block ×4, first 2 shown]
	v_cvt_f32_f16_e32 v26, v0
	v_cvt_f32_f16_e32 v27, v25
	v_cvt_f32_f16_e32 v28, v28
	v_cvt_f32_f16_e32 v29, v29
	s_nop 1
	v_mfma_f32_16x16x16f16 v[26:29], v[174:175], v[14:15], v[26:29]
	s_nop 7
	s_nop 2
	v_cvt_f16_f32_e32 v0, v26
	v_cvt_f16_f32_e32 v25, v27
	;; [unrolled: 1-line block ×4, first 2 shown]
	v_cvt_f32_f16_e32 v28, v23
	v_pack_b32_f16 v175, v0, v25
	ds_read_u16 v0, v143 offset:160
	ds_read_u16 v58, v123 offset:368
	;; [unrolled: 1-line block ×4, first 2 shown]
	v_pack_b32_f16 v168, v26, v27
	v_cvt_f32_f16_e32 v26, v24
	v_cvt_f32_f16_sdwa v27, v24 dst_sel:DWORD dst_unused:UNUSED_PAD src0_sel:WORD_1
	s_waitcnt lgkmcnt(2)
	v_perm_b32 v24, v58, v0, s56
	s_waitcnt lgkmcnt(0)
	v_perm_b32 v25, v108, v25, s56
	v_cvt_f32_f16_sdwa v29, v23 dst_sel:DWORD dst_unused:UNUSED_PAD src0_sel:WORD_1
	s_nop 1
	v_mfma_f32_16x16x16f16 v[24:27], v[24:25], v[20:21], v[26:29]
	s_nop 6
	ds_read_u16 v28, v143 offset:3488
	ds_read_u16 v29, v123 offset:3696
	;; [unrolled: 1-line block ×4, first 2 shown]
	v_cvt_f16_f32_e32 v20, v25
	v_cvt_f16_f32_e32 v21, v26
	;; [unrolled: 1-line block ×4, first 2 shown]
	v_cvt_f32_f16_e32 v25, v20
	v_cvt_f32_f16_e32 v26, v21
	s_waitcnt lgkmcnt(0)
	v_perm_b32 v21, v108, v58, s56
	v_perm_b32 v20, v29, v28, s56
	v_cvt_f32_f16_e32 v24, v0
	v_cvt_f32_f16_e32 v27, v23
	s_nop 1
	v_mfma_f32_16x16x16f16 v[18:21], v[20:21], v[18:19], v[24:27]
	ds_read_u16 v23, v143 offset:6816
	s_nop 5
	ds_read_u16 v24, v123 offset:7024
	ds_read_u16 v25, v153 offset:416
	;; [unrolled: 1-line block ×3, first 2 shown]
	s_waitcnt lgkmcnt(2)
	v_perm_b32 v24, v24, v23, s56
	s_waitcnt lgkmcnt(0)
	v_perm_b32 v25, v26, v25, s56
	v_cvt_f16_f32_e32 v0, v18
	v_cvt_f16_f32_e32 v19, v19
	;; [unrolled: 1-line block ×4, first 2 shown]
	v_cvt_f32_f16_e32 v18, v0
	v_cvt_f32_f16_e32 v19, v19
	;; [unrolled: 1-line block ×4, first 2 shown]
	s_nop 1
	v_mfma_f32_16x16x16f16 v[18:21], v[24:25], v[16:17], v[18:21]
	s_nop 7
	s_nop 2
	v_cvt_f16_f32_e32 v17, v18
	v_cvt_f16_f32_e32 v18, v19
	;; [unrolled: 1-line block ×4, first 2 shown]
	ds_read_u16 v16, v143 offset:10144
	ds_read_u16 v21, v123 offset:10352
	;; [unrolled: 1-line block ×4, first 2 shown]
	v_cvt_f32_f16_e32 v26, v17
	v_cvt_f32_f16_e32 v27, v18
	s_waitcnt lgkmcnt(2)
	v_perm_b32 v16, v21, v16, s56
	v_cvt_f32_f16_e32 v28, v19
	s_waitcnt lgkmcnt(0)
	v_perm_b32 v17, v24, v23, s56
	v_cvt_f32_f16_e32 v29, v20
	s_barrier
	s_nop 0
	v_mfma_f32_16x16x16f16 v[14:17], v[16:17], v[14:15], v[26:29]
	s_nop 7
	s_nop 2
	v_cvt_f16_f32_e32 v0, v14
	v_cvt_f16_f32_e32 v14, v15
	;; [unrolled: 1-line block ×4, first 2 shown]
	v_pack_b32_f16 v174, v0, v14
	v_pack_b32_f16 v158, v15, v16
	s_cbranch_scc0 .LBB14_89
; %bb.86:                               ;   in Loop: Header=BB14_73 Depth=2
	v_mov_b32_e32 v166, v22
	v_mov_b32_e32 v245, v59
	s_branch .LBB14_73
.LBB14_87:                              ;   in Loop: Header=BB14_15 Depth=1
	v_readlane_b32 s92, v254, 17
	s_mov_b64 s[44:45], 0
	v_readlane_b32 s93, v254, 18
	v_readlane_b32 s94, v254, 19
	;; [unrolled: 1-line block ×3, first 2 shown]
                                        ; implicit-def: $vgpr2_vgpr3
                                        ; implicit-def: $vgpr243
	s_cbranch_execnz .LBB14_175
	s_branch .LBB14_325
.LBB14_88:                              ;   in Loop: Header=BB14_15 Depth=1
	v_mov_b32_e32 v22, 0
	v_mov_b32_e32 v59, 0xfeffffff
	;; [unrolled: 1-line block ×13, first 2 shown]
	s_branch .LBB14_90
.LBB14_89:                              ;   in Loop: Header=BB14_15 Depth=1
	v_lshlrev_b32_e32 v164, 4, v109
.LBB14_90:                              ;   in Loop: Header=BB14_15 Depth=1
	s_lshl_b32 s50, s70, 6
	v_readlane_b32 s8, v253, 4
	v_cmp_eq_u64_e32 vcc, 0, v[60:61]
	s_sub_i32 s44, s8, s50
	v_cmp_ne_u64_e64 s[72:73], 0, v[60:61]
	s_ashr_i32 s51, s50, 31
	v_readlane_b32 s9, v253, 5
	s_cbranch_vccnz .LBB14_108
; %bb.91:                               ;   in Loop: Header=BB14_15 Depth=1
	v_cmp_le_i32_e32 vcc, s44, v30
                                        ; implicit-def: $sgpr45
	s_and_saveexec_b64 s[8:9], vcc
	s_xor_b64 s[8:9], exec, s[8:9]
	s_cbranch_execz .LBB14_93
; %bb.92:                               ;   in Loop: Header=BB14_15 Depth=1
	ds_write_b16 v112, v191 offset:13312
	ds_write_b16 v193, v191 offset:13312
	s_mov_b32 s45, 0
.LBB14_93:                              ;   in Loop: Header=BB14_15 Depth=1
	s_or_saveexec_b64 s[40:41], s[8:9]
	s_lshl_b64 s[8:9], s[50:51], 1
	v_mov_b32_e32 v0, s9
	v_add_co_u32_e64 v14, s[8:9], s8, v60
	v_addc_co_u32_e64 v0, s[8:9], v61, v0, s[8:9]
	v_lshlrev_b32_e32 v15, 1, v30
	v_add_co_u32_e64 v14, s[8:9], v14, v15
	v_addc_co_u32_e64 v15, s[8:9], 0, v0, s[8:9]
	v_mov_b32_e32 v16, s45
	v_mov_b32_e32 v17, s45
	s_xor_b64 exec, exec, s[40:41]
	s_cbranch_execz .LBB14_95
; %bb.94:                               ;   in Loop: Header=BB14_15 Depth=1
	v_add_u32_e32 v0, s71, v109
	v_readlane_b32 s66, v253, 13
	v_mul_hi_u32 v16, s66, v0
	v_readlane_b32 s67, v253, 14
	v_add_u32_e32 v16, v0, v16
	v_lshrrev_b32_e32 v16, s67, v16
	v_mul_lo_u32 v16, v16, s88
	v_sub_u32_e32 v0, v0, v16
	v_mad_i64_i32 v[16:17], s[8:9], v0, s90, 0
	v_lshlrev_b64 v[16:17], 1, v[16:17]
	v_add_co_u32_e64 v16, s[8:9], v14, v16
	v_addc_co_u32_e64 v17, s[8:9], v15, v17, s[8:9]
	flat_load_ushort v0, v[16:17]
	v_add_u32_e32 v16, s71, v192
	v_mul_hi_u32 v17, s66, v16
	v_add_u32_e32 v17, v16, v17
	v_lshrrev_b32_e32 v17, s67, v17
	v_mul_lo_u32 v17, v17, s88
	v_sub_u32_e32 v16, v16, v17
	v_mad_i64_i32 v[16:17], s[8:9], v16, s90, 0
	v_lshlrev_b64 v[16:17], 1, v[16:17]
	v_add_co_u32_e64 v16, s[8:9], v14, v16
	v_addc_co_u32_e64 v17, s[8:9], v15, v17, s[8:9]
	flat_load_ushort v16, v[16:17]
	s_waitcnt vmcnt(0) lgkmcnt(0)
	ds_write_b16 v112, v0 offset:13312
	ds_write_b16 v193, v16 offset:13312
	v_add_u32_e32 v0, s71, v194
	v_mul_hi_u32 v16, s66, v0
	v_add_u32_e32 v16, v0, v16
	v_lshrrev_b32_e32 v16, s67, v16
	v_mul_lo_u32 v16, v16, s88
	v_sub_u32_e32 v0, v0, v16
	v_mad_i64_i32 v[16:17], s[8:9], v0, s90, 0
	v_lshlrev_b64 v[16:17], 1, v[16:17]
	v_add_co_u32_e64 v16, s[8:9], v14, v16
	v_addc_co_u32_e64 v17, s[8:9], v15, v17, s[8:9]
	v_add_u32_e32 v0, s71, v196
	flat_load_ushort v16, v[16:17]
	v_mul_hi_u32 v17, s66, v0
	v_add_u32_e32 v17, v0, v17
	v_lshrrev_b32_e32 v17, s67, v17
	v_mul_lo_u32 v17, v17, s88
	v_sub_u32_e32 v0, v0, v17
	v_mad_i64_i32 v[18:19], s[8:9], v0, s90, 0
	v_lshlrev_b64 v[18:19], 1, v[18:19]
	v_add_co_u32_e64 v18, s[8:9], v14, v18
	v_addc_co_u32_e64 v19, s[8:9], v15, v19, s[8:9]
	flat_load_ushort v17, v[18:19]
.LBB14_95:                              ;   in Loop: Header=BB14_15 Depth=1
	s_or_b64 exec, exec, s[40:41]
	s_waitcnt vmcnt(0) lgkmcnt(0)
	ds_write_b16 v195, v16 offset:13312
	ds_write_b16 v197, v17 offset:13312
                                        ; implicit-def: $sgpr45
	s_and_saveexec_b64 s[8:9], vcc
	s_xor_b64 s[8:9], exec, s[8:9]
	s_cbranch_execz .LBB14_97
; %bb.96:                               ;   in Loop: Header=BB14_15 Depth=1
	ds_write_b16 v199, v191 offset:13312
	ds_write_b16 v201, v191 offset:13312
	s_mov_b32 s45, 0
.LBB14_97:                              ;   in Loop: Header=BB14_15 Depth=1
	s_or_saveexec_b64 s[40:41], s[8:9]
	v_mov_b32_e32 v16, s45
	v_mov_b32_e32 v17, s45
	s_xor_b64 exec, exec, s[40:41]
	s_cbranch_execz .LBB14_99
; %bb.98:                               ;   in Loop: Header=BB14_15 Depth=1
	v_add_u32_e32 v0, s71, v198
	v_readlane_b32 s66, v253, 13
	v_mul_hi_u32 v16, s66, v0
	v_readlane_b32 s67, v253, 14
	v_add_u32_e32 v16, v0, v16
	v_lshrrev_b32_e32 v16, s67, v16
	v_mul_lo_u32 v16, v16, s88
	v_sub_u32_e32 v0, v0, v16
	v_mad_i64_i32 v[16:17], s[8:9], v0, s90, 0
	v_lshlrev_b64 v[16:17], 1, v[16:17]
	v_add_co_u32_e64 v16, s[8:9], v14, v16
	v_addc_co_u32_e64 v17, s[8:9], v15, v17, s[8:9]
	flat_load_ushort v0, v[16:17]
	v_add_u32_e32 v16, s71, v200
	v_mul_hi_u32 v17, s66, v16
	v_add_u32_e32 v17, v16, v17
	v_lshrrev_b32_e32 v17, s67, v17
	v_mul_lo_u32 v17, v17, s88
	v_sub_u32_e32 v16, v16, v17
	v_mad_i64_i32 v[16:17], s[8:9], v16, s90, 0
	v_lshlrev_b64 v[16:17], 1, v[16:17]
	v_add_co_u32_e64 v16, s[8:9], v14, v16
	v_addc_co_u32_e64 v17, s[8:9], v15, v17, s[8:9]
	flat_load_ushort v16, v[16:17]
	s_waitcnt vmcnt(0) lgkmcnt(0)
	ds_write_b16 v199, v0 offset:13312
	ds_write_b16 v201, v16 offset:13312
	v_add_u32_e32 v0, s71, v202
	v_mul_hi_u32 v16, s66, v0
	v_add_u32_e32 v16, v0, v16
	v_lshrrev_b32_e32 v16, s67, v16
	v_mul_lo_u32 v16, v16, s88
	v_sub_u32_e32 v0, v0, v16
	v_mad_i64_i32 v[16:17], s[8:9], v0, s90, 0
	v_lshlrev_b64 v[16:17], 1, v[16:17]
	v_add_co_u32_e64 v16, s[8:9], v14, v16
	v_addc_co_u32_e64 v17, s[8:9], v15, v17, s[8:9]
	v_add_u32_e32 v0, s71, v204
	flat_load_ushort v16, v[16:17]
	v_mul_hi_u32 v17, s66, v0
	v_add_u32_e32 v17, v0, v17
	v_lshrrev_b32_e32 v17, s67, v17
	v_mul_lo_u32 v17, v17, s88
	v_sub_u32_e32 v0, v0, v17
	v_mad_i64_i32 v[18:19], s[8:9], v0, s90, 0
	v_lshlrev_b64 v[18:19], 1, v[18:19]
	v_add_co_u32_e64 v18, s[8:9], v14, v18
	v_addc_co_u32_e64 v19, s[8:9], v15, v19, s[8:9]
	flat_load_ushort v17, v[18:19]
.LBB14_99:                              ;   in Loop: Header=BB14_15 Depth=1
	s_or_b64 exec, exec, s[40:41]
	s_waitcnt vmcnt(0) lgkmcnt(0)
	ds_write_b16 v203, v16 offset:13312
	ds_write_b16 v205, v17 offset:13312
                                        ; implicit-def: $sgpr45
	s_and_saveexec_b64 s[8:9], vcc
	s_xor_b64 s[8:9], exec, s[8:9]
	s_cbranch_execz .LBB14_101
; %bb.100:                              ;   in Loop: Header=BB14_15 Depth=1
	ds_write_b16 v207, v191 offset:13312
	ds_write_b16 v209, v191 offset:13312
	s_mov_b32 s45, 0
.LBB14_101:                             ;   in Loop: Header=BB14_15 Depth=1
	s_or_saveexec_b64 s[40:41], s[8:9]
	v_mov_b32_e32 v16, s45
	v_mov_b32_e32 v17, s45
	s_xor_b64 exec, exec, s[40:41]
	s_cbranch_execz .LBB14_103
; %bb.102:                              ;   in Loop: Header=BB14_15 Depth=1
	v_add_u32_e32 v0, s71, v206
	v_readlane_b32 s66, v253, 13
	v_mul_hi_u32 v16, s66, v0
	v_readlane_b32 s67, v253, 14
	v_add_u32_e32 v16, v0, v16
	v_lshrrev_b32_e32 v16, s67, v16
	v_mul_lo_u32 v16, v16, s88
	v_sub_u32_e32 v0, v0, v16
	v_mad_i64_i32 v[16:17], s[8:9], v0, s90, 0
	v_lshlrev_b64 v[16:17], 1, v[16:17]
	v_add_co_u32_e64 v16, s[8:9], v14, v16
	v_addc_co_u32_e64 v17, s[8:9], v15, v17, s[8:9]
	flat_load_ushort v0, v[16:17]
	v_add_u32_e32 v16, s71, v208
	v_mul_hi_u32 v17, s66, v16
	v_add_u32_e32 v17, v16, v17
	v_lshrrev_b32_e32 v17, s67, v17
	v_mul_lo_u32 v17, v17, s88
	v_sub_u32_e32 v16, v16, v17
	v_mad_i64_i32 v[16:17], s[8:9], v16, s90, 0
	v_lshlrev_b64 v[16:17], 1, v[16:17]
	v_add_co_u32_e64 v16, s[8:9], v14, v16
	v_addc_co_u32_e64 v17, s[8:9], v15, v17, s[8:9]
	flat_load_ushort v16, v[16:17]
	s_waitcnt vmcnt(0) lgkmcnt(0)
	ds_write_b16 v207, v0 offset:13312
	ds_write_b16 v209, v16 offset:13312
	v_add_u32_e32 v0, s71, v210
	v_mul_hi_u32 v16, s66, v0
	v_add_u32_e32 v16, v0, v16
	v_lshrrev_b32_e32 v16, s67, v16
	v_mul_lo_u32 v16, v16, s88
	v_sub_u32_e32 v0, v0, v16
	v_mad_i64_i32 v[16:17], s[8:9], v0, s90, 0
	v_lshlrev_b64 v[16:17], 1, v[16:17]
	v_add_co_u32_e64 v16, s[8:9], v14, v16
	v_addc_co_u32_e64 v17, s[8:9], v15, v17, s[8:9]
	v_add_u32_e32 v0, s71, v212
	flat_load_ushort v16, v[16:17]
	v_mul_hi_u32 v17, s66, v0
	v_add_u32_e32 v17, v0, v17
	v_lshrrev_b32_e32 v17, s67, v17
	v_mul_lo_u32 v17, v17, s88
	v_sub_u32_e32 v0, v0, v17
	v_mad_i64_i32 v[18:19], s[8:9], v0, s90, 0
	v_lshlrev_b64 v[18:19], 1, v[18:19]
	v_add_co_u32_e64 v18, s[8:9], v14, v18
	v_addc_co_u32_e64 v19, s[8:9], v15, v19, s[8:9]
	flat_load_ushort v17, v[18:19]
.LBB14_103:                             ;   in Loop: Header=BB14_15 Depth=1
	s_or_b64 exec, exec, s[40:41]
	s_waitcnt vmcnt(0) lgkmcnt(0)
	ds_write_b16 v211, v16 offset:13312
	ds_write_b16 v213, v17 offset:13312
                                        ; implicit-def: $sgpr40
	s_and_saveexec_b64 s[8:9], vcc
	s_xor_b64 s[8:9], exec, s[8:9]
	s_cbranch_execz .LBB14_105
; %bb.104:                              ;   in Loop: Header=BB14_15 Depth=1
	ds_write_b16 v215, v191 offset:13312
	ds_write_b16 v217, v191 offset:13312
	s_mov_b32 s40, 0
                                        ; implicit-def: $vgpr14
                                        ; implicit-def: $vgpr15
.LBB14_105:                             ;   in Loop: Header=BB14_15 Depth=1
	s_or_saveexec_b64 s[8:9], s[8:9]
	v_mov_b32_e32 v16, s40
	v_mov_b32_e32 v17, s40
	s_xor_b64 exec, exec, s[8:9]
	s_cbranch_execz .LBB14_107
; %bb.106:                              ;   in Loop: Header=BB14_15 Depth=1
	v_add_u32_e32 v0, s71, v214
	v_readlane_b32 s66, v253, 13
	v_mul_hi_u32 v16, s66, v0
	v_readlane_b32 s67, v253, 14
	v_add_u32_e32 v16, v0, v16
	v_lshrrev_b32_e32 v16, s67, v16
	v_mul_lo_u32 v16, v16, s88
	v_sub_u32_e32 v0, v0, v16
	v_mad_i64_i32 v[16:17], s[40:41], v0, s90, 0
	v_lshlrev_b64 v[16:17], 1, v[16:17]
	v_add_co_u32_e32 v16, vcc, v14, v16
	v_addc_co_u32_e32 v17, vcc, v15, v17, vcc
	flat_load_ushort v0, v[16:17]
	v_add_u32_e32 v16, s71, v216
	v_mul_hi_u32 v17, s66, v16
	v_add_u32_e32 v17, v16, v17
	v_lshrrev_b32_e32 v17, s67, v17
	v_mul_lo_u32 v17, v17, s88
	v_sub_u32_e32 v16, v16, v17
	v_mad_i64_i32 v[16:17], s[40:41], v16, s90, 0
	v_lshlrev_b64 v[16:17], 1, v[16:17]
	v_add_co_u32_e32 v16, vcc, v14, v16
	v_addc_co_u32_e32 v17, vcc, v15, v17, vcc
	flat_load_ushort v16, v[16:17]
	s_waitcnt vmcnt(0) lgkmcnt(0)
	ds_write_b16 v215, v0 offset:13312
	ds_write_b16 v217, v16 offset:13312
	v_add_u32_e32 v0, s71, v218
	v_mul_hi_u32 v16, s66, v0
	v_add_u32_e32 v16, v0, v16
	v_lshrrev_b32_e32 v16, s67, v16
	v_mul_lo_u32 v16, v16, s88
	v_sub_u32_e32 v0, v0, v16
	v_mad_i64_i32 v[16:17], s[40:41], v0, s90, 0
	v_lshlrev_b64 v[16:17], 1, v[16:17]
	v_add_co_u32_e32 v16, vcc, v14, v16
	v_addc_co_u32_e32 v17, vcc, v15, v17, vcc
	v_add_u32_e32 v0, s71, v220
	flat_load_ushort v16, v[16:17]
	v_mul_hi_u32 v17, s66, v0
	v_add_u32_e32 v17, v0, v17
	v_lshrrev_b32_e32 v17, s67, v17
	v_mul_lo_u32 v17, v17, s88
	v_sub_u32_e32 v0, v0, v17
	v_mad_i64_i32 v[18:19], s[40:41], v0, s90, 0
	v_lshlrev_b64 v[18:19], 1, v[18:19]
	v_add_co_u32_e32 v14, vcc, v14, v18
	v_addc_co_u32_e32 v15, vcc, v15, v19, vcc
	flat_load_ushort v17, v[14:15]
.LBB14_107:                             ;   in Loop: Header=BB14_15 Depth=1
	s_or_b64 exec, exec, s[8:9]
	s_waitcnt vmcnt(0) lgkmcnt(0)
	ds_write_b16 v219, v16 offset:13312
	ds_write_b16 v221, v17 offset:13312
.LBB14_108:                             ;   in Loop: Header=BB14_15 Depth=1
	s_mul_hi_i32 s9, s50, s46
	s_mul_i32 s8, s50, s46
	s_lshl_b64 s[8:9], s[8:9], 2
	s_add_u32 s8, s42, s8
	s_addc_u32 s9, s43, s9
	v_mov_b32_e32 v0, s9
	v_add_co_u32_e32 v14, vcc, s8, v44
	v_addc_co_u32_e32 v0, vcc, v0, v45, vcc
	v_lshlrev_b32_e32 v28, 2, v36
	v_add_co_u32_e32 v14, vcc, v14, v28
	v_addc_co_u32_e32 v0, vcc, 0, v0, vcc
	v_add_co_u32_e32 v14, vcc, s33, v14
	v_addc_co_u32_e32 v0, vcc, 0, v0, vcc
	v_mov_b32_e32 v20, s65
	v_cmp_gt_i32_e64 s[70:71], s44, v113
	v_cndmask_b32_e64 v15, v20, v0, s[70:71]
	v_mov_b32_e32 v0, s64
	buffer_store_dword v191, off, s[0:3], 0
	buffer_store_dword v191, off, s[0:3], 0 offset:4
	buffer_store_dword v191, off, s[0:3], 0 offset:8
	;; [unrolled: 1-line block ×3, first 2 shown]
	v_cndmask_b32_e64 v14, v0, v14, s[70:71]
	flat_load_dwordx4 v[14:17], v[14:15]
	v_mov_b32_e32 v18, s9
	v_add_co_u32_e32 v19, vcc, s8, v52
	v_lshlrev_b32_e32 v26, 2, v38
	v_addc_co_u32_e32 v18, vcc, v18, v53, vcc
	v_add_co_u32_e32 v21, vcc, v19, v26
	v_addc_co_u32_e32 v18, vcc, 0, v18, vcc
	v_cmp_gt_i32_e64 s[68:69], s44, v115
	v_cndmask_b32_e64 v19, v20, v18, s[68:69]
	v_cndmask_b32_e64 v18, v0, v21, s[68:69]
	v_cmp_gt_i32_e64 s[66:67], s44, v222
	v_add_u32_e32 v23, 0x1800, v117
	v_add_u32_e32 v24, 0x2000, v117
	v_writelane_b32 v255, s98, 21
	v_writelane_b32 v255, s99, 22
	s_mov_b32 s51, s99
	s_mov_b32 s45, s91
	s_waitcnt vmcnt(0) lgkmcnt(0)
	ds_write_b128 v114, v[14:17]
	flat_load_dwordx4 v[14:17], v[18:19]
	v_mov_b32_e32 v18, s9
	v_add_co_u32_e32 v19, vcc, s8, v54
	v_addc_co_u32_e32 v18, vcc, v18, v55, vcc
	v_add_co_u32_e32 v21, vcc, v19, v26
	v_addc_co_u32_e32 v18, vcc, 0, v18, vcc
	v_cndmask_b32_e64 v19, v20, v18, s[66:67]
	v_cndmask_b32_e64 v18, v0, v21, s[66:67]
	v_add_u32_e32 v0, 0x800, v117
	s_andn2_b64 vcc, exec, s[72:73]
	s_waitcnt vmcnt(0) lgkmcnt(0)
	ds_write_b128 v116, v[14:17]
	flat_load_dwordx4 v[14:17], v[18:19]
	s_waitcnt vmcnt(0) lgkmcnt(0)
	ds_write_b128 v223, v[14:17]
	s_waitcnt lgkmcnt(0)
	s_barrier
	ds_read2_b64 v[14:17], v117 offset1:4
	ds_read2_b64 v[62:65], v0 offset0:160 offset1:164
	ds_read2_b64 v[70:73], v23 offset0:64 offset1:68
	;; [unrolled: 1-line block ×3, first 2 shown]
	s_waitcnt lgkmcnt(3)
	v_mfma_f32_16x16x16f16 v[18:21], v[14:15], v[10:11], 0
	s_waitcnt lgkmcnt(2)
	v_mfma_f32_16x16x16f16 v[66:69], v[62:63], v[10:11], 0
	;; [unrolled: 2-line block ×4, first 2 shown]
	v_mfma_f32_16x16x16f16 v[14:17], v[16:17], v[12:13], v[18:21]
	v_mfma_f32_16x16x16f16 v[18:21], v[64:65], v[12:13], v[66:69]
	;; [unrolled: 1-line block ×3, first 2 shown]
	s_nop 5
	ds_read2_b64 v[66:69], v117 offset0:8 offset1:12
	ds_read2_b64 v[70:73], v0 offset0:168 offset1:172
	v_mfma_f32_16x16x16f16 v[10:13], v[80:81], v[12:13], v[82:85]
	ds_read2_b64 v[74:77], v23 offset0:72 offset1:76
	ds_read2_b64 v[78:81], v24 offset0:232 offset1:236
	s_waitcnt lgkmcnt(3)
	v_mfma_f32_16x16x16f16 v[14:17], v[66:67], v[6:7], v[14:17]
	s_waitcnt lgkmcnt(2)
	v_mfma_f32_16x16x16f16 v[18:21], v[70:71], v[6:7], v[18:21]
	;; [unrolled: 2-line block ×4, first 2 shown]
	v_mfma_f32_16x16x16f16 v[14:17], v[68:69], v[8:9], v[14:17]
	ds_read2_b64 v[66:69], v0 offset0:176 offset1:180
	v_mfma_f32_16x16x16f16 v[18:21], v[72:73], v[8:9], v[18:21]
	ds_read2_b64 v[70:73], v23 offset0:80 offset1:84
	;; [unrolled: 2-line block ×3, first 2 shown]
	v_mfma_f32_16x16x16f16 v[6:9], v[80:81], v[8:9], v[10:13]
	s_nop 6
	ds_read2_b64 v[10:13], v117 offset0:16 offset1:20
	s_waitcnt lgkmcnt(0)
	v_mfma_f32_16x16x16f16 v[14:17], v[10:11], v[2:3], v[14:17]
	s_barrier
	v_mfma_f32_16x16x16f16 v[18:21], v[66:67], v[2:3], v[18:21]
	v_mfma_f32_16x16x16f16 v[62:65], v[70:71], v[2:3], v[62:65]
	;; [unrolled: 1-line block ×7, first 2 shown]
	s_cbranch_vccnz .LBB14_110
; %bb.109:                              ;   in Loop: Header=BB14_15 Depth=1
	ds_read_b32 v0, v119 offset:13312
	s_waitcnt lgkmcnt(0)
	s_nop 1
	v_cvt_f32_f16_sdwa v19, v0 dst_sel:DWORD dst_unused:UNUSED_PAD src0_sel:WORD_1
	v_cvt_f32_f16_e32 v18, v0
	ds_read_b32 v0, v140 offset:13312
	v_pk_fma_f32 v[14:15], v[178:179], v[18:19], v[14:15] op_sel_hi:[0,1,1]
	s_waitcnt lgkmcnt(0)
	v_cvt_f32_f16_sdwa v21, v0 dst_sel:DWORD dst_unused:UNUSED_PAD src0_sel:WORD_1
	v_cvt_f32_f16_e32 v20, v0
	v_add_u32_e32 v0, 0x3400, v121
	ds_read2_b32 v[18:19], v0 offset1:1
	v_add_u32_e32 v0, 0x3400, v138
	v_pk_fma_f32 v[16:17], v[178:179], v[20:21], v[16:17] op_sel_hi:[0,1,1]
	s_waitcnt lgkmcnt(0)
	v_cvt_f32_f16_e32 v20, v18
	v_cvt_f32_f16_sdwa v21, v18 dst_sel:DWORD dst_unused:UNUSED_PAD src0_sel:WORD_1
	v_cvt_f32_f16_e32 v18, v19
	v_cvt_f32_f16_sdwa v19, v19 dst_sel:DWORD dst_unused:UNUSED_PAD src0_sel:WORD_1
	v_pk_fma_f32 v[10:11], v[178:179], v[20:21], v[10:11] op_sel_hi:[0,1,1]
	v_pk_fma_f32 v[12:13], v[178:179], v[18:19], v[12:13] op_sel_hi:[0,1,1]
	ds_read2_b32 v[18:19], v0 offset1:1
	v_add_u32_e32 v0, 0x3400, v142
	s_waitcnt lgkmcnt(0)
	v_cvt_f32_f16_e32 v20, v18
	v_cvt_f32_f16_sdwa v21, v18 dst_sel:DWORD dst_unused:UNUSED_PAD src0_sel:WORD_1
	v_cvt_f32_f16_e32 v18, v19
	v_cvt_f32_f16_sdwa v19, v19 dst_sel:DWORD dst_unused:UNUSED_PAD src0_sel:WORD_1
	v_pk_fma_f32 v[6:7], v[178:179], v[20:21], v[6:7] op_sel_hi:[0,1,1]
	v_pk_fma_f32 v[8:9], v[178:179], v[18:19], v[8:9] op_sel_hi:[0,1,1]
	ds_read2_b32 v[18:19], v0 offset1:1
	s_waitcnt lgkmcnt(0)
	v_cvt_f32_f16_e32 v20, v18
	v_cvt_f32_f16_sdwa v21, v18 dst_sel:DWORD dst_unused:UNUSED_PAD src0_sel:WORD_1
	v_cvt_f32_f16_e32 v18, v19
	v_cvt_f32_f16_sdwa v19, v19 dst_sel:DWORD dst_unused:UNUSED_PAD src0_sel:WORD_1
	v_pk_fma_f32 v[2:3], v[178:179], v[20:21], v[2:3] op_sel_hi:[0,1,1]
	v_pk_fma_f32 v[4:5], v[178:179], v[18:19], v[4:5] op_sel_hi:[0,1,1]
.LBB14_110:                             ;   in Loop: Header=BB14_15 Depth=1
	s_nop 6
	v_add_f32_e32 v0, 0x40051340, v14
	v_max_f32_e32 v18, v59, v59
	v_cmp_gt_u32_e32 vcc, s44, v118
	v_max_f32_e32 v0, v18, v0
	v_cndmask_b32_e32 v0, v59, v0, vcc
	v_add_f32_e32 v18, 0x40051340, v15
	v_max_f32_e32 v19, v0, v0
	v_cmp_gt_u32_e64 s[98:99], s44, v227
	v_max_f32_e32 v18, v19, v18
	v_cndmask_b32_e64 v0, v0, v18, s[98:99]
	v_add_f32_e32 v18, 0x40051340, v16
	v_max_f32_e32 v19, v0, v0
	v_cmp_gt_u32_e64 s[96:97], s44, v228
	v_max_f32_e32 v18, v19, v18
	v_cndmask_b32_e64 v0, v0, v18, s[96:97]
	;; [unrolled: 5-line block ×15, first 2 shown]
	v_and_b32_e32 v18, 64, v190
	v_add_u32_e32 v18, 64, v18
	v_xor_b32_e32 v19, 32, v190
	v_cmp_lt_i32_e64 s[8:9], v19, v18
	v_cndmask_b32_e64 v19, v190, v19, s[8:9]
	v_lshlrev_b32_e32 v23, 2, v19
	ds_bpermute_b32 v19, v23, v0
	v_max_f32_e32 v0, v0, v0
	v_cndmask_b32_e64 v16, v16, v16, s[98:99]
	v_cndmask_b32_e64 v17, v17, v17, s[98:99]
	;; [unrolled: 1-line block ×3, first 2 shown]
	s_waitcnt lgkmcnt(0)
	v_max_f32_e32 v19, v19, v19
	v_max_f32_e32 v0, v0, v19
	v_xor_b32_e32 v19, 16, v190
	v_cmp_lt_i32_e64 s[8:9], v19, v18
	v_cndmask_b32_e64 v18, v190, v19, s[8:9]
	v_lshlrev_b32_e32 v19, 2, v18
	ds_bpermute_b32 v18, v19, v0
	v_cndmask_b32_e64 v12, v12, v12, s[92:93]
	v_cndmask_b32_e64 v13, v13, v13, s[92:93]
	;; [unrolled: 1-line block ×4, first 2 shown]
	s_waitcnt lgkmcnt(0)
	v_max_f32_e32 v18, v18, v18
	v_max_f32_e32 v18, v0, v18
	v_sub_f32_e32 v0, v14, v18
	v_mul_f32_e32 v14, 0x3fb8aa3b, v0
	v_fma_f32 v20, v0, s48, -v14
	v_rndne_f32_e32 v21, v14
	v_fmac_f32_e32 v20, 0x32a5705f, v0
	v_sub_f32_e32 v14, v14, v21
	v_add_f32_e32 v14, v14, v20
	v_exp_f32_e32 v14, v14
	v_cvt_i32_f32_e32 v20, v21
	v_cmp_ngt_f32_e64 s[8:9], s49, v0
	v_sub_f32_e32 v16, v16, v18
	v_sub_f32_e32 v10, v10, v18
	v_ldexp_f32 v14, v14, v20
	v_cndmask_b32_e64 v14, 0, v14, s[8:9]
	v_cmp_nlt_f32_e64 s[8:9], s57, v0
	v_cndmask_b32_e64 v0, v241, v14, s[8:9]
	v_cndmask_b32_e32 v14, 0, v0, vcc
	v_sub_f32_e32 v0, v15, v18
	v_mul_f32_e32 v15, 0x3fb8aa3b, v0
	v_fma_f32 v20, v0, s48, -v15
	v_rndne_f32_e32 v21, v15
	v_fmac_f32_e32 v20, 0x32a5705f, v0
	v_sub_f32_e32 v15, v15, v21
	v_add_f32_e32 v15, v15, v20
	v_exp_f32_e32 v15, v15
	v_cvt_i32_f32_e32 v20, v21
	v_cmp_ngt_f32_e32 vcc, s49, v0
	v_sub_f32_e32 v11, v11, v18
	v_sub_f32_e32 v6, v6, v18
	v_ldexp_f32 v15, v15, v20
	v_cndmask_b32_e32 v15, 0, v15, vcc
	v_cmp_nlt_f32_e32 vcc, s57, v0
	v_cndmask_b32_e32 v0, v241, v15, vcc
	v_add_f32_e32 v20, v0, v14
	v_mov_b32_e32 v15, s63
	v_cndmask_b32_e64 v0, v15, v0, s[98:99]
	v_cndmask_b32_e64 v15, v14, v20, s[98:99]
	v_mul_f32_e32 v20, 0x3fb8aa3b, v16
	v_fma_f32 v21, v16, s48, -v20
	v_rndne_f32_e32 v24, v20
	v_fmac_f32_e32 v21, 0x32a5705f, v16
	v_sub_f32_e32 v20, v20, v24
	v_add_f32_e32 v20, v20, v21
	v_exp_f32_e32 v20, v20
	v_cvt_i32_f32_e32 v21, v24
	v_cmp_ngt_f32_e32 vcc, s49, v16
	v_sub_f32_e32 v7, v7, v18
	v_cndmask_b32_e64 v9, v9, v9, s[84:85]
	v_ldexp_f32 v20, v20, v21
	v_cndmask_b32_e32 v20, 0, v20, vcc
	v_cmp_nlt_f32_e32 vcc, s57, v16
	v_cndmask_b32_e32 v20, v241, v20, vcc
	v_add_f32_e32 v21, v15, v20
	v_mov_b32_e32 v16, s63
	v_cndmask_b32_e64 v29, v16, v20, s[96:97]
	v_cndmask_b32_e64 v16, v15, v21, s[96:97]
	v_sub_f32_e32 v15, v17, v18
	v_mul_f32_e32 v17, 0x3fb8aa3b, v15
	v_fma_f32 v20, v15, s48, -v17
	v_rndne_f32_e32 v21, v17
	v_fmac_f32_e32 v20, 0x32a5705f, v15
	v_sub_f32_e32 v17, v17, v21
	v_add_f32_e32 v17, v17, v20
	v_exp_f32_e32 v17, v17
	v_cvt_i32_f32_e32 v20, v21
	v_cmp_ngt_f32_e32 vcc, s49, v15
	v_sub_f32_e32 v2, v2, v18
	v_cndmask_b32_e64 v3, v3, v3, s[76:77]
	v_ldexp_f32 v17, v17, v20
	v_cndmask_b32_e32 v17, 0, v17, vcc
	v_cmp_nlt_f32_e32 vcc, s57, v15
	v_cndmask_b32_e32 v17, v241, v17, vcc
	v_add_f32_e32 v20, v16, v17
	v_mov_b32_e32 v15, s63
	v_cndmask_b32_e64 v58, v15, v17, s[94:95]
	v_cndmask_b32_e64 v15, v16, v20, s[94:95]
	v_mul_f32_e32 v16, 0x3fb8aa3b, v10
	v_fma_f32 v17, v10, s48, -v16
	v_rndne_f32_e32 v20, v16
	v_fmac_f32_e32 v17, 0x32a5705f, v10
	v_sub_f32_e32 v16, v16, v20
	v_add_f32_e32 v16, v16, v17
	v_exp_f32_e32 v16, v16
	v_cvt_i32_f32_e32 v17, v20
	v_cmp_ngt_f32_e32 vcc, s49, v10
	v_sub_f32_e32 v3, v3, v18
	v_cndmask_b32_e64 v4, v4, v4, s[76:77]
	v_ldexp_f32 v16, v16, v17
	v_cndmask_b32_e32 v16, 0, v16, vcc
	v_cmp_nlt_f32_e32 vcc, s57, v10
	v_cndmask_b32_e32 v16, v241, v16, vcc
	v_add_f32_e32 v17, v16, v15
	v_mov_b32_e32 v10, s63
	v_cndmask_b32_e64 v62, v10, v16, s[92:93]
	v_cndmask_b32_e64 v10, v15, v17, s[92:93]
	v_mul_f32_e32 v15, 0x3fb8aa3b, v11
	v_fma_f32 v16, v11, s48, -v15
	v_rndne_f32_e32 v17, v15
	v_fmac_f32_e32 v16, 0x32a5705f, v11
	v_sub_f32_e32 v15, v15, v17
	v_add_f32_e32 v15, v15, v16
	v_exp_f32_e32 v15, v15
	v_cvt_i32_f32_e32 v16, v17
	v_cmp_ngt_f32_e32 vcc, s49, v11
	v_cndmask_b32_e64 v5, v5, v5, s[76:77]
	s_mov_b32 s97, 0xc1a00000
	v_ldexp_f32 v15, v15, v16
	v_cndmask_b32_e32 v15, 0, v15, vcc
	v_cmp_nlt_f32_e32 vcc, s57, v11
	v_cndmask_b32_e32 v15, v241, v15, vcc
	v_add_f32_e32 v16, v15, v10
	v_mov_b32_e32 v11, s63
	v_cndmask_b32_e64 v63, v11, v15, s[90:91]
	v_cndmask_b32_e64 v11, v10, v16, s[90:91]
	v_sub_f32_e32 v10, v12, v18
	v_mul_f32_e32 v12, 0x3fb8aa3b, v10
	v_fma_f32 v15, v10, s48, -v12
	v_rndne_f32_e32 v16, v12
	v_fmac_f32_e32 v15, 0x32a5705f, v10
	v_sub_f32_e32 v12, v12, v16
	v_add_f32_e32 v12, v12, v15
	v_exp_f32_e32 v12, v12
	v_cvt_i32_f32_e32 v15, v16
	v_cmp_ngt_f32_e32 vcc, s49, v10
	v_cvt_f16_f32_e32 v0, v0
	s_mul_hi_i32 s9, s50, s54
	v_ldexp_f32 v12, v12, v15
	v_cndmask_b32_e32 v12, 0, v12, vcc
	v_cmp_nlt_f32_e32 vcc, s57, v10
	v_cndmask_b32_e32 v12, v241, v12, vcc
	v_add_f32_e32 v15, v12, v11
	v_mov_b32_e32 v10, s63
	v_cndmask_b32_e64 v64, v10, v12, s[88:89]
	v_cndmask_b32_e64 v10, v11, v15, s[88:89]
	v_sub_f32_e32 v11, v13, v18
	v_mul_f32_e32 v12, 0x3fb8aa3b, v11
	v_fma_f32 v13, v11, s48, -v12
	v_rndne_f32_e32 v15, v12
	v_fmac_f32_e32 v13, 0x32a5705f, v11
	v_sub_f32_e32 v12, v12, v15
	v_add_f32_e32 v12, v12, v13
	v_exp_f32_e32 v12, v12
	v_cvt_i32_f32_e32 v13, v15
	v_cmp_ngt_f32_e32 vcc, s49, v11
	s_mul_i32 s8, s50, s54
	buffer_store_dword v191, off, s[0:3], 0
	buffer_store_dword v191, off, s[0:3], 0 offset:4
	buffer_store_dword v191, off, s[0:3], 0 offset:8
	;; [unrolled: 1-line block ×3, first 2 shown]
	v_ldexp_f32 v12, v12, v13
	v_cndmask_b32_e32 v12, 0, v12, vcc
	v_cmp_nlt_f32_e32 vcc, s57, v11
	v_cndmask_b32_e32 v12, v241, v12, vcc
	v_mov_b32_e32 v11, s63
	v_add_f32_e32 v13, v12, v10
	v_cndmask_b32_e64 v65, v11, v12, s[86:87]
	v_mul_f32_e32 v11, 0x3fb8aa3b, v6
	v_cndmask_b32_e64 v10, v10, v13, s[86:87]
	v_fma_f32 v12, v6, s48, -v11
	v_rndne_f32_e32 v13, v11
	v_fmac_f32_e32 v12, 0x32a5705f, v6
	v_sub_f32_e32 v11, v11, v13
	v_add_f32_e32 v11, v11, v12
	v_exp_f32_e32 v11, v11
	v_cvt_i32_f32_e32 v12, v13
	v_cmp_ngt_f32_e32 vcc, s49, v6
	v_ldexp_f32 v11, v11, v12
	v_cndmask_b32_e32 v11, 0, v11, vcc
	v_cmp_nlt_f32_e32 vcc, s57, v6
	v_cndmask_b32_e32 v11, v241, v11, vcc
	v_add_f32_e32 v12, v11, v10
	v_mov_b32_e32 v6, s63
	v_cndmask_b32_e64 v66, v6, v11, s[84:85]
	v_cndmask_b32_e64 v6, v10, v12, s[84:85]
	v_mul_f32_e32 v10, 0x3fb8aa3b, v7
	v_fma_f32 v11, v7, s48, -v10
	v_rndne_f32_e32 v12, v10
	v_fmac_f32_e32 v11, 0x32a5705f, v7
	v_sub_f32_e32 v10, v10, v12
	v_add_f32_e32 v10, v10, v11
	v_exp_f32_e32 v10, v10
	v_cvt_i32_f32_e32 v11, v12
	v_cmp_ngt_f32_e32 vcc, s49, v7
	v_ldexp_f32 v10, v10, v11
	v_cndmask_b32_e32 v10, 0, v10, vcc
	v_cmp_nlt_f32_e32 vcc, s57, v7
	v_cndmask_b32_e32 v10, v241, v10, vcc
	v_add_f32_e32 v11, v10, v6
	v_mov_b32_e32 v7, s63
	v_cndmask_b32_e64 v67, v7, v10, s[82:83]
	v_cndmask_b32_e64 v7, v6, v11, s[82:83]
	v_sub_f32_e32 v6, v8, v18
	v_mul_f32_e32 v8, 0x3fb8aa3b, v6
	v_fma_f32 v10, v6, s48, -v8
	v_rndne_f32_e32 v11, v8
	v_fmac_f32_e32 v10, 0x32a5705f, v6
	v_sub_f32_e32 v8, v8, v11
	v_add_f32_e32 v8, v8, v10
	v_exp_f32_e32 v8, v8
	v_cvt_i32_f32_e32 v10, v11
	v_cmp_ngt_f32_e32 vcc, s49, v6
	v_ldexp_f32 v8, v8, v10
	v_cndmask_b32_e32 v8, 0, v8, vcc
	v_cmp_nlt_f32_e32 vcc, s57, v6
	v_cndmask_b32_e32 v8, v241, v8, vcc
	v_add_f32_e32 v10, v8, v7
	v_mov_b32_e32 v6, s63
	v_cndmask_b32_e64 v68, v6, v8, s[80:81]
	v_cndmask_b32_e64 v6, v7, v10, s[80:81]
	v_sub_f32_e32 v7, v9, v18
	v_mul_f32_e32 v8, 0x3fb8aa3b, v7
	v_fma_f32 v9, v7, s48, -v8
	v_rndne_f32_e32 v10, v8
	v_fmac_f32_e32 v9, 0x32a5705f, v7
	v_sub_f32_e32 v8, v8, v10
	v_add_f32_e32 v8, v8, v9
	v_exp_f32_e32 v8, v8
	v_cvt_i32_f32_e32 v9, v10
	v_cmp_ngt_f32_e32 vcc, s49, v7
	v_ldexp_f32 v8, v8, v9
	v_cndmask_b32_e32 v8, 0, v8, vcc
	v_cmp_nlt_f32_e32 vcc, s57, v7
	v_cndmask_b32_e32 v8, v241, v8, vcc
	v_mov_b32_e32 v7, s63
	v_add_f32_e32 v9, v8, v6
	v_cndmask_b32_e64 v69, v7, v8, s[78:79]
	v_mul_f32_e32 v7, 0x3fb8aa3b, v2
	v_cndmask_b32_e64 v6, v6, v9, s[78:79]
	v_fma_f32 v8, v2, s48, -v7
	v_rndne_f32_e32 v9, v7
	v_fmac_f32_e32 v8, 0x32a5705f, v2
	v_sub_f32_e32 v7, v7, v9
	v_add_f32_e32 v7, v7, v8
	v_exp_f32_e32 v7, v7
	v_cvt_i32_f32_e32 v8, v9
	v_cmp_ngt_f32_e32 vcc, s49, v2
	v_ldexp_f32 v7, v7, v8
	v_cndmask_b32_e32 v7, 0, v7, vcc
	v_cmp_nlt_f32_e32 vcc, s57, v2
	v_cndmask_b32_e32 v7, v241, v7, vcc
	v_add_f32_e32 v8, v7, v6
	v_mov_b32_e32 v2, s63
	v_cndmask_b32_e64 v70, v2, v7, s[76:77]
	v_cndmask_b32_e64 v2, v6, v8, s[76:77]
	v_mul_f32_e32 v6, 0x3fb8aa3b, v3
	v_fma_f32 v7, v3, s48, -v6
	v_rndne_f32_e32 v8, v6
	v_fmac_f32_e32 v7, 0x32a5705f, v3
	v_sub_f32_e32 v6, v6, v8
	v_add_f32_e32 v6, v6, v7
	v_exp_f32_e32 v6, v6
	v_cvt_i32_f32_e32 v7, v8
	v_cmp_ngt_f32_e32 vcc, s49, v3
	v_ldexp_f32 v6, v6, v7
	v_cndmask_b32_e32 v6, 0, v6, vcc
	v_cmp_nlt_f32_e32 vcc, s57, v3
	v_cndmask_b32_e32 v6, v241, v6, vcc
	v_add_f32_e32 v7, v6, v2
	v_mov_b32_e32 v3, s63
	v_cndmask_b32_e64 v71, v3, v6, s[74:75]
	v_cndmask_b32_e64 v3, v2, v7, s[74:75]
	v_sub_f32_e32 v2, v4, v18
	v_mul_f32_e32 v4, 0x3fb8aa3b, v2
	v_fma_f32 v6, v2, s48, -v4
	v_rndne_f32_e32 v7, v4
	v_fmac_f32_e32 v6, 0x32a5705f, v2
	v_sub_f32_e32 v4, v4, v7
	v_add_f32_e32 v4, v4, v6
	v_exp_f32_e32 v4, v4
	v_cvt_i32_f32_e32 v6, v7
	v_cmp_ngt_f32_e32 vcc, s49, v2
	v_ldexp_f32 v4, v4, v6
	v_cndmask_b32_e32 v4, 0, v4, vcc
	v_cmp_nlt_f32_e32 vcc, s57, v2
	v_cndmask_b32_e32 v4, v241, v4, vcc
	v_add_f32_e32 v6, v4, v3
	v_mov_b32_e32 v2, s63
	v_cndmask_b32_e64 v72, v2, v4, s[72:73]
	v_cndmask_b32_e64 v2, v3, v6, s[72:73]
	v_sub_f32_e32 v3, v5, v18
	v_mul_f32_e32 v4, 0x3fb8aa3b, v3
	v_fma_f32 v5, v3, s48, -v4
	v_rndne_f32_e32 v6, v4
	v_fmac_f32_e32 v5, 0x32a5705f, v3
	v_sub_f32_e32 v4, v4, v6
	v_add_f32_e32 v4, v4, v5
	v_exp_f32_e32 v4, v4
	v_cvt_i32_f32_e32 v5, v6
	v_cmp_ngt_f32_e32 vcc, s49, v3
	v_ldexp_f32 v4, v4, v5
	v_cndmask_b32_e32 v4, 0, v4, vcc
	v_cmp_nlt_f32_e32 vcc, s57, v3
	v_cndmask_b32_e32 v4, v241, v4, vcc
	v_add_f32_e32 v5, v4, v2
	v_mov_b32_e32 v3, s63
	v_cndmask_b32_e64 v24, v2, v5, s[40:41]
	v_sub_f32_e32 v2, v59, v18
	v_cndmask_b32_e64 v3, v3, v4, s[40:41]
	v_mul_f32_e32 v4, 0x3fb8aa3b, v2
	v_fma_f32 v5, v2, s48, -v4
	v_rndne_f32_e32 v6, v4
	v_fmac_f32_e32 v5, 0x32a5705f, v2
	v_sub_f32_e32 v4, v4, v6
	v_add_f32_e32 v4, v4, v5
	v_exp_f32_e32 v4, v4
	v_cvt_i32_f32_e32 v5, v6
	v_cmp_ngt_f32_e32 vcc, s49, v2
	v_cvt_f16_f32_e32 v3, v3
	s_lshl_b64 s[40:41], s[8:9], 2
	v_ldexp_f32 v4, v4, v5
	v_cndmask_b32_e32 v4, 0, v4, vcc
	v_cmp_nlt_f32_e32 vcc, s57, v2
	v_cndmask_b32_e32 v4, v241, v4, vcc
	v_cmp_le_f32_e32 vcc, s97, v2
	v_cndmask_b32_e32 v2, 0, v4, vcc
	v_fmac_f32_e32 v24, v22, v2
	v_cvt_f16_f32_e32 v2, v2
	v_readlane_b32 s8, v254, 34
	s_add_u32 s9, s8, s40
	v_readlane_b32 s8, v254, 26
	v_pk_mul_f16 v11, v2, v106 op_sel_hi:[0,1]
	v_pk_mul_f16 v10, v2, v105 op_sel_hi:[0,1]
	;; [unrolled: 1-line block ×12, first 2 shown]
	v_cvt_f16_f32_e32 v2, v14
	s_addc_u32 s8, s8, s41
	v_mov_b32_e32 v14, s8
	v_pack_b32_f16 v8, v2, v0
	v_cvt_f16_f32_e32 v0, v29
	v_cvt_f16_f32_e32 v2, v58
	v_mov_b32_e32 v58, s65
	v_pack_b32_f16 v9, v0, v2
	v_cvt_f16_f32_e32 v0, v62
	v_cvt_f16_f32_e32 v2, v63
	v_pack_b32_f16 v6, v0, v2
	v_cvt_f16_f32_e32 v0, v64
	v_cvt_f16_f32_e32 v2, v65
	;; [unrolled: 3-line block ×5, first 2 shown]
	v_pack_b32_f16 v2, v0, v2
	v_cvt_f16_f32_e32 v0, v72
	v_pack_b32_f16 v3, v0, v3
	v_add_co_u32_e32 v0, vcc, s9, v42
	v_addc_co_u32_e32 v14, vcc, v14, v43, vcc
	v_add_co_u32_e32 v0, vcc, v0, v28
	v_addc_co_u32_e32 v14, vcc, 0, v14, vcc
	;; [unrolled: 2-line block ×3, first 2 shown]
	v_cndmask_b32_e64 v29, v58, v14, s[70:71]
	v_mov_b32_e32 v14, s64
	v_cndmask_b32_e64 v28, v14, v0, s[70:71]
	flat_load_dwordx4 v[62:65], v[28:29]
	v_add_co_u32_e32 v0, vcc, s9, v48
	v_mov_b32_e32 v28, s8
	v_addc_co_u32_e32 v28, vcc, v28, v49, vcc
	v_add_co_u32_e32 v0, vcc, v0, v26
	v_addc_co_u32_e32 v28, vcc, 0, v28, vcc
	v_cndmask_b32_e64 v29, v58, v28, s[68:69]
	v_cndmask_b32_e64 v28, v14, v0, s[68:69]
	v_add_co_u32_e32 v0, vcc, s9, v50
	s_waitcnt vmcnt(0) lgkmcnt(0)
	ds_write_b128 v114, v[62:65]
	flat_load_dwordx4 v[62:65], v[28:29]
	v_mov_b32_e32 v28, s8
	v_addc_co_u32_e32 v28, vcc, v28, v51, vcc
	v_add_co_u32_e32 v0, vcc, v0, v26
	v_addc_co_u32_e32 v26, vcc, 0, v28, vcc
	v_cndmask_b32_e64 v29, v58, v26, s[66:67]
	v_cndmask_b32_e64 v28, v14, v0, s[66:67]
	v_readlane_b32 s8, v254, 27
	v_readlane_b32 s9, v254, 28
	s_cmp_lg_u64 s[8:9], 0
	s_waitcnt vmcnt(0) lgkmcnt(0)
	ds_write_b128 v116, v[62:65]
	flat_load_dwordx4 v[62:65], v[28:29]
	s_waitcnt vmcnt(0) lgkmcnt(0)
	ds_write_b128 v223, v[62:65]
	s_waitcnt lgkmcnt(0)
	s_barrier
	ds_read_u16 v0, v123 offset:416
	v_cvt_f32_f16_e32 v64, v10
	v_cvt_f32_f16_sdwa v65, v10 dst_sel:DWORD dst_unused:UNUSED_PAD src0_sel:WORD_1
	ds_read_u16 v10, v124
	ds_read_u16 v14, v124 offset:32
	v_cvt_f32_f16_e32 v62, v11
	v_cvt_f32_f16_sdwa v63, v11 dst_sel:DWORD dst_unused:UNUSED_PAD src0_sel:WORD_1
	s_waitcnt lgkmcnt(1)
	v_perm_b32 v11, v10, v0, s56
	ds_read_u16 v0, v143
	ds_read_u16 v26, v143 offset:32
	ds_read_u16 v10, v123 offset:208
	;; [unrolled: 1-line block ×7, first 2 shown]
	s_waitcnt lgkmcnt(5)
	v_perm_b32 v10, v10, v0, s56
	s_nop 1
	v_mfma_f32_16x16x16f16 v[62:65], v[10:11], v[8:9], v[62:65]
	s_nop 7
	s_nop 2
	v_cvt_f16_f32_e32 v10, v63
	v_cvt_f16_f32_e32 v11, v64
	;; [unrolled: 1-line block ×4, first 2 shown]
	v_cvt_f32_f16_e32 v63, v10
	v_cvt_f32_f16_e32 v64, v11
	s_waitcnt lgkmcnt(0)
	v_perm_b32 v11, v67, v66, s56
	v_perm_b32 v10, v59, v58, s56
	v_cvt_f32_f16_e32 v62, v0
	v_cvt_f32_f16_e32 v65, v29
	ds_read_u16 v58, v143 offset:6656
	ds_read_u16 v59, v123 offset:6864
	;; [unrolled: 1-line block ×4, first 2 shown]
	v_mfma_f32_16x16x16f16 v[62:65], v[10:11], v[6:7], v[62:65]
	s_nop 7
	s_nop 2
	v_cvt_f16_f32_e32 v10, v63
	v_cvt_f16_f32_e32 v11, v64
	;; [unrolled: 1-line block ×4, first 2 shown]
	v_cvt_f32_f16_e32 v63, v10
	v_cvt_f32_f16_e32 v64, v11
	s_waitcnt lgkmcnt(0)
	v_perm_b32 v11, v67, v66, s56
	v_perm_b32 v10, v59, v58, s56
	v_cvt_f32_f16_e32 v62, v0
	v_cvt_f32_f16_e32 v65, v29
	ds_read_u16 v58, v143 offset:9984
	ds_read_u16 v59, v123 offset:10192
	;; [unrolled: 1-line block ×4, first 2 shown]
	v_mfma_f32_16x16x16f16 v[62:65], v[10:11], v[4:5], v[62:65]
	s_nop 7
	s_nop 2
	v_cvt_f16_f32_e32 v10, v63
	v_cvt_f16_f32_e32 v11, v64
	;; [unrolled: 1-line block ×4, first 2 shown]
	v_cvt_f32_f16_e32 v63, v10
	v_cvt_f32_f16_e32 v64, v11
	s_waitcnt lgkmcnt(0)
	v_perm_b32 v11, v67, v66, s56
	v_perm_b32 v10, v59, v58, s56
	v_cvt_f32_f16_e32 v62, v0
	v_cvt_f32_f16_e32 v65, v29
	s_nop 1
	v_mfma_f32_16x16x16f16 v[62:65], v[10:11], v[2:3], v[62:65]
	s_nop 7
	s_nop 2
	v_cvt_f16_f32_e32 v0, v62
	v_cvt_f16_f32_e32 v10, v63
	;; [unrolled: 1-line block ×4, first 2 shown]
	v_cvt_f32_f16_e32 v62, v13
	v_pack_b32_f16 v10, v0, v10
	ds_read_u16 v0, v144 offset:416
	v_cvt_f32_f16_sdwa v63, v13 dst_sel:DWORD dst_unused:UNUSED_PAD src0_sel:WORD_1
	v_cvt_f32_f16_e32 v64, v12
	v_cvt_f32_f16_sdwa v65, v12 dst_sel:DWORD dst_unused:UNUSED_PAD src0_sel:WORD_1
	v_perm_b32 v12, v28, v26, s56
	s_waitcnt lgkmcnt(0)
	v_perm_b32 v13, v14, v0, s56
	v_pack_b32_f16 v11, v11, v29
	ds_read_u16 v26, v143 offset:3360
	ds_read_u16 v28, v123 offset:3568
	ds_read_u16 v29, v128 offset:416
	ds_read_u16 v58, v124 offset:3360
	v_mfma_f32_16x16x16f16 v[62:65], v[12:13], v[8:9], v[62:65]
	s_nop 7
	s_nop 2
	v_cvt_f16_f32_e32 v12, v63
	v_cvt_f16_f32_e32 v13, v64
	v_cvt_f16_f32_e32 v0, v62
	v_cvt_f16_f32_e32 v14, v65
	v_cvt_f32_f16_e32 v63, v12
	v_cvt_f32_f16_e32 v64, v13
	s_waitcnt lgkmcnt(0)
	v_perm_b32 v13, v58, v29, s56
	v_perm_b32 v12, v28, v26, s56
	v_cvt_f32_f16_e32 v62, v0
	v_cvt_f32_f16_e32 v65, v14
	ds_read_u16 v26, v143 offset:6688
	ds_read_u16 v28, v123 offset:6896
	ds_read_u16 v29, v129 offset:416
	ds_read_u16 v58, v124 offset:6688
	v_mfma_f32_16x16x16f16 v[62:65], v[12:13], v[6:7], v[62:65]
	s_nop 7
	s_nop 2
	v_cvt_f16_f32_e32 v12, v63
	v_cvt_f16_f32_e32 v13, v64
	v_cvt_f16_f32_e32 v0, v62
	v_cvt_f16_f32_e32 v14, v65
	v_cvt_f32_f16_e32 v63, v12
	v_cvt_f32_f16_e32 v64, v13
	s_waitcnt lgkmcnt(0)
	v_perm_b32 v13, v58, v29, s56
	v_perm_b32 v12, v28, v26, s56
	v_cvt_f32_f16_e32 v62, v0
	v_cvt_f32_f16_e32 v65, v14
	;; [unrolled: 18-line block ×3, first 2 shown]
	v_cvt_f32_f16_e32 v28, v15
	v_cvt_f32_f16_sdwa v29, v15 dst_sel:DWORD dst_unused:UNUSED_PAD src0_sel:WORD_1
	v_mfma_f32_16x16x16f16 v[62:65], v[12:13], v[2:3], v[62:65]
	v_cvt_f32_f16_e32 v26, v27
	v_cvt_f32_f16_sdwa v27, v27 dst_sel:DWORD dst_unused:UNUSED_PAD src0_sel:WORD_1
	s_nop 7
	s_nop 0
	v_cvt_f16_f32_e32 v0, v62
	v_cvt_f16_f32_e32 v12, v63
	;; [unrolled: 1-line block ×4, first 2 shown]
	v_pack_b32_f16 v12, v0, v12
	v_pack_b32_f16 v13, v13, v14
	ds_read_u16 v0, v143 offset:64
	ds_read_u16 v14, v123 offset:272
	;; [unrolled: 1-line block ×4, first 2 shown]
	s_waitcnt lgkmcnt(2)
	v_perm_b32 v14, v14, v0, s56
	s_waitcnt lgkmcnt(0)
	v_perm_b32 v15, v59, v58, s56
	ds_read_u16 v58, v143 offset:3392
	ds_read_u16 v59, v123 offset:3600
	ds_read_u16 v62, v131 offset:416
	ds_read_u16 v63, v124 offset:3392
	v_mfma_f32_16x16x16f16 v[26:29], v[14:15], v[8:9], v[26:29]
	s_nop 7
	s_nop 2
	v_cvt_f16_f32_e32 v14, v27
	v_cvt_f16_f32_e32 v15, v28
	v_cvt_f16_f32_e32 v0, v26
	v_cvt_f16_f32_e32 v29, v29
	v_cvt_f32_f16_e32 v27, v14
	v_cvt_f32_f16_e32 v28, v15
	s_waitcnt lgkmcnt(0)
	v_perm_b32 v15, v63, v62, s56
	v_perm_b32 v14, v59, v58, s56
	v_cvt_f32_f16_e32 v26, v0
	v_cvt_f32_f16_e32 v29, v29
	ds_read_u16 v58, v143 offset:6720
	ds_read_u16 v59, v123 offset:6928
	ds_read_u16 v62, v132 offset:416
	ds_read_u16 v63, v124 offset:6720
	v_mfma_f32_16x16x16f16 v[26:29], v[14:15], v[6:7], v[26:29]
	s_nop 7
	s_nop 2
	v_cvt_f16_f32_e32 v14, v27
	v_cvt_f16_f32_e32 v15, v28
	v_cvt_f16_f32_e32 v0, v26
	v_cvt_f16_f32_e32 v29, v29
	v_cvt_f32_f16_e32 v27, v14
	v_cvt_f32_f16_e32 v28, v15
	s_waitcnt lgkmcnt(0)
	v_perm_b32 v15, v63, v62, s56
	v_perm_b32 v14, v59, v58, s56
	v_cvt_f32_f16_e32 v26, v0
	v_cvt_f32_f16_e32 v29, v29
	;; [unrolled: 18-line block ×3, first 2 shown]
	s_nop 1
	v_mfma_f32_16x16x16f16 v[26:29], v[14:15], v[2:3], v[26:29]
	s_nop 7
	s_nop 2
	v_cvt_f16_f32_e32 v0, v26
	v_cvt_f16_f32_e32 v14, v27
	v_cvt_f16_f32_e32 v15, v28
	v_cvt_f16_f32_e32 v26, v29
	v_cvt_f32_f16_sdwa v27, v17 dst_sel:DWORD dst_unused:UNUSED_PAD src0_sel:WORD_1
	v_pack_b32_f16 v14, v0, v14
	ds_read_u16 v0, v143 offset:96
	ds_read_u16 v58, v123 offset:304
	;; [unrolled: 1-line block ×4, first 2 shown]
	v_pack_b32_f16 v15, v15, v26
	v_cvt_f32_f16_e32 v26, v17
	v_cvt_f32_f16_e32 v28, v16
	v_cvt_f32_f16_sdwa v29, v16 dst_sel:DWORD dst_unused:UNUSED_PAD src0_sel:WORD_1
	s_waitcnt lgkmcnt(0)
	v_perm_b32 v17, v62, v59, s56
	v_perm_b32 v16, v58, v0, s56
	ds_read_u16 v58, v143 offset:3424
	ds_read_u16 v59, v123 offset:3632
	ds_read_u16 v62, v135 offset:416
	ds_read_u16 v63, v124 offset:3424
	v_mfma_f32_16x16x16f16 v[26:29], v[16:17], v[8:9], v[26:29]
	s_nop 7
	s_nop 2
	v_cvt_f16_f32_e32 v16, v27
	v_cvt_f16_f32_e32 v17, v28
	v_cvt_f16_f32_e32 v0, v26
	v_cvt_f16_f32_e32 v29, v29
	v_cvt_f32_f16_e32 v27, v16
	v_cvt_f32_f16_e32 v28, v17
	s_waitcnt lgkmcnt(0)
	v_perm_b32 v17, v63, v62, s56
	v_perm_b32 v16, v59, v58, s56
	v_cvt_f32_f16_e32 v26, v0
	v_cvt_f32_f16_e32 v29, v29
	ds_read_u16 v58, v143 offset:6752
	ds_read_u16 v59, v123 offset:6960
	ds_read_u16 v62, v139 offset:416
	ds_read_u16 v63, v124 offset:6752
	v_mfma_f32_16x16x16f16 v[26:29], v[16:17], v[6:7], v[26:29]
	s_nop 7
	s_nop 2
	v_cvt_f16_f32_e32 v16, v27
	v_cvt_f16_f32_e32 v17, v28
	v_cvt_f16_f32_e32 v0, v26
	v_cvt_f16_f32_e32 v29, v29
	v_cvt_f32_f16_e32 v27, v16
	v_cvt_f32_f16_e32 v28, v17
	s_waitcnt lgkmcnt(0)
	v_perm_b32 v17, v63, v62, s56
	v_perm_b32 v16, v59, v58, s56
	v_cvt_f32_f16_e32 v26, v0
	v_cvt_f32_f16_e32 v29, v29
	;; [unrolled: 18-line block ×3, first 2 shown]
	s_nop 1
	v_mfma_f32_16x16x16f16 v[26:29], v[16:17], v[2:3], v[26:29]
	s_nop 7
	s_nop 2
	v_cvt_f16_f32_e32 v0, v26
	v_cvt_f16_f32_e32 v16, v27
	;; [unrolled: 1-line block ×4, first 2 shown]
	v_cvt_f32_f16_sdwa v27, v21 dst_sel:DWORD dst_unused:UNUSED_PAD src0_sel:WORD_1
	v_pack_b32_f16 v16, v0, v16
	ds_read_u16 v0, v143 offset:128
	ds_read_u16 v58, v123 offset:336
	;; [unrolled: 1-line block ×4, first 2 shown]
	v_pack_b32_f16 v17, v17, v26
	v_cvt_f32_f16_e32 v26, v21
	v_cvt_f32_f16_e32 v28, v20
	v_cvt_f32_f16_sdwa v29, v20 dst_sel:DWORD dst_unused:UNUSED_PAD src0_sel:WORD_1
	s_waitcnt lgkmcnt(0)
	v_perm_b32 v21, v62, v59, s56
	v_perm_b32 v20, v58, v0, s56
	ds_read_u16 v58, v143 offset:3456
	ds_read_u16 v59, v123 offset:3664
	ds_read_u16 v62, v148 offset:416
	ds_read_u16 v63, v124 offset:3456
	v_mfma_f32_16x16x16f16 v[26:29], v[20:21], v[8:9], v[26:29]
	s_nop 7
	s_nop 2
	v_cvt_f16_f32_e32 v20, v27
	v_cvt_f16_f32_e32 v21, v28
	v_cvt_f16_f32_e32 v0, v26
	v_cvt_f16_f32_e32 v29, v29
	v_cvt_f32_f16_e32 v27, v20
	v_cvt_f32_f16_e32 v28, v21
	s_waitcnt lgkmcnt(0)
	v_perm_b32 v21, v63, v62, s56
	v_perm_b32 v20, v59, v58, s56
	v_cvt_f32_f16_e32 v26, v0
	v_cvt_f32_f16_e32 v29, v29
	ds_read_u16 v58, v143 offset:6784
	ds_read_u16 v59, v123 offset:6992
	ds_read_u16 v62, v149 offset:416
	ds_read_u16 v63, v124 offset:6784
	v_mfma_f32_16x16x16f16 v[26:29], v[20:21], v[6:7], v[26:29]
	s_nop 7
	s_nop 2
	v_cvt_f16_f32_e32 v20, v27
	v_cvt_f16_f32_e32 v21, v28
	v_cvt_f16_f32_e32 v0, v26
	v_cvt_f16_f32_e32 v29, v29
	v_cvt_f32_f16_e32 v27, v20
	v_cvt_f32_f16_e32 v28, v21
	s_waitcnt lgkmcnt(0)
	v_perm_b32 v21, v63, v62, s56
	v_perm_b32 v20, v59, v58, s56
	v_cvt_f32_f16_e32 v26, v0
	v_cvt_f32_f16_e32 v29, v29
	;; [unrolled: 18-line block ×3, first 2 shown]
	s_nop 1
	v_mfma_f32_16x16x16f16 v[26:29], v[20:21], v[2:3], v[26:29]
	s_nop 7
	s_nop 2
	v_cvt_f16_f32_e32 v0, v26
	v_cvt_f16_f32_e32 v20, v27
	;; [unrolled: 1-line block ×4, first 2 shown]
	v_cvt_f32_f16_sdwa v27, v25 dst_sel:DWORD dst_unused:UNUSED_PAD src0_sel:WORD_1
	v_pack_b32_f16 v20, v0, v20
	ds_read_u16 v0, v143 offset:160
	ds_read_u16 v58, v123 offset:368
	ds_read_u16 v59, v151 offset:416
	ds_read_u16 v62, v124 offset:160
	v_pack_b32_f16 v21, v21, v26
	v_cvt_f32_f16_e32 v26, v25
	s_waitcnt lgkmcnt(2)
	v_perm_b32 v58, v58, v0, s56
	v_cvt_f32_f16_e32 v28, v22
	s_waitcnt lgkmcnt(0)
	v_perm_b32 v59, v62, v59, s56
	v_cvt_f32_f16_sdwa v29, v22 dst_sel:DWORD dst_unused:UNUSED_PAD src0_sel:WORD_1
	s_nop 1
	v_mfma_f32_16x16x16f16 v[26:29], v[58:59], v[8:9], v[26:29]
	ds_read_u16 v25, v143 offset:3488
	ds_read_u16 v58, v123 offset:3696
	;; [unrolled: 1-line block ×4, first 2 shown]
	s_nop 6
	v_cvt_f16_f32_e32 v8, v27
	v_cvt_f16_f32_e32 v9, v28
	;; [unrolled: 1-line block ×4, first 2 shown]
	v_cvt_f32_f16_e32 v27, v8
	v_cvt_f32_f16_e32 v28, v9
	s_waitcnt lgkmcnt(0)
	v_perm_b32 v9, v62, v59, s56
	v_perm_b32 v8, v58, v25, s56
	v_cvt_f32_f16_e32 v26, v0
	v_cvt_f32_f16_e32 v29, v22
	s_nop 1
	v_mfma_f32_16x16x16f16 v[6:9], v[8:9], v[6:7], v[26:29]
	ds_read_u16 v22, v143 offset:6816
	ds_read_u16 v25, v123 offset:7024
	s_nop 4
	ds_read_u16 v26, v153 offset:416
	ds_read_u16 v27, v124 offset:6816
	s_waitcnt lgkmcnt(0)
	v_perm_b32 v27, v27, v26, s56
	v_perm_b32 v26, v25, v22, s56
	v_cvt_f16_f32_e32 v0, v6
	v_cvt_f16_f32_e32 v7, v7
	;; [unrolled: 1-line block ×4, first 2 shown]
	v_cvt_f32_f16_e32 v6, v0
	v_cvt_f32_f16_e32 v7, v7
	;; [unrolled: 1-line block ×4, first 2 shown]
	s_nop 1
	v_mfma_f32_16x16x16f16 v[6:9], v[26:27], v[4:5], v[6:9]
	s_nop 7
	s_nop 2
	v_cvt_f16_f32_e32 v5, v6
	v_cvt_f16_f32_e32 v6, v7
	;; [unrolled: 1-line block ×4, first 2 shown]
	ds_read_u16 v4, v143 offset:10144
	ds_read_u16 v9, v123 offset:10352
	;; [unrolled: 1-line block ×4, first 2 shown]
	v_cvt_f32_f16_e32 v26, v5
	v_cvt_f32_f16_e32 v27, v6
	s_waitcnt lgkmcnt(2)
	v_perm_b32 v4, v9, v4, s56
	v_cvt_f32_f16_e32 v28, v7
	s_waitcnt lgkmcnt(0)
	v_perm_b32 v5, v25, v22, s56
	v_cvt_f32_f16_e32 v29, v8
	s_barrier
	s_nop 0
	v_mfma_f32_16x16x16f16 v[2:5], v[4:5], v[2:3], v[26:29]
	s_nop 7
	s_nop 2
	v_cvt_f16_f32_e32 v0, v2
	v_cvt_f16_f32_e32 v2, v3
	;; [unrolled: 1-line block ×4, first 2 shown]
	v_pack_b32_f16 v2, v0, v2
	ds_bpermute_b32 v0, v23, v24
	v_pack_b32_f16 v3, v3, v4
	s_waitcnt lgkmcnt(0)
	v_add_f32_e32 v0, v24, v0
	ds_bpermute_b32 v4, v19, v0
	s_waitcnt lgkmcnt(0)
	v_add_f32_e32 v19, v0, v4
	s_cbranch_scc0 .LBB14_112
; %bb.111:                              ;   in Loop: Header=BB14_15 Depth=1
	global_load_dword v0, v191, s[8:9]
	v_max_f32_e32 v4, v18, v18
	s_mov_b64 s[8:9], 0
	s_waitcnt vmcnt(0)
	v_max_f32_e32 v5, v0, v0
	v_max_f32_e32 v4, v4, v5
	v_sub_f32_e32 v5, v18, v4
	v_sub_f32_e32 v0, v0, v4
	v_mul_f32_e32 v6, 0x3fb8aa3b, v5
	v_mul_f32_e32 v7, 0x3fb8aa3b, v0
	v_fma_f32 v8, v5, s48, -v6
	v_rndne_f32_e32 v9, v6
	v_fma_f32 v22, v0, s48, -v7
	v_rndne_f32_e32 v23, v7
	v_fmac_f32_e32 v8, 0x32a5705f, v5
	v_sub_f32_e32 v6, v6, v9
	v_fmac_f32_e32 v22, 0x32a5705f, v0
	v_sub_f32_e32 v7, v7, v23
	v_add_f32_e32 v6, v6, v8
	v_cvt_i32_f32_e32 v9, v9
	v_add_f32_e32 v7, v7, v22
	v_exp_f32_e32 v6, v6
	v_cvt_i32_f32_e32 v23, v23
	v_exp_f32_e32 v7, v7
	v_cmp_ngt_f32_e32 vcc, s49, v5
	v_ldexp_f32 v6, v6, v9
	v_cndmask_b32_e32 v6, 0, v6, vcc
	v_ldexp_f32 v7, v7, v23
	v_cmp_ngt_f32_e32 vcc, s49, v0
	v_cndmask_b32_e32 v7, 0, v7, vcc
	v_cmp_nlt_f32_e32 vcc, s57, v5
	v_cndmask_b32_e32 v6, v241, v6, vcc
	v_cmp_le_f32_e32 vcc, s97, v5
	v_cndmask_b32_e32 v6, 0, v6, vcc
	v_cvt_f16_f32_e32 v29, v6
	v_cmp_nlt_f32_e32 vcc, s57, v0
	v_cndmask_b32_e32 v5, v241, v7, vcc
	v_fmac_f32_e32 v5, v19, v6
	v_pk_mul_f16 v6, v29, v10 op_sel_hi:[0,1]
	v_pk_mul_f16 v7, v29, v11 op_sel_hi:[0,1]
	v_pk_mul_f16 v8, v29, v12 op_sel_hi:[0,1]
	v_pk_mul_f16 v9, v29, v13 op_sel_hi:[0,1]
	v_pk_mul_f16 v22, v29, v14 op_sel_hi:[0,1]
	v_pk_mul_f16 v23, v29, v15 op_sel_hi:[0,1]
	v_pk_mul_f16 v24, v29, v16 op_sel_hi:[0,1]
	v_pk_mul_f16 v25, v29, v17 op_sel_hi:[0,1]
	v_pk_mul_f16 v26, v29, v20 op_sel_hi:[0,1]
	v_pk_mul_f16 v27, v29, v21 op_sel_hi:[0,1]
	v_pk_mul_f16 v28, v29, v2 op_sel_hi:[0,1]
	v_pk_mul_f16 v29, v29, v3 op_sel_hi:[0,1]
	s_branch .LBB14_113
.LBB14_112:                             ;   in Loop: Header=BB14_15 Depth=1
	s_mov_b64 s[8:9], -1
                                        ; implicit-def: $vgpr4_vgpr5
                                        ; implicit-def: $vgpr28_vgpr29
                                        ; implicit-def: $vgpr26_vgpr27
                                        ; implicit-def: $vgpr6_vgpr7
                                        ; implicit-def: $vgpr8_vgpr9
                                        ; implicit-def: $vgpr22_vgpr23
                                        ; implicit-def: $vgpr24_vgpr25
.LBB14_113:                             ;   in Loop: Header=BB14_15 Depth=1
	v_readlane_b32 s98, v255, 21
	v_readlane_b32 s72, v253, 58
	;; [unrolled: 1-line block ×22, first 2 shown]
	s_andn2_b64 vcc, exec, s[8:9]
	v_readlane_b32 s88, v254, 10
	v_readlane_b32 s96, v254, 16
	s_mov_b32 s99, s51
	v_readlane_b32 s89, v254, 11
	v_readlane_b32 s90, v254, 12
	;; [unrolled: 1-line block ×3, first 2 shown]
	s_cbranch_vccnz .LBB14_115
; %bb.114:                              ;   in Loop: Header=BB14_15 Depth=1
	v_pk_mov_b32 v[24:25], v[16:17], v[16:17] op_sel:[0,1]
	v_pk_mov_b32 v[22:23], v[14:15], v[14:15] op_sel:[0,1]
	;; [unrolled: 1-line block ×7, first 2 shown]
.LBB14_115:                             ;   in Loop: Header=BB14_15 Depth=1
	s_barrier
	s_mov_b64 s[8:9], exec
	v_readlane_b32 s40, v253, 54
	v_readlane_b32 s41, v253, 55
	s_and_b64 s[40:41], s[8:9], s[40:41]
	v_readlane_b32 s90, v254, 14
	v_readlane_b32 s89, v254, 21
	v_readlane_b32 s91, v254, 15
	s_mov_b64 exec, s[40:41]
	s_cbranch_execz .LBB14_117
; %bb.116:                              ;   in Loop: Header=BB14_15 Depth=1
	global_store_dwordx2 v[40:41], v[4:5], off
.LBB14_117:                             ;   in Loop: Header=BB14_15 Depth=1
	s_or_b64 exec, exec, s[8:9]
	v_mov_b32_e32 v2, 50
	ds_write2_b32 v111, v6, v7 offset1:1
	ds_write2_b32 v111, v8, v9 offset0:8 offset1:9
	ds_write2_b32 v111, v22, v23 offset0:16 offset1:17
	;; [unrolled: 1-line block ×5, first 2 shown]
	s_waitcnt lgkmcnt(0)
	s_barrier
	s_mov_b64 s[8:9], exec
	v_readlane_b32 s40, v254, 61
	v_readlane_b32 s41, v254, 62
	s_and_b64 s[40:41], s[8:9], s[40:41]
	s_mov_b32 s91, s45
	s_mov_b64 exec, s[40:41]
	s_cbranch_execz .LBB14_119
; %bb.118:                              ;   in Loop: Header=BB14_15 Depth=1
	ds_read_b32 v0, v155
	v_mad_u64_u32 v[2:3], s[40:41], v100, s89, v[46:47]
	v_ashrrev_i32_e32 v3, 31, v2
	v_lshlrev_b64 v[2:3], 3, v[2:3]
	s_waitcnt lgkmcnt(0)
	v_cvt_f32_f16_sdwa v5, v0 dst_sel:DWORD dst_unused:UNUSED_PAD src0_sel:WORD_1
	v_cvt_f32_f16_e32 v4, v0
	v_mov_b32_e32 v6, s99
	v_add_co_u32_e32 v2, vcc, s91, v2
	v_addc_co_u32_e32 v3, vcc, v6, v3, vcc
	v_pk_add_f32 v[4:5], v[4:5], 0 op_sel_hi:[1,0]
	global_store_dwordx2 v[2:3], v[4:5], off
	v_mov_b32_e32 v2, 0
.LBB14_119:                             ;   in Loop: Header=BB14_15 Depth=1
	s_or_b64 exec, exec, s[8:9]
	v_cmp_gt_i32_e32 vcc, 50, v2
	s_mov_b64 s[40:41], -1
	s_and_saveexec_b64 s[8:9], vcc
; %bb.120:                              ;   in Loop: Header=BB14_15 Depth=1
	v_cmp_eq_u32_e32 vcc, 0, v2
	s_orn2_b64 s[40:41], vcc, exec
; %bb.121:                              ;   in Loop: Header=BB14_15 Depth=1
	s_or_b64 exec, exec, s[8:9]
	s_and_saveexec_b64 s[8:9], s[40:41]
	s_cbranch_execz .LBB14_154
; %bb.122:                              ;   in Loop: Header=BB14_15 Depth=1
	v_mov_b32_e32 v2, 50
	s_mov_b64 s[40:41], exec
	v_readlane_b32 s44, v254, 63
	v_readlane_b32 s45, v255, 0
	s_and_b64 s[44:45], s[40:41], s[44:45]
	s_mov_b64 exec, s[44:45]
	s_cbranch_execz .LBB14_124
; %bb.123:                              ;   in Loop: Header=BB14_15 Depth=1
	ds_read_b32 v0, v155 offset:1664
	v_mad_u64_u32 v[2:3], s[44:45], v99, s89, v[46:47]
	v_ashrrev_i32_e32 v3, 31, v2
	v_lshlrev_b64 v[2:3], 3, v[2:3]
	s_waitcnt lgkmcnt(0)
	v_cvt_f32_f16_sdwa v5, v0 dst_sel:DWORD dst_unused:UNUSED_PAD src0_sel:WORD_1
	v_cvt_f32_f16_e32 v4, v0
	v_mov_b32_e32 v6, s99
	v_add_co_u32_e32 v2, vcc, s91, v2
	v_addc_co_u32_e32 v3, vcc, v6, v3, vcc
	v_pk_add_f32 v[4:5], v[4:5], 0 op_sel_hi:[1,0]
	global_store_dwordx2 v[2:3], v[4:5], off
	v_mov_b32_e32 v2, 0
.LBB14_124:                             ;   in Loop: Header=BB14_15 Depth=1
	s_or_b64 exec, exec, s[40:41]
	v_cmp_gt_i32_e32 vcc, 50, v2
	s_mov_b64 s[40:41], -1
	s_and_saveexec_b64 s[44:45], vcc
; %bb.125:                              ;   in Loop: Header=BB14_15 Depth=1
	v_cmp_eq_u32_e32 vcc, 0, v2
	s_orn2_b64 s[40:41], vcc, exec
; %bb.126:                              ;   in Loop: Header=BB14_15 Depth=1
	s_or_b64 exec, exec, s[44:45]
	s_and_b64 exec, exec, s[40:41]
	s_cbranch_execz .LBB14_154
; %bb.127:                              ;   in Loop: Header=BB14_15 Depth=1
	v_mov_b32_e32 v2, 50
	s_mov_b64 s[40:41], exec
	v_readlane_b32 s44, v255, 1
	v_readlane_b32 s45, v255, 2
	s_and_b64 s[44:45], s[40:41], s[44:45]
	s_mov_b64 exec, s[44:45]
	s_cbranch_execz .LBB14_129
; %bb.128:                              ;   in Loop: Header=BB14_15 Depth=1
	buffer_load_dword v0, off, s[0:3], 0 offset:60 ; 4-byte Folded Reload
	v_mad_u64_u32 v[2:3], s[44:45], v98, s89, v[46:47]
	v_ashrrev_i32_e32 v3, 31, v2
	v_lshlrev_b64 v[2:3], 3, v[2:3]
	v_mov_b32_e32 v6, s99
	v_add_co_u32_e32 v2, vcc, s91, v2
	v_addc_co_u32_e32 v3, vcc, v6, v3, vcc
	s_waitcnt vmcnt(0)
	ds_read_b32 v0, v0
	s_waitcnt lgkmcnt(0)
	v_cvt_f32_f16_sdwa v5, v0 dst_sel:DWORD dst_unused:UNUSED_PAD src0_sel:WORD_1
	v_cvt_f32_f16_e32 v4, v0
	v_pk_add_f32 v[4:5], v[4:5], 0 op_sel_hi:[1,0]
	global_store_dwordx2 v[2:3], v[4:5], off
	v_mov_b32_e32 v2, 0
.LBB14_129:                             ;   in Loop: Header=BB14_15 Depth=1
	s_or_b64 exec, exec, s[40:41]
	v_cmp_gt_i32_e32 vcc, 50, v2
	s_mov_b64 s[40:41], -1
	s_and_saveexec_b64 s[44:45], vcc
; %bb.130:                              ;   in Loop: Header=BB14_15 Depth=1
	v_cmp_eq_u32_e32 vcc, 0, v2
	s_orn2_b64 s[40:41], vcc, exec
; %bb.131:                              ;   in Loop: Header=BB14_15 Depth=1
	s_or_b64 exec, exec, s[44:45]
	s_and_b64 exec, exec, s[40:41]
	s_cbranch_execz .LBB14_154
; %bb.132:                              ;   in Loop: Header=BB14_15 Depth=1
	v_mov_b32_e32 v2, 50
	s_mov_b64 s[40:41], exec
	v_readlane_b32 s44, v255, 3
	v_readlane_b32 s45, v255, 4
	s_and_b64 s[44:45], s[40:41], s[44:45]
	s_mov_b64 exec, s[44:45]
	s_cbranch_execz .LBB14_134
; %bb.133:                              ;   in Loop: Header=BB14_15 Depth=1
	ds_read_b32 v0, v155 offset:4992
	v_mad_u64_u32 v[2:3], s[44:45], v97, s89, v[46:47]
	v_ashrrev_i32_e32 v3, 31, v2
	v_lshlrev_b64 v[2:3], 3, v[2:3]
	s_waitcnt lgkmcnt(0)
	v_cvt_f32_f16_sdwa v5, v0 dst_sel:DWORD dst_unused:UNUSED_PAD src0_sel:WORD_1
	v_cvt_f32_f16_e32 v4, v0
	v_mov_b32_e32 v6, s99
	v_add_co_u32_e32 v2, vcc, s91, v2
	v_addc_co_u32_e32 v3, vcc, v6, v3, vcc
	v_pk_add_f32 v[4:5], v[4:5], 0 op_sel_hi:[1,0]
	global_store_dwordx2 v[2:3], v[4:5], off
	v_mov_b32_e32 v2, 0
.LBB14_134:                             ;   in Loop: Header=BB14_15 Depth=1
	s_or_b64 exec, exec, s[40:41]
	v_cmp_gt_i32_e32 vcc, 50, v2
	s_mov_b64 s[40:41], -1
	s_and_saveexec_b64 s[44:45], vcc
; %bb.135:                              ;   in Loop: Header=BB14_15 Depth=1
	v_cmp_eq_u32_e32 vcc, 0, v2
	s_orn2_b64 s[40:41], vcc, exec
; %bb.136:                              ;   in Loop: Header=BB14_15 Depth=1
	s_or_b64 exec, exec, s[44:45]
	s_and_b64 exec, exec, s[40:41]
	s_cbranch_execz .LBB14_154
; %bb.137:                              ;   in Loop: Header=BB14_15 Depth=1
	v_mov_b32_e32 v2, 50
	s_mov_b64 s[40:41], exec
	v_readlane_b32 s44, v255, 5
	v_readlane_b32 s45, v255, 6
	s_and_b64 s[44:45], s[40:41], s[44:45]
	s_mov_b64 exec, s[44:45]
	s_cbranch_execz .LBB14_139
; %bb.138:                              ;   in Loop: Header=BB14_15 Depth=1
	buffer_load_dword v0, off, s[0:3], 0 offset:88 ; 4-byte Folded Reload
	v_mad_u64_u32 v[2:3], s[44:45], v96, s89, v[46:47]
	v_ashrrev_i32_e32 v3, 31, v2
	v_lshlrev_b64 v[2:3], 3, v[2:3]
	v_mov_b32_e32 v6, s99
	v_add_co_u32_e32 v2, vcc, s91, v2
	v_addc_co_u32_e32 v3, vcc, v6, v3, vcc
	s_waitcnt vmcnt(0)
	ds_read_b32 v0, v0
	s_waitcnt lgkmcnt(0)
	v_cvt_f32_f16_sdwa v5, v0 dst_sel:DWORD dst_unused:UNUSED_PAD src0_sel:WORD_1
	v_cvt_f32_f16_e32 v4, v0
	v_pk_add_f32 v[4:5], v[4:5], 0 op_sel_hi:[1,0]
	global_store_dwordx2 v[2:3], v[4:5], off
	v_mov_b32_e32 v2, 0
.LBB14_139:                             ;   in Loop: Header=BB14_15 Depth=1
	s_or_b64 exec, exec, s[40:41]
	v_cmp_gt_i32_e32 vcc, 50, v2
	s_mov_b64 s[40:41], -1
	s_and_saveexec_b64 s[44:45], vcc
; %bb.140:                              ;   in Loop: Header=BB14_15 Depth=1
	v_cmp_eq_u32_e32 vcc, 0, v2
	s_orn2_b64 s[40:41], vcc, exec
; %bb.141:                              ;   in Loop: Header=BB14_15 Depth=1
	s_or_b64 exec, exec, s[44:45]
	s_and_b64 exec, exec, s[40:41]
	s_cbranch_execz .LBB14_154
; %bb.142:                              ;   in Loop: Header=BB14_15 Depth=1
	v_mov_b32_e32 v2, 50
	s_mov_b64 s[40:41], exec
	v_readlane_b32 s44, v255, 7
	v_readlane_b32 s45, v255, 8
	s_and_b64 s[44:45], s[40:41], s[44:45]
	s_mov_b64 exec, s[44:45]
	s_cbranch_execz .LBB14_144
; %bb.143:                              ;   in Loop: Header=BB14_15 Depth=1
	ds_read_b32 v0, v155 offset:8320
	v_mad_u64_u32 v[2:3], s[44:45], v39, s89, v[46:47]
	v_ashrrev_i32_e32 v3, 31, v2
	v_lshlrev_b64 v[2:3], 3, v[2:3]
	s_waitcnt lgkmcnt(0)
	v_cvt_f32_f16_sdwa v5, v0 dst_sel:DWORD dst_unused:UNUSED_PAD src0_sel:WORD_1
	v_cvt_f32_f16_e32 v4, v0
	v_mov_b32_e32 v6, s99
	v_add_co_u32_e32 v2, vcc, s91, v2
	v_addc_co_u32_e32 v3, vcc, v6, v3, vcc
	v_pk_add_f32 v[4:5], v[4:5], 0 op_sel_hi:[1,0]
	global_store_dwordx2 v[2:3], v[4:5], off
	v_mov_b32_e32 v2, 0
.LBB14_144:                             ;   in Loop: Header=BB14_15 Depth=1
	s_or_b64 exec, exec, s[40:41]
	v_cmp_gt_i32_e32 vcc, 50, v2
	s_mov_b64 s[40:41], -1
	s_and_saveexec_b64 s[44:45], vcc
; %bb.145:                              ;   in Loop: Header=BB14_15 Depth=1
	v_cmp_eq_u32_e32 vcc, 0, v2
	s_orn2_b64 s[40:41], vcc, exec
; %bb.146:                              ;   in Loop: Header=BB14_15 Depth=1
	s_or_b64 exec, exec, s[44:45]
	s_and_b64 exec, exec, s[40:41]
	s_cbranch_execz .LBB14_154
; %bb.147:                              ;   in Loop: Header=BB14_15 Depth=1
	v_mov_b32_e32 v2, 50
	s_mov_b64 s[40:41], exec
	v_readlane_b32 s44, v255, 9
	v_readlane_b32 s45, v255, 10
	s_and_b64 s[44:45], s[40:41], s[44:45]
	s_mov_b64 exec, s[44:45]
	s_cbranch_execz .LBB14_149
; %bb.148:                              ;   in Loop: Header=BB14_15 Depth=1
	buffer_load_dword v0, off, s[0:3], 0 offset:100 ; 4-byte Folded Reload
	v_mad_u64_u32 v[2:3], s[44:45], v37, s89, v[46:47]
	v_ashrrev_i32_e32 v3, 31, v2
	v_lshlrev_b64 v[2:3], 3, v[2:3]
	v_mov_b32_e32 v6, s99
	v_add_co_u32_e32 v2, vcc, s91, v2
	v_addc_co_u32_e32 v3, vcc, v6, v3, vcc
	s_waitcnt vmcnt(0)
	ds_read_b32 v0, v0
	s_waitcnt lgkmcnt(0)
	v_cvt_f32_f16_sdwa v5, v0 dst_sel:DWORD dst_unused:UNUSED_PAD src0_sel:WORD_1
	v_cvt_f32_f16_e32 v4, v0
	v_pk_add_f32 v[4:5], v[4:5], 0 op_sel_hi:[1,0]
	global_store_dwordx2 v[2:3], v[4:5], off
	v_mov_b32_e32 v2, 0
.LBB14_149:                             ;   in Loop: Header=BB14_15 Depth=1
	s_or_b64 exec, exec, s[40:41]
	v_cmp_gt_i32_e32 vcc, 50, v2
	s_mov_b64 s[40:41], -1
	s_and_saveexec_b64 s[44:45], vcc
; %bb.150:                              ;   in Loop: Header=BB14_15 Depth=1
	v_cmp_eq_u32_e32 vcc, 0, v2
	s_orn2_b64 s[40:41], vcc, exec
; %bb.151:                              ;   in Loop: Header=BB14_15 Depth=1
	s_or_b64 exec, exec, s[44:45]
	s_and_b64 exec, exec, s[40:41]
	s_cbranch_execz .LBB14_154
; %bb.152:                              ;   in Loop: Header=BB14_15 Depth=1
	v_readlane_b32 s40, v255, 11
	v_readlane_b32 s41, v255, 12
	s_and_b64 exec, exec, s[40:41]
	s_cbranch_execz .LBB14_154
; %bb.153:                              ;   in Loop: Header=BB14_15 Depth=1
	ds_read_b32 v0, v155 offset:11648
	v_mad_u64_u32 v[2:3], s[40:41], v33, s89, v[46:47]
	v_ashrrev_i32_e32 v3, 31, v2
	v_lshlrev_b64 v[2:3], 3, v[2:3]
	s_waitcnt lgkmcnt(0)
	v_cvt_f32_f16_sdwa v5, v0 dst_sel:DWORD dst_unused:UNUSED_PAD src0_sel:WORD_1
	v_cvt_f32_f16_e32 v4, v0
	v_mov_b32_e32 v6, s99
	v_add_co_u32_e32 v2, vcc, s91, v2
	v_addc_co_u32_e32 v3, vcc, v6, v3, vcc
	v_pk_add_f32 v[4:5], v[4:5], 0 op_sel_hi:[1,0]
	global_store_dwordx2 v[2:3], v[4:5], off
.LBB14_154:                             ;   in Loop: Header=BB14_15 Depth=1
	s_or_b64 exec, exec, s[8:9]
	v_mov_b32_e32 v2, 50
	s_mov_b64 s[8:9], exec
	v_readlane_b32 s40, v255, 13
	v_readlane_b32 s41, v255, 14
	s_and_b64 s[40:41], s[8:9], s[40:41]
	s_mov_b64 exec, s[40:41]
	s_cbranch_execz .LBB14_156
; %bb.155:                              ;   in Loop: Header=BB14_15 Depth=1
	ds_read_b32 v4, v156 offset:128
	v_mul_lo_u32 v0, v35, s89
	v_ashrrev_i32_e32 v3, 31, v0
	v_add_co_u32_e32 v2, vcc, v0, v32
	s_waitcnt lgkmcnt(0)
	v_cvt_f32_f16_sdwa v5, v4 dst_sel:DWORD dst_unused:UNUSED_PAD src0_sel:WORD_1
	v_cvt_f32_f16_e32 v4, v4
	v_addc_co_u32_e32 v3, vcc, 0, v3, vcc
	v_lshlrev_b64 v[2:3], 3, v[2:3]
	v_mov_b32_e32 v0, s99
	v_add_co_u32_e32 v2, vcc, s91, v2
	v_addc_co_u32_e32 v3, vcc, v0, v3, vcc
	v_pk_add_f32 v[4:5], v[4:5], 0 op_sel_hi:[1,0]
	global_store_dwordx2 v[2:3], v[4:5], off offset:256
	v_mov_b32_e32 v2, 0
.LBB14_156:                             ;   in Loop: Header=BB14_15 Depth=1
	s_or_b64 exec, exec, s[8:9]
	v_cmp_gt_i32_e32 vcc, 50, v2
	s_mov_b64 s[50:51], -1
	s_and_saveexec_b64 s[8:9], vcc
; %bb.157:                              ;   in Loop: Header=BB14_15 Depth=1
	v_cmp_eq_u32_e32 vcc, 0, v2
	s_orn2_b64 s[50:51], vcc, exec
; %bb.158:                              ;   in Loop: Header=BB14_15 Depth=1
	s_or_b64 exec, exec, s[8:9]
	s_mov_b64 s[8:9], 0
	s_mov_b64 s[44:45], 0
                                        ; implicit-def: $vgpr2_vgpr3
	s_and_saveexec_b64 s[40:41], s[50:51]
	s_cbranch_execz .LBB14_174
; %bb.159:                              ;   in Loop: Header=BB14_15 Depth=1
	v_mov_b32_e32 v2, 50
	s_mov_b64 s[44:45], exec
	v_readlane_b32 s50, v255, 15
	v_readlane_b32 s51, v255, 16
	s_and_b64 s[50:51], s[44:45], s[50:51]
	s_mov_b64 exec, s[50:51]
	s_cbranch_execz .LBB14_161
; %bb.160:                              ;   in Loop: Header=BB14_15 Depth=1
	buffer_load_dword v2, off, s[0:3], 0 offset:20 ; 4-byte Folded Reload
	v_mul_lo_u32 v0, v31, s89
	v_ashrrev_i32_e32 v3, 31, v0
	s_waitcnt vmcnt(0)
	ds_read_b32 v4, v2 offset:128
	v_add_co_u32_e32 v2, vcc, v0, v32
	v_addc_co_u32_e32 v3, vcc, 0, v3, vcc
	s_waitcnt lgkmcnt(0)
	v_cvt_f32_f16_sdwa v5, v4 dst_sel:DWORD dst_unused:UNUSED_PAD src0_sel:WORD_1
	v_cvt_f32_f16_e32 v4, v4
	v_lshlrev_b64 v[2:3], 3, v[2:3]
	v_mov_b32_e32 v0, s99
	v_add_co_u32_e32 v2, vcc, s91, v2
	v_addc_co_u32_e32 v3, vcc, v0, v3, vcc
	v_pk_add_f32 v[4:5], v[4:5], 0 op_sel_hi:[1,0]
	global_store_dwordx2 v[2:3], v[4:5], off offset:256
	v_mov_b32_e32 v2, 0
.LBB14_161:                             ;   in Loop: Header=BB14_15 Depth=1
	s_or_b64 exec, exec, s[44:45]
	v_cmp_gt_i32_e32 vcc, 50, v2
	s_mov_b64 s[66:67], -1
	s_and_saveexec_b64 s[44:45], vcc
; %bb.162:                              ;   in Loop: Header=BB14_15 Depth=1
	v_cmp_eq_u32_e32 vcc, 0, v2
	s_orn2_b64 s[66:67], vcc, exec
; %bb.163:                              ;   in Loop: Header=BB14_15 Depth=1
	s_or_b64 exec, exec, s[44:45]
	s_mov_b64 s[50:51], 0
                                        ; implicit-def: $vgpr2_vgpr3
	s_and_saveexec_b64 s[44:45], s[66:67]
	s_cbranch_execz .LBB14_173
; %bb.164:                              ;   in Loop: Header=BB14_15 Depth=1
	v_mov_b32_e32 v2, 50
	s_mov_b64 s[50:51], exec
	v_readlane_b32 s66, v255, 17
	v_readlane_b32 s67, v255, 18
	s_and_b64 s[66:67], s[50:51], s[66:67]
	s_mov_b64 exec, s[66:67]
	s_cbranch_execz .LBB14_166
; %bb.165:                              ;   in Loop: Header=BB14_15 Depth=1
	v_mul_lo_u32 v0, v1, s89
	buffer_load_dword v1, off, s[0:3], 0 offset:64 ; 4-byte Folded Reload
	v_ashrrev_i32_e32 v3, 31, v0
	v_add_co_u32_e32 v2, vcc, v0, v32
	v_addc_co_u32_e32 v3, vcc, 0, v3, vcc
	v_lshlrev_b64 v[2:3], 3, v[2:3]
	v_mov_b32_e32 v0, s99
	v_add_co_u32_e32 v2, vcc, s91, v2
	v_addc_co_u32_e32 v3, vcc, v0, v3, vcc
	s_waitcnt vmcnt(0)
	ds_read_b32 v1, v1 offset:128
	s_waitcnt lgkmcnt(0)
	v_cvt_f32_f16_sdwa v5, v1 dst_sel:DWORD dst_unused:UNUSED_PAD src0_sel:WORD_1
	v_cvt_f32_f16_e32 v4, v1
	v_pk_add_f32 v[4:5], v[4:5], 0 op_sel_hi:[1,0]
	global_store_dwordx2 v[2:3], v[4:5], off offset:256
	v_mov_b32_e32 v2, 0
.LBB14_166:                             ;   in Loop: Header=BB14_15 Depth=1
	s_or_b64 exec, exec, s[50:51]
	v_cmp_gt_i32_e32 vcc, 50, v2
	s_mov_b64 s[68:69], -1
	s_and_saveexec_b64 s[50:51], vcc
; %bb.167:                              ;   in Loop: Header=BB14_15 Depth=1
	v_cmp_eq_u32_e32 vcc, 0, v2
	s_orn2_b64 s[68:69], vcc, exec
; %bb.168:                              ;   in Loop: Header=BB14_15 Depth=1
	s_or_b64 exec, exec, s[50:51]
	s_mov_b64 s[66:67], 0
                                        ; implicit-def: $vgpr2_vgpr3
	s_and_saveexec_b64 s[50:51], s[68:69]
	s_cbranch_execz .LBB14_172
; %bb.169:                              ;   in Loop: Header=BB14_15 Depth=1
                                        ; implicit-def: $vgpr2_vgpr3
	s_mov_b64 s[68:69], exec
	v_readlane_b32 s70, v255, 19
	v_readlane_b32 s71, v255, 20
	s_and_b64 s[70:71], s[68:69], s[70:71]
	s_xor_b64 s[68:69], s[70:71], s[68:69]
	s_mov_b64 exec, s[70:71]
	s_cbranch_execz .LBB14_171
; %bb.170:                              ;   in Loop: Header=BB14_15 Depth=1
	buffer_load_dword v0, off, s[0:3], 0 offset:72 ; 4-byte Folded Reload
	s_mov_b64 s[66:67], exec
	s_waitcnt vmcnt(0)
	ds_read_b32 v0, v0 offset:128
	s_waitcnt lgkmcnt(0)
	v_cvt_f32_f16_sdwa v3, v0 dst_sel:DWORD dst_unused:UNUSED_PAD src0_sel:WORD_1
	v_cvt_f32_f16_e32 v2, v0
	v_pk_add_f32 v[2:3], v[2:3], 0 op_sel_hi:[1,0]
.LBB14_171:                             ;   in Loop: Header=BB14_15 Depth=1
	s_or_b64 exec, exec, s[68:69]
	s_and_b64 s[66:67], s[66:67], exec
.LBB14_172:                             ;   in Loop: Header=BB14_15 Depth=1
	s_or_b64 exec, exec, s[50:51]
	s_and_b64 s[50:51], s[66:67], exec
.LBB14_173:                             ;   in Loop: Header=BB14_15 Depth=1
	s_or_b64 exec, exec, s[44:45]
	s_and_b64 s[44:45], s[50:51], exec
.LBB14_174:                             ;   in Loop: Header=BB14_15 Depth=1
	s_or_b64 exec, exec, s[40:41]
	s_and_b64 vcc, exec, s[8:9]
	s_cbranch_vccz .LBB14_325
.LBB14_175:                             ;   in Loop: Header=BB14_15 Depth=1
	v_readlane_b32 s8, v254, 35
	s_lshl_b32 s70, s8, 6
	v_add_u32_e32 v248, s70, v57
	v_cmp_gt_i32_e64 s[8:9], s88, v248
	v_writelane_b32 v254, s8, 36
	v_writelane_b32 v254, s9, 37
	v_cmp_le_i32_e32 vcc, s88, v248
	s_and_saveexec_b64 s[8:9], vcc
	s_xor_b64 s[40:41], exec, s[8:9]
	s_cbranch_execz .LBB14_177
; %bb.176:                              ;   in Loop: Header=BB14_15 Depth=1
	ds_write_b32 v155, v191
.LBB14_177:                             ;   in Loop: Header=BB14_15 Depth=1
	s_or_saveexec_b64 s[40:41], s[40:41]
	v_readlane_b32 s66, v254, 29
	s_xor_b64 exec, exec, s[40:41]
	s_cbranch_execz .LBB14_179
; %bb.178:                              ;   in Loop: Header=BB14_15 Depth=1
	v_mad_u64_u32 v[2:3], s[8:9], v248, s96, v[46:47]
	v_ashrrev_i32_e32 v3, 31, v2
	v_lshlrev_b64 v[2:3], 3, v[2:3]
	v_mov_b32_e32 v1, s62
	v_add_co_u32_e32 v2, vcc, s66, v2
	v_addc_co_u32_e32 v3, vcc, v1, v3, vcc
	global_load_dwordx2 v[2:3], v[2:3], off
	s_waitcnt vmcnt(0)
	v_cvt_f16_f32_e32 v1, v2
	v_cvt_f16_f32_e32 v2, v3
	v_pack_b32_f16 v1, v1, v2
	v_pk_mul_f16 v1, v47, v1
	ds_write_b32 v155, v1
.LBB14_179:                             ;   in Loop: Header=BB14_15 Depth=1
	s_or_b64 exec, exec, s[40:41]
	v_add_u32_e32 v247, s70, v235
	v_cmp_gt_i32_e64 s[8:9], s88, v247
	v_writelane_b32 v254, s8, 38
	v_writelane_b32 v254, s9, 39
	v_cmp_le_i32_e32 vcc, s88, v247
	s_and_saveexec_b64 s[8:9], vcc
	s_xor_b64 s[40:41], exec, s[8:9]
	s_cbranch_execz .LBB14_181
; %bb.180:                              ;   in Loop: Header=BB14_15 Depth=1
	ds_write_b32 v155, v191 offset:1664
.LBB14_181:                             ;   in Loop: Header=BB14_15 Depth=1
	s_andn2_saveexec_b64 s[40:41], s[40:41]
	s_cbranch_execz .LBB14_183
; %bb.182:                              ;   in Loop: Header=BB14_15 Depth=1
	v_mad_u64_u32 v[2:3], s[8:9], v247, s96, v[46:47]
	v_ashrrev_i32_e32 v3, 31, v2
	v_lshlrev_b64 v[2:3], 3, v[2:3]
	v_mov_b32_e32 v1, s62
	v_add_co_u32_e32 v2, vcc, s66, v2
	v_addc_co_u32_e32 v3, vcc, v1, v3, vcc
	global_load_dwordx2 v[2:3], v[2:3], off
	s_waitcnt vmcnt(0)
	v_cvt_f16_f32_e32 v1, v2
	v_cvt_f16_f32_e32 v2, v3
	v_pack_b32_f16 v1, v1, v2
	v_pk_mul_f16 v1, v47, v1
	ds_write_b32 v155, v1 offset:1664
.LBB14_183:                             ;   in Loop: Header=BB14_15 Depth=1
	s_or_b64 exec, exec, s[40:41]
	v_add_u32_e32 v246, s70, v157
	v_cmp_gt_i32_e64 s[8:9], s88, v246
	v_writelane_b32 v254, s8, 40
	v_writelane_b32 v254, s9, 41
	v_cmp_le_i32_e32 vcc, s88, v246
	s_and_saveexec_b64 s[8:9], vcc
	s_xor_b64 s[40:41], exec, s[8:9]
	s_cbranch_execz .LBB14_185
; %bb.184:                              ;   in Loop: Header=BB14_15 Depth=1
	ds_write_b32 v155, v191 offset:3328
.LBB14_185:                             ;   in Loop: Header=BB14_15 Depth=1
	s_andn2_saveexec_b64 s[40:41], s[40:41]
	s_cbranch_execz .LBB14_187
; %bb.186:                              ;   in Loop: Header=BB14_15 Depth=1
	v_mad_u64_u32 v[2:3], s[8:9], v246, s96, v[46:47]
	v_ashrrev_i32_e32 v3, 31, v2
	v_lshlrev_b64 v[2:3], 3, v[2:3]
	v_mov_b32_e32 v1, s62
	v_add_co_u32_e32 v2, vcc, s66, v2
	v_addc_co_u32_e32 v3, vcc, v1, v3, vcc
	global_load_dwordx2 v[2:3], v[2:3], off
	s_waitcnt vmcnt(0)
	v_cvt_f16_f32_e32 v1, v2
	v_cvt_f16_f32_e32 v2, v3
	v_pack_b32_f16 v1, v1, v2
	v_pk_mul_f16 v1, v47, v1
	ds_write_b32 v155, v1 offset:3328
.LBB14_187:                             ;   in Loop: Header=BB14_15 Depth=1
	;; [unrolled: 29-line block ×7, first 2 shown]
	s_or_b64 exec, exec, s[40:41]
	v_add_u32_e32 v69, s70, v110
	v_cmp_gt_i32_e64 s[8:9], s88, v69
	v_writelane_b32 v254, s8, 52
	v_writelane_b32 v254, s9, 53
	v_cmp_le_i32_e32 vcc, s88, v69
	s_and_saveexec_b64 s[8:9], vcc
	s_xor_b64 s[40:41], exec, s[8:9]
	s_cbranch_execz .LBB14_209
; %bb.208:                              ;   in Loop: Header=BB14_15 Depth=1
	ds_write_b32 v156, v191 offset:128
.LBB14_209:                             ;   in Loop: Header=BB14_15 Depth=1
	s_andn2_saveexec_b64 s[40:41], s[40:41]
	s_cbranch_execz .LBB14_211
; %bb.210:                              ;   in Loop: Header=BB14_15 Depth=1
	v_mul_lo_u32 v1, v69, s96
	v_ashrrev_i32_e32 v3, 31, v1
	v_add_co_u32_e32 v2, vcc, v1, v32
	v_addc_co_u32_e32 v3, vcc, 0, v3, vcc
	v_lshlrev_b64 v[2:3], 3, v[2:3]
	v_mov_b32_e32 v1, s62
	v_add_co_u32_e32 v2, vcc, s66, v2
	v_addc_co_u32_e32 v3, vcc, v1, v3, vcc
	global_load_dwordx2 v[2:3], v[2:3], off offset:256
	s_waitcnt vmcnt(0)
	v_cvt_f16_f32_e32 v1, v2
	v_cvt_f16_f32_e32 v2, v3
	v_pack_b32_f16 v1, v1, v2
	v_pk_mul_f16 v1, v47, v1
	ds_write_b32 v156, v1 offset:128
.LBB14_211:                             ;   in Loop: Header=BB14_15 Depth=1
	s_or_b64 exec, exec, s[40:41]
	v_add_u32_e32 v67, s70, v163
	v_cmp_gt_i32_e64 s[8:9], s88, v67
	v_writelane_b32 v254, s8, 54
	v_writelane_b32 v254, s9, 55
	v_cmp_le_i32_e32 vcc, s88, v67
	s_and_saveexec_b64 s[8:9], vcc
	s_xor_b64 s[40:41], exec, s[8:9]
	s_cbranch_execz .LBB14_213
; %bb.212:                              ;   in Loop: Header=BB14_15 Depth=1
	ds_write_b32 v156, v191 offset:3456
.LBB14_213:                             ;   in Loop: Header=BB14_15 Depth=1
	s_andn2_saveexec_b64 s[40:41], s[40:41]
	s_cbranch_execz .LBB14_215
; %bb.214:                              ;   in Loop: Header=BB14_15 Depth=1
	v_mul_lo_u32 v1, v67, s96
	v_ashrrev_i32_e32 v3, 31, v1
	v_add_co_u32_e32 v2, vcc, v1, v32
	v_addc_co_u32_e32 v3, vcc, 0, v3, vcc
	v_lshlrev_b64 v[2:3], 3, v[2:3]
	v_mov_b32_e32 v1, s62
	v_add_co_u32_e32 v2, vcc, s66, v2
	v_addc_co_u32_e32 v3, vcc, v1, v3, vcc
	global_load_dwordx2 v[2:3], v[2:3], off offset:256
	s_waitcnt vmcnt(0)
	v_cvt_f16_f32_e32 v1, v2
	v_cvt_f16_f32_e32 v2, v3
	v_pack_b32_f16 v1, v1, v2
	v_pk_mul_f16 v1, v47, v1
	ds_write_b32 v156, v1 offset:3456
.LBB14_215:                             ;   in Loop: Header=BB14_15 Depth=1
	;; [unrolled: 31-line block ×4, first 2 shown]
	s_or_b64 exec, exec, s[40:41]
	s_waitcnt lgkmcnt(0)
	s_barrier
	ds_read2_b64 v[10:13], v111 offset1:4
	ds_read2_b64 v[6:9], v111 offset0:8 offset1:12
	ds_read2_b64 v[2:5], v111 offset0:16 offset1:20
	v_readlane_b32 s8, v253, 34
	s_mov_b32 s50, 0
	s_cmp_lt_i32 s8, 2
	v_mov_b32_e32 v174, 0
	v_cmp_ne_u64_e64 s[66:67], 0, v[60:61]
	s_waitcnt lgkmcnt(0)
	s_barrier
	s_cbranch_scc1 .LBB14_238
; %bb.224:                              ;   in Loop: Header=BB14_15 Depth=1
	s_add_i32 s50, s8, -1
	v_add_u32_e32 v1, s70, v109
	v_readlane_b32 s8, v253, 13
	v_mul_hi_u32 v14, s8, v1
	v_readlane_b32 s9, v253, 14
	v_add_u32_e32 v14, v1, v14
	v_lshrrev_b32_e32 v14, s9, v14
	v_mul_lo_u32 v14, v14, s88
	v_sub_u32_e32 v14, v1, v14
	v_add_u32_e32 v1, s70, v192
	v_mul_hi_u32 v15, s8, v1
	buffer_load_dword v0, off, s[0:3], 0 offset:28 ; 4-byte Folded Reload
	v_add_u32_e32 v15, v1, v15
	v_lshrrev_b32_e32 v15, s9, v15
	v_mul_lo_u32 v15, v15, s88
	v_sub_u32_e32 v15, v1, v15
	v_add_u32_e32 v1, s70, v194
	v_mul_hi_u32 v16, s8, v1
	v_add_u32_e32 v16, v1, v16
	v_lshrrev_b32_e32 v16, s9, v16
	v_mul_lo_u32 v16, v16, s88
	v_sub_u32_e32 v16, v1, v16
	v_add_u32_e32 v1, s70, v196
	v_mul_hi_u32 v17, s8, v1
	v_add_u32_e32 v17, v1, v17
	v_lshrrev_b32_e32 v17, s9, v17
	v_mul_lo_u32 v17, v17, s88
	v_sub_u32_e32 v17, v1, v17
	v_add_u32_e32 v1, s70, v198
	v_mul_hi_u32 v18, s8, v1
	v_add_u32_e32 v18, v1, v18
	v_lshrrev_b32_e32 v18, s9, v18
	v_mul_lo_u32 v18, v18, s88
	v_sub_u32_e32 v18, v1, v18
	v_add_u32_e32 v1, s70, v200
	v_mul_hi_u32 v19, s8, v1
	v_add_u32_e32 v19, v1, v19
	v_lshrrev_b32_e32 v19, s9, v19
	v_mul_lo_u32 v19, v19, s88
	v_sub_u32_e32 v19, v1, v19
	v_add_u32_e32 v1, s70, v202
	v_mul_hi_u32 v20, s8, v1
	v_add_u32_e32 v20, v1, v20
	v_lshrrev_b32_e32 v20, s9, v20
	v_mul_lo_u32 v20, v20, s88
	v_sub_u32_e32 v20, v1, v20
	v_add_u32_e32 v1, s70, v204
	v_mul_hi_u32 v21, s8, v1
	v_add_u32_e32 v21, v1, v21
	v_lshrrev_b32_e32 v21, s9, v21
	v_mul_lo_u32 v21, v21, s88
	v_sub_u32_e32 v21, v1, v21
	v_add_u32_e32 v1, s70, v206
	v_mul_hi_u32 v22, s8, v1
	v_add_u32_e32 v22, v1, v22
	v_lshrrev_b32_e32 v22, s9, v22
	v_mul_lo_u32 v22, v22, s88
	v_sub_u32_e32 v22, v1, v22
	v_add_u32_e32 v1, s70, v208
	v_mul_hi_u32 v23, s8, v1
	v_add_u32_e32 v23, v1, v23
	v_lshrrev_b32_e32 v23, s9, v23
	v_mul_lo_u32 v23, v23, s88
	v_sub_u32_e32 v23, v1, v23
	v_add_u32_e32 v1, s70, v210
	v_mul_hi_u32 v24, s8, v1
	v_add_u32_e32 v24, v1, v24
	v_lshrrev_b32_e32 v24, s9, v24
	v_mul_lo_u32 v24, v24, s88
	v_sub_u32_e32 v24, v1, v24
	v_add_u32_e32 v1, s70, v212
	v_mul_hi_u32 v25, s8, v1
	v_add_u32_e32 v25, v1, v25
	v_lshrrev_b32_e32 v25, s9, v25
	v_mul_lo_u32 v25, v25, s88
	v_sub_u32_e32 v25, v1, v25
	v_add_u32_e32 v1, s70, v214
	v_mul_hi_u32 v26, s8, v1
	v_add_u32_e32 v26, v1, v26
	v_lshrrev_b32_e32 v26, s9, v26
	v_mul_lo_u32 v26, v26, s88
	v_sub_u32_e32 v26, v1, v26
	v_add_u32_e32 v1, s70, v216
	v_mul_hi_u32 v27, s8, v1
	v_add_u32_e32 v27, v1, v27
	v_lshrrev_b32_e32 v27, s9, v27
	v_mul_lo_u32 v27, v27, s88
	v_sub_u32_e32 v27, v1, v27
	v_add_u32_e32 v1, s70, v218
	v_mul_hi_u32 v28, s8, v1
	v_add_u32_e32 v28, v1, v28
	v_lshrrev_b32_e32 v28, s9, v28
	v_mul_lo_u32 v28, v28, s88
	v_sub_u32_e32 v28, v1, v28
	v_add_u32_e32 v1, s70, v220
	v_mul_hi_u32 v29, s8, v1
	v_add_u32_e32 v29, v1, v29
	v_lshrrev_b32_e32 v29, s9, v29
	v_mul_lo_u32 v29, v29, s88
	v_sub_u32_e32 v29, v1, v29
	v_and_b32_e32 v1, 64, v190
	v_add_u32_e32 v1, 64, v1
	v_xor_b32_e32 v31, 32, v190
	v_cmp_lt_i32_e32 vcc, v31, v1
	v_cndmask_b32_e32 v31, v190, v31, vcc
	v_lshlrev_b32_e32 v249, 2, v31
	v_xor_b32_e32 v31, 16, v190
	v_readlane_b32 s8, v254, 22
	v_readlane_b32 s9, v254, 24
	v_cmp_lt_i32_e32 vcc, v31, v1
	s_add_u32 s8, s8, s9
	v_cndmask_b32_e32 v1, v190, v31, vcc
	s_waitcnt vmcnt(0)
	v_add_co_u32_e32 v64, vcc, s8, v0
	buffer_load_dword v0, off, s[0:3], 0 offset:32 ; 4-byte Folded Reload
	v_readlane_b32 s9, v254, 23
	v_readlane_b32 s40, v254, 25
	s_addc_u32 s9, s9, s40
	v_lshlrev_b32_e32 v250, 2, v1
	v_mov_b32_e32 v1, s9
	v_mov_b32_e32 v31, s9
	;; [unrolled: 1-line block ×3, first 2 shown]
	v_readlane_b32 s9, v254, 32
	v_readlane_b32 s40, v254, 33
	v_mov_b32_e32 v160, 0
	v_mov_b32_e32 v62, v178
	;; [unrolled: 1-line block ×5, first 2 shown]
	s_mov_b32 s51, s50
	v_mov_b32_e32 v170, 0
	v_mov_b32_e32 v176, 0
	;; [unrolled: 1-line block ×11, first 2 shown]
	s_waitcnt vmcnt(0)
	v_addc_co_u32_e32 v1, vcc, v0, v1, vcc
	buffer_load_dword v0, off, s[0:3], 0 offset:36 ; 4-byte Folded Reload
	s_waitcnt vmcnt(0)
	v_add_co_u32_e32 v66, vcc, s8, v0
	buffer_load_dword v0, off, s[0:3], 0 offset:40 ; 4-byte Folded Reload
	s_waitcnt vmcnt(0)
	v_addc_co_u32_e32 v31, vcc, v0, v31, vcc
	buffer_load_dword v0, off, s[0:3], 0 offset:44 ; 4-byte Folded Reload
	s_waitcnt vmcnt(0)
	v_add_co_u32_e32 v68, vcc, s8, v0
	buffer_load_dword v0, off, s[0:3], 0 offset:48 ; 4-byte Folded Reload
	v_readlane_b32 s8, v254, 30
	s_add_u32 s8, s8, s9
	v_readlane_b32 s9, v254, 31
	s_addc_u32 s9, s9, s40
	v_mov_b32_e32 v35, s9
	v_mov_b32_e32 v37, s9
	;; [unrolled: 1-line block ×3, first 2 shown]
	s_waitcnt vmcnt(0)
	v_addc_co_u32_e32 v33, vcc, v0, v33, vcc
	buffer_load_dword v0, off, s[0:3], 0 offset:52 ; 4-byte Folded Reload
	s_waitcnt vmcnt(0)
	v_add_co_u32_e32 v70, vcc, s8, v0
	v_mov_b32_e32 v0, v186
	v_addc_co_u32_e32 v35, vcc, v0, v35, vcc
	v_mov_b32_e32 v0, v187
	v_add_co_u32_e32 v72, vcc, s8, v0
	v_mov_b32_e32 v0, v188
	v_addc_co_u32_e32 v37, vcc, v0, v37, vcc
	v_mov_b32_e32 v0, v184
	v_add_co_u32_e32 v74, vcc, s8, v0
	v_readlane_b32 s8, v253, 56
	v_mov_b32_e32 v0, v185
	v_readlane_b32 s9, v253, 57
	s_mov_b32 s40, s8
	v_addc_co_u32_e32 v39, vcc, v0, v39, vcc
	v_mad_i64_i32 v[76:77], s[8:9], s40, v17, v[60:61]
	v_mad_i64_i32 v[78:79], s[8:9], s40, v16, v[60:61]
	v_mad_i64_i32 v[80:81], s[8:9], s40, v15, v[60:61]
	v_mad_i64_i32 v[82:83], s[8:9], s40, v14, v[60:61]
	v_mad_i64_i32 v[84:85], s[8:9], s40, v21, v[60:61]
	v_mad_i64_i32 v[86:87], s[8:9], s40, v20, v[60:61]
	v_mad_i64_i32 v[88:89], s[8:9], s40, v19, v[60:61]
	v_mad_i64_i32 v[90:91], s[8:9], s40, v18, v[60:61]
	v_mad_i64_i32 v[92:93], s[8:9], s40, v25, v[60:61]
	v_mad_i64_i32 v[94:95], s[8:9], s40, v24, v[60:61]
	v_mad_i64_i32 v[96:97], s[8:9], s40, v23, v[60:61]
	v_mad_i64_i32 v[98:99], s[8:9], s40, v22, v[60:61]
	v_mad_i64_i32 v[100:101], s[8:9], s40, v29, v[60:61]
	v_mad_i64_i32 v[102:103], s[8:9], s40, v28, v[60:61]
	v_mad_i64_i32 v[104:105], s[8:9], s40, v27, v[60:61]
	v_mad_i64_i32 v[106:107], s[8:9], s40, v26, v[60:61]
	v_cndmask_b32_e64 v14, 0, 1, s[66:67]
	v_cmp_ne_u32_e64 s[68:69], 1, v14
	s_andn2_b64 vcc, exec, s[66:67]
	s_cbranch_vccnz .LBB14_234
.LBB14_225:                             ;   in Loop: Header=BB14_15 Depth=1
                                        ; implicit-def: $sgpr8
	s_and_saveexec_b64 s[40:41], s[6:7]
	s_xor_b64 s[40:41], exec, s[40:41]
	s_cbranch_execz .LBB14_227
; %bb.226:                              ;   in Loop: Header=BB14_15 Depth=1
	ds_write_b16 v112, v191 offset:13312
	ds_write_b16 v193, v191 offset:13312
	;; [unrolled: 1-line block ×4, first 2 shown]
	s_mov_b32 s8, 0
.LBB14_227:                             ;   in Loop: Header=BB14_15 Depth=1
	s_or_saveexec_b64 s[40:41], s[40:41]
	v_mov_b32_e32 v14, s8
	v_mov_b32_e32 v15, s8
	;; [unrolled: 1-line block ×4, first 2 shown]
	s_xor_b64 exec, exec, s[40:41]
	s_cbranch_execz .LBB14_229
; %bb.228:                              ;   in Loop: Header=BB14_15 Depth=1
	v_add_co_u32_e32 v14, vcc, v82, v34
	v_addc_co_u32_e32 v15, vcc, 0, v83, vcc
	flat_load_ushort v16, v[14:15]
	v_add_co_u32_e32 v14, vcc, v80, v34
	v_addc_co_u32_e32 v15, vcc, 0, v81, vcc
	flat_load_ushort v17, v[14:15]
	;; [unrolled: 3-line block ×4, first 2 shown]
	s_waitcnt vmcnt(0) lgkmcnt(0)
	ds_write_b16 v112, v16 offset:13312
	ds_write_b16 v193, v17 offset:13312
	;; [unrolled: 1-line block ×4, first 2 shown]
	v_add_co_u32_e32 v14, vcc, v90, v34
	v_addc_co_u32_e32 v15, vcc, 0, v91, vcc
	v_add_co_u32_e32 v16, vcc, v88, v34
	v_addc_co_u32_e32 v17, vcc, 0, v89, vcc
	flat_load_ushort v14, v[14:15]
	s_nop 0
	flat_load_ushort v15, v[16:17]
	v_add_co_u32_e32 v16, vcc, v86, v34
	v_addc_co_u32_e32 v17, vcc, 0, v87, vcc
	v_add_co_u32_e32 v18, vcc, v84, v34
	v_addc_co_u32_e32 v19, vcc, 0, v85, vcc
	flat_load_ushort v16, v[16:17]
	s_nop 0
	flat_load_ushort v17, v[18:19]
.LBB14_229:                             ;   in Loop: Header=BB14_15 Depth=1
	s_or_b64 exec, exec, s[40:41]
	s_waitcnt vmcnt(0) lgkmcnt(0)
	ds_write_b16 v199, v14 offset:13312
	ds_write_b16 v201, v15 offset:13312
	;; [unrolled: 1-line block ×4, first 2 shown]
                                        ; implicit-def: $sgpr8
	s_and_saveexec_b64 s[40:41], s[6:7]
	s_xor_b64 s[40:41], exec, s[40:41]
	s_cbranch_execz .LBB14_231
; %bb.230:                              ;   in Loop: Header=BB14_15 Depth=1
	ds_write_b16 v207, v191 offset:13312
	ds_write_b16 v209, v191 offset:13312
	;; [unrolled: 1-line block ×4, first 2 shown]
	s_mov_b32 s8, 0
.LBB14_231:                             ;   in Loop: Header=BB14_15 Depth=1
	s_or_saveexec_b64 s[40:41], s[40:41]
	v_mov_b32_e32 v14, s8
	v_mov_b32_e32 v15, s8
	;; [unrolled: 1-line block ×4, first 2 shown]
	s_xor_b64 exec, exec, s[40:41]
	s_cbranch_execz .LBB14_233
; %bb.232:                              ;   in Loop: Header=BB14_15 Depth=1
	v_add_co_u32_e32 v14, vcc, v98, v34
	v_addc_co_u32_e32 v15, vcc, 0, v99, vcc
	flat_load_ushort v16, v[14:15]
	v_add_co_u32_e32 v14, vcc, v96, v34
	v_addc_co_u32_e32 v15, vcc, 0, v97, vcc
	flat_load_ushort v17, v[14:15]
	;; [unrolled: 3-line block ×4, first 2 shown]
	s_waitcnt vmcnt(0) lgkmcnt(0)
	ds_write_b16 v207, v16 offset:13312
	ds_write_b16 v209, v17 offset:13312
	;; [unrolled: 1-line block ×4, first 2 shown]
	v_add_co_u32_e32 v14, vcc, v106, v34
	v_addc_co_u32_e32 v15, vcc, 0, v107, vcc
	v_add_co_u32_e32 v16, vcc, v104, v34
	v_addc_co_u32_e32 v17, vcc, 0, v105, vcc
	flat_load_ushort v14, v[14:15]
	s_nop 0
	flat_load_ushort v15, v[16:17]
	v_add_co_u32_e32 v16, vcc, v102, v34
	v_addc_co_u32_e32 v17, vcc, 0, v103, vcc
	v_add_co_u32_e32 v18, vcc, v100, v34
	v_addc_co_u32_e32 v19, vcc, 0, v101, vcc
	flat_load_ushort v16, v[16:17]
	s_nop 0
	flat_load_ushort v17, v[18:19]
.LBB14_233:                             ;   in Loop: Header=BB14_15 Depth=1
	s_or_b64 exec, exec, s[40:41]
	s_waitcnt vmcnt(0) lgkmcnt(0)
	ds_write_b16 v215, v14 offset:13312
	ds_write_b16 v217, v15 offset:13312
	;; [unrolled: 1-line block ×4, first 2 shown]
.LBB14_234:                             ;   Parent Loop BB14_15 Depth=1
                                        ; =>  This Inner Loop Header: Depth=2
	v_mov_b32_e32 v18, s65
	v_mov_b32_e32 v19, s64
	buffer_store_dword v191, off, s[0:3], 0
	buffer_store_dword v191, off, s[0:3], 0 offset:4
	buffer_store_dword v191, off, s[0:3], 0 offset:8
	;; [unrolled: 1-line block ×3, first 2 shown]
	v_cndmask_b32_e64 v15, v18, v35, s[52:53]
	v_cndmask_b32_e64 v14, v19, v70, s[52:53]
	flat_load_dwordx4 v[14:17], v[14:15]
	v_add_u32_e32 v22, 0x800, v117
	v_add_u32_e32 v58, 0x1800, v117
	s_waitcnt vmcnt(0) lgkmcnt(0)
	ds_write_b128 v114, v[14:17]
	v_add_co_u32_e32 v14, vcc, v72, v56
	v_addc_co_u32_e32 v15, vcc, 0, v37, vcc
	v_cndmask_b32_e64 v15, v18, v15, s[10:11]
	v_cndmask_b32_e64 v14, v19, v14, s[10:11]
	flat_load_dwordx4 v[14:17], v[14:15]
	s_waitcnt vmcnt(0) lgkmcnt(0)
	ds_write_b128 v116, v[14:17]
	v_add_co_u32_e32 v14, vcc, v74, v56
	v_addc_co_u32_e32 v15, vcc, 0, v39, vcc
	v_cndmask_b32_e64 v15, v18, v15, s[12:13]
	v_cndmask_b32_e64 v14, v19, v14, s[12:13]
	flat_load_dwordx4 v[14:17], v[14:15]
	s_and_b64 vcc, exec, s[68:69]
	s_waitcnt vmcnt(0) lgkmcnt(0)
	ds_write_b128 v223, v[14:17]
	s_waitcnt lgkmcnt(0)
	s_barrier
	ds_read2_b64 v[14:17], v117 offset1:4
	s_waitcnt lgkmcnt(0)
	v_mfma_f32_16x16x16f16 v[18:21], v[14:15], v[10:11], 0
	v_mfma_f32_16x16x16f16 v[14:17], v[16:17], v[12:13], v[18:21]
	s_nop 7
	s_nop 1
	ds_read2_b64 v[18:21], v117 offset0:8 offset1:12
	s_waitcnt lgkmcnt(0)
	v_mfma_f32_16x16x16f16 v[14:17], v[18:19], v[6:7], v[14:17]
	v_mfma_f32_16x16x16f16 v[14:17], v[20:21], v[8:9], v[14:17]
	ds_read2_b64 v[18:21], v117 offset0:16 offset1:20
	s_waitcnt lgkmcnt(0)
	v_mfma_f32_16x16x16f16 v[14:17], v[18:19], v[2:3], v[14:17]
	v_mfma_f32_16x16x16f16 v[26:29], v[20:21], v[4:5], v[14:17]
	s_nop 7
	s_nop 1
	ds_read2_b64 v[14:17], v22 offset0:160 offset1:164
	s_waitcnt lgkmcnt(0)
	v_mfma_f32_16x16x16f16 v[18:21], v[14:15], v[10:11], 0
	v_mfma_f32_16x16x16f16 v[14:17], v[16:17], v[12:13], v[18:21]
	s_nop 7
	s_nop 1
	ds_read2_b64 v[18:21], v22 offset0:168 offset1:172
	s_waitcnt lgkmcnt(0)
	v_mfma_f32_16x16x16f16 v[14:17], v[18:19], v[6:7], v[14:17]
	v_mfma_f32_16x16x16f16 v[14:17], v[20:21], v[8:9], v[14:17]
	ds_read2_b64 v[18:21], v22 offset0:176 offset1:180
	s_waitcnt lgkmcnt(0)
	v_mfma_f32_16x16x16f16 v[14:17], v[18:19], v[2:3], v[14:17]
	v_mfma_f32_16x16x16f16 v[22:25], v[20:21], v[4:5], v[14:17]
	s_nop 7
	s_nop 1
	ds_read2_b64 v[14:17], v58 offset0:64 offset1:68
	s_waitcnt lgkmcnt(0)
	v_mfma_f32_16x16x16f16 v[18:21], v[14:15], v[10:11], 0
	v_mfma_f32_16x16x16f16 v[14:17], v[16:17], v[12:13], v[18:21]
	s_nop 7
	s_nop 1
	ds_read2_b64 v[18:21], v58 offset0:72 offset1:76
	s_waitcnt lgkmcnt(0)
	v_mfma_f32_16x16x16f16 v[14:17], v[18:19], v[6:7], v[14:17]
	v_mfma_f32_16x16x16f16 v[14:17], v[20:21], v[8:9], v[14:17]
	ds_read2_b64 v[18:21], v58 offset0:80 offset1:84
	v_add_u32_e32 v58, 0x2000, v117
	s_waitcnt lgkmcnt(0)
	v_mfma_f32_16x16x16f16 v[14:17], v[18:19], v[2:3], v[14:17]
	v_mfma_f32_16x16x16f16 v[14:17], v[20:21], v[4:5], v[14:17]
	ds_read2_b64 v[18:21], v58 offset0:224 offset1:228
	s_waitcnt lgkmcnt(0)
	v_mfma_f32_16x16x16f16 v[180:183], v[18:19], v[10:11], 0
	v_mfma_f32_16x16x16f16 v[18:21], v[20:21], v[12:13], v[180:183]
	s_nop 7
	s_nop 1
	ds_read2_b64 v[180:183], v58 offset0:232 offset1:236
	s_waitcnt lgkmcnt(0)
	v_mfma_f32_16x16x16f16 v[18:21], v[180:181], v[6:7], v[18:21]
	v_mfma_f32_16x16x16f16 v[18:21], v[182:183], v[8:9], v[18:21]
	ds_read2_b64 v[180:183], v58 offset0:240 offset1:244
	s_waitcnt lgkmcnt(0)
	s_barrier
	v_mfma_f32_16x16x16f16 v[18:21], v[180:181], v[2:3], v[18:21]
	v_mfma_f32_16x16x16f16 v[18:21], v[182:183], v[4:5], v[18:21]
	s_cbranch_vccnz .LBB14_236
; %bb.235:                              ;   in Loop: Header=BB14_234 Depth=2
	ds_read_b32 v58, v119 offset:13312
	v_mov_b32_e32 v179, v178
	s_waitcnt lgkmcnt(0)
	v_cvt_f32_f16_sdwa v181, v58 dst_sel:DWORD dst_unused:UNUSED_PAD src0_sel:WORD_1
	v_cvt_f32_f16_e32 v180, v58
	ds_read_b32 v58, v140 offset:13312
	v_pk_fma_f32 v[26:27], v[62:63], v[180:181], v[26:27]
	s_waitcnt lgkmcnt(0)
	v_cvt_f32_f16_sdwa v183, v58 dst_sel:DWORD dst_unused:UNUSED_PAD src0_sel:WORD_1
	v_cvt_f32_f16_e32 v182, v58
	v_add_u32_e32 v58, 0x3400, v121
	ds_read2_b32 v[180:181], v58 offset1:1
	v_add_u32_e32 v58, 0x3400, v138
	v_pk_fma_f32 v[28:29], v[178:179], v[182:183], v[28:29]
	s_waitcnt lgkmcnt(0)
	v_cvt_f32_f16_e32 v182, v180
	v_cvt_f32_f16_sdwa v183, v180 dst_sel:DWORD dst_unused:UNUSED_PAD src0_sel:WORD_1
	v_cvt_f32_f16_e32 v180, v181
	v_cvt_f32_f16_sdwa v181, v181 dst_sel:DWORD dst_unused:UNUSED_PAD src0_sel:WORD_1
	v_pk_fma_f32 v[22:23], v[62:63], v[182:183], v[22:23]
	v_pk_fma_f32 v[24:25], v[178:179], v[180:181], v[24:25]
	ds_read2_b32 v[180:181], v58 offset1:1
	v_add_u32_e32 v58, 0x3400, v142
	s_waitcnt lgkmcnt(0)
	v_cvt_f32_f16_e32 v182, v180
	v_cvt_f32_f16_sdwa v183, v180 dst_sel:DWORD dst_unused:UNUSED_PAD src0_sel:WORD_1
	v_cvt_f32_f16_e32 v180, v181
	v_cvt_f32_f16_sdwa v181, v181 dst_sel:DWORD dst_unused:UNUSED_PAD src0_sel:WORD_1
	v_pk_fma_f32 v[14:15], v[62:63], v[182:183], v[14:15]
	v_pk_fma_f32 v[16:17], v[178:179], v[180:181], v[16:17]
	ds_read2_b32 v[180:181], v58 offset1:1
	s_waitcnt lgkmcnt(0)
	v_cvt_f32_f16_e32 v182, v180
	v_cvt_f32_f16_sdwa v183, v180 dst_sel:DWORD dst_unused:UNUSED_PAD src0_sel:WORD_1
	v_cvt_f32_f16_e32 v180, v181
	v_cvt_f32_f16_sdwa v181, v181 dst_sel:DWORD dst_unused:UNUSED_PAD src0_sel:WORD_1
	v_pk_fma_f32 v[18:19], v[62:63], v[182:183], v[18:19]
	v_pk_fma_f32 v[20:21], v[178:179], v[180:181], v[20:21]
.LBB14_236:                             ;   in Loop: Header=BB14_234 Depth=2
	v_add_f32_e32 v58, 0x40051340, v26
	v_max_f32_e32 v179, v59, v59
	v_max_f32_e32 v58, v179, v58
	v_cndmask_b32_e64 v58, v59, v58, s[14:15]
	v_add_f32_e32 v179, 0x40051340, v27
	v_max_f32_e32 v58, v58, v58
	v_max_f32_e32 v58, v58, v179
	v_cndmask_b32_e64 v58, v59, v58, s[14:15]
	;; [unrolled: 4-line block ×16, first 2 shown]
	ds_bpermute_b32 v179, v249, v58
	v_max_f32_e32 v58, v58, v58
	v_cndmask_b32_e64 v28, v28, v28, s[14:15]
	v_cndmask_b32_e64 v29, v29, v29, s[14:15]
	;; [unrolled: 1-line block ×3, first 2 shown]
	s_waitcnt lgkmcnt(0)
	v_max_f32_e32 v179, v179, v179
	v_max_f32_e32 v58, v58, v179
	ds_bpermute_b32 v179, v250, v58
	v_cndmask_b32_e64 v24, v24, v24, s[16:17]
	v_cndmask_b32_e64 v25, v25, v25, s[16:17]
	;; [unrolled: 1-line block ×4, first 2 shown]
	s_waitcnt lgkmcnt(0)
	v_max_f32_e32 v179, v179, v179
	v_max_f32_e32 v58, v58, v179
	v_sub_f32_e32 v26, v26, v58
	v_mul_f32_e32 v179, 0x3fb8aa3b, v26
	v_fma_f32 v180, v26, s48, -v179
	v_rndne_f32_e32 v181, v179
	v_fmac_f32_e32 v180, 0x32a5705f, v26
	v_sub_f32_e32 v179, v179, v181
	v_add_f32_e32 v179, v179, v180
	v_exp_f32_e32 v179, v179
	v_cvt_i32_f32_e32 v180, v181
	v_sub_f32_e32 v27, v27, v58
	v_cmp_ngt_f32_e32 vcc, s49, v26
	v_sub_f32_e32 v22, v22, v58
	v_ldexp_f32 v179, v179, v180
	v_mul_f32_e32 v180, 0x3fb8aa3b, v27
	v_fma_f32 v181, v27, s48, -v180
	v_rndne_f32_e32 v182, v180
	v_fmac_f32_e32 v181, 0x32a5705f, v27
	v_sub_f32_e32 v180, v180, v182
	v_add_f32_e32 v180, v180, v181
	v_exp_f32_e32 v180, v180
	v_cvt_i32_f32_e32 v181, v182
	v_cndmask_b32_e32 v179, 0, v179, vcc
	v_cmp_nlt_f32_e32 vcc, s57, v26
	v_cndmask_b32_e32 v179, v241, v179, vcc
	v_ldexp_f32 v180, v180, v181
	v_cmp_ngt_f32_e32 vcc, s49, v27
	v_cndmask_b32_e32 v180, 0, v180, vcc
	v_cmp_nlt_f32_e32 vcc, s57, v27
	v_cndmask_b32_e32 v180, v241, v180, vcc
	v_mov_b32_e32 v27, s63
	v_cndmask_b32_e64 v26, 0, v179, s[14:15]
	v_add_f32_e32 v179, v179, v180
	v_cndmask_b32_e64 v180, v27, v180, s[14:15]
	v_sub_f32_e32 v27, v28, v58
	v_mul_f32_e32 v28, 0x3fb8aa3b, v27
	v_fma_f32 v181, v27, s48, -v28
	v_rndne_f32_e32 v182, v28
	v_fmac_f32_e32 v181, 0x32a5705f, v27
	v_sub_f32_e32 v28, v28, v182
	v_add_f32_e32 v28, v28, v181
	v_exp_f32_e32 v28, v28
	v_cvt_i32_f32_e32 v181, v182
	v_cmp_ngt_f32_e32 vcc, s49, v27
	v_sub_f32_e32 v23, v23, v58
	v_sub_f32_e32 v14, v14, v58
	v_ldexp_f32 v28, v28, v181
	v_cndmask_b32_e32 v28, 0, v28, vcc
	v_cmp_nlt_f32_e32 vcc, s57, v27
	v_cndmask_b32_e32 v27, v241, v28, vcc
	v_mov_b32_e32 v28, s63
	v_add_f32_e32 v179, v179, v27
	v_cndmask_b32_e64 v181, v28, v27, s[14:15]
	v_sub_f32_e32 v27, v29, v58
	v_mul_f32_e32 v28, 0x3fb8aa3b, v27
	v_fma_f32 v29, v27, s48, -v28
	v_rndne_f32_e32 v182, v28
	v_fmac_f32_e32 v29, 0x32a5705f, v27
	v_sub_f32_e32 v28, v28, v182
	v_add_f32_e32 v28, v28, v29
	v_exp_f32_e32 v28, v28
	v_cvt_i32_f32_e32 v29, v182
	v_cmp_ngt_f32_e32 vcc, s49, v27
	v_sub_f32_e32 v15, v15, v58
	v_cndmask_b32_e64 v17, v17, v17, s[24:25]
	v_ldexp_f32 v28, v28, v29
	v_cndmask_b32_e32 v28, 0, v28, vcc
	v_cmp_nlt_f32_e32 vcc, s57, v27
	v_cndmask_b32_e32 v28, v241, v28, vcc
	v_mov_b32_e32 v27, s63
	v_add_f32_e32 v29, v179, v28
	v_cndmask_b32_e64 v179, v27, v28, s[14:15]
	v_mul_f32_e32 v28, 0x3fb8aa3b, v22
	v_cndmask_b32_e64 v27, 0, v29, s[14:15]
	v_fma_f32 v29, v22, s48, -v28
	v_rndne_f32_e32 v182, v28
	v_fmac_f32_e32 v29, 0x32a5705f, v22
	v_sub_f32_e32 v28, v28, v182
	v_add_f32_e32 v28, v28, v29
	v_exp_f32_e32 v28, v28
	v_cvt_i32_f32_e32 v29, v182
	v_cmp_ngt_f32_e32 vcc, s49, v22
	v_cndmask_b32_e64 v19, v19, v19, s[4:5]
	v_cndmask_b32_e64 v20, v20, v20, s[4:5]
	v_ldexp_f32 v28, v28, v29
	v_cndmask_b32_e32 v28, 0, v28, vcc
	v_cmp_nlt_f32_e32 vcc, s57, v22
	v_cndmask_b32_e32 v28, v241, v28, vcc
	v_add_f32_e32 v29, v28, v27
	v_mov_b32_e32 v22, s63
	v_cndmask_b32_e64 v182, v22, v28, s[16:17]
	v_cndmask_b32_e64 v22, v27, v29, s[16:17]
	v_mul_f32_e32 v27, 0x3fb8aa3b, v23
	v_fma_f32 v28, v23, s48, -v27
	v_rndne_f32_e32 v29, v27
	v_fmac_f32_e32 v28, 0x32a5705f, v23
	v_sub_f32_e32 v27, v27, v29
	v_add_f32_e32 v27, v27, v28
	v_exp_f32_e32 v27, v27
	v_cvt_i32_f32_e32 v28, v29
	v_cmp_ngt_f32_e32 vcc, s49, v23
	buffer_store_dword v191, off, s[0:3], 0
	buffer_store_dword v191, off, s[0:3], 0 offset:4
	buffer_store_dword v191, off, s[0:3], 0 offset:8
	;; [unrolled: 1-line block ×3, first 2 shown]
	s_add_i32 s51, s51, -1
	v_ldexp_f32 v27, v27, v28
	v_cndmask_b32_e32 v27, 0, v27, vcc
	v_cmp_nlt_f32_e32 vcc, s57, v23
	v_cndmask_b32_e32 v27, v241, v27, vcc
	v_add_f32_e32 v28, v27, v22
	v_mov_b32_e32 v23, s63
	v_cndmask_b32_e64 v183, v23, v27, s[18:19]
	v_cndmask_b32_e64 v23, v22, v28, s[18:19]
	v_sub_f32_e32 v22, v24, v58
	v_mul_f32_e32 v24, 0x3fb8aa3b, v22
	v_fma_f32 v27, v22, s48, -v24
	v_rndne_f32_e32 v28, v24
	v_fmac_f32_e32 v27, 0x32a5705f, v22
	v_sub_f32_e32 v24, v24, v28
	v_add_f32_e32 v24, v24, v27
	v_exp_f32_e32 v24, v24
	v_cvt_i32_f32_e32 v27, v28
	v_cmp_ngt_f32_e32 vcc, s49, v22
	s_cmp_lg_u32 s51, 0
	v_ldexp_f32 v24, v24, v27
	v_cndmask_b32_e32 v24, 0, v24, vcc
	v_cmp_nlt_f32_e32 vcc, s57, v22
	v_cndmask_b32_e32 v24, v241, v24, vcc
	v_add_f32_e32 v27, v24, v23
	v_mov_b32_e32 v22, s63
	v_cndmask_b32_e64 v0, v22, v24, s[20:21]
	v_cndmask_b32_e64 v22, v23, v27, s[20:21]
	v_sub_f32_e32 v23, v25, v58
	v_mul_f32_e32 v24, 0x3fb8aa3b, v23
	v_fma_f32 v25, v23, s48, -v24
	v_rndne_f32_e32 v27, v24
	v_fmac_f32_e32 v25, 0x32a5705f, v23
	v_sub_f32_e32 v24, v24, v27
	v_add_f32_e32 v24, v24, v25
	v_exp_f32_e32 v24, v24
	v_cvt_i32_f32_e32 v25, v27
	v_cmp_ngt_f32_e32 vcc, s49, v23
	v_cvt_f16_f32_e32 v0, v0
	v_ldexp_f32 v24, v24, v25
	v_cndmask_b32_e32 v24, 0, v24, vcc
	v_cmp_nlt_f32_e32 vcc, s57, v23
	v_cndmask_b32_e32 v24, v241, v24, vcc
	v_mov_b32_e32 v23, s63
	v_add_f32_e32 v25, v24, v22
	v_cndmask_b32_e64 v240, v23, v24, s[22:23]
	v_mul_f32_e32 v23, 0x3fb8aa3b, v14
	v_cndmask_b32_e64 v22, v22, v25, s[22:23]
	v_fma_f32 v24, v14, s48, -v23
	v_rndne_f32_e32 v25, v23
	v_fmac_f32_e32 v24, 0x32a5705f, v14
	v_sub_f32_e32 v23, v23, v25
	v_add_f32_e32 v23, v23, v24
	v_exp_f32_e32 v23, v23
	v_cvt_i32_f32_e32 v24, v25
	v_cmp_ngt_f32_e32 vcc, s49, v14
	v_ldexp_f32 v23, v23, v24
	v_cndmask_b32_e32 v23, 0, v23, vcc
	v_cmp_nlt_f32_e32 vcc, s57, v14
	v_cndmask_b32_e32 v23, v241, v23, vcc
	v_add_f32_e32 v24, v23, v22
	v_mov_b32_e32 v14, s63
	v_cndmask_b32_e64 v177, v14, v23, s[24:25]
	v_cndmask_b32_e64 v14, v22, v24, s[24:25]
	v_mul_f32_e32 v22, 0x3fb8aa3b, v15
	v_fma_f32 v23, v15, s48, -v22
	v_rndne_f32_e32 v24, v22
	v_fmac_f32_e32 v23, 0x32a5705f, v15
	v_sub_f32_e32 v22, v22, v24
	v_add_f32_e32 v22, v22, v23
	v_exp_f32_e32 v22, v22
	v_cvt_i32_f32_e32 v23, v24
	v_cmp_ngt_f32_e32 vcc, s49, v15
	v_ldexp_f32 v22, v22, v23
	v_cndmask_b32_e32 v22, 0, v22, vcc
	v_cmp_nlt_f32_e32 vcc, s57, v15
	v_cndmask_b32_e32 v22, v241, v22, vcc
	v_add_f32_e32 v23, v22, v14
	v_mov_b32_e32 v15, s63
	v_cndmask_b32_e64 v108, v15, v22, s[26:27]
	v_cndmask_b32_e64 v15, v14, v23, s[26:27]
	v_sub_f32_e32 v14, v16, v58
	v_mul_f32_e32 v16, 0x3fb8aa3b, v14
	v_fma_f32 v22, v14, s48, -v16
	v_rndne_f32_e32 v23, v16
	v_fmac_f32_e32 v22, 0x32a5705f, v14
	v_sub_f32_e32 v16, v16, v23
	v_add_f32_e32 v16, v16, v22
	v_exp_f32_e32 v16, v16
	v_cvt_i32_f32_e32 v22, v23
	v_cmp_ngt_f32_e32 vcc, s49, v14
	v_ldexp_f32 v16, v16, v22
	v_cndmask_b32_e32 v16, 0, v16, vcc
	v_cmp_nlt_f32_e32 vcc, s57, v14
	v_cndmask_b32_e32 v16, v241, v16, vcc
	v_add_f32_e32 v22, v16, v15
	v_mov_b32_e32 v14, s63
	v_cndmask_b32_e64 v173, v14, v16, s[28:29]
	v_cndmask_b32_e64 v14, v15, v22, s[28:29]
	v_sub_f32_e32 v15, v17, v58
	;; [unrolled: 18-line block ×3, first 2 shown]
	v_mul_f32_e32 v16, 0x3fb8aa3b, v14
	v_fma_f32 v17, v14, s48, -v16
	v_rndne_f32_e32 v18, v16
	v_fmac_f32_e32 v17, 0x32a5705f, v14
	v_sub_f32_e32 v16, v16, v18
	v_add_f32_e32 v16, v16, v17
	v_exp_f32_e32 v16, v16
	v_cvt_i32_f32_e32 v17, v18
	v_cmp_ngt_f32_e32 vcc, s49, v14
	v_cndmask_b32_e64 v18, v21, v21, s[4:5]
	v_ldexp_f32 v16, v16, v17
	v_cndmask_b32_e32 v16, 0, v16, vcc
	v_cmp_nlt_f32_e32 vcc, s57, v14
	v_cndmask_b32_e32 v16, v241, v16, vcc
	v_add_f32_e32 v17, v16, v15
	v_mov_b32_e32 v14, s63
	v_cndmask_b32_e64 v164, v14, v16, s[4:5]
	v_cndmask_b32_e64 v14, v15, v17, s[4:5]
	v_sub_f32_e32 v15, v19, v58
	v_mul_f32_e32 v16, 0x3fb8aa3b, v15
	v_fma_f32 v17, v15, s48, -v16
	v_rndne_f32_e32 v19, v16
	v_fmac_f32_e32 v17, 0x32a5705f, v15
	v_sub_f32_e32 v16, v16, v19
	v_add_f32_e32 v16, v16, v17
	v_exp_f32_e32 v16, v16
	v_cvt_i32_f32_e32 v17, v19
	v_cmp_ngt_f32_e32 vcc, s49, v15
	v_ldexp_f32 v16, v16, v17
	v_cndmask_b32_e32 v16, 0, v16, vcc
	v_cmp_nlt_f32_e32 vcc, s57, v15
	v_cndmask_b32_e32 v16, v241, v16, vcc
	v_add_f32_e32 v17, v16, v14
	v_mov_b32_e32 v15, s63
	v_cndmask_b32_e64 v169, v15, v16, s[34:35]
	v_cndmask_b32_e64 v15, v14, v17, s[34:35]
	v_sub_f32_e32 v14, v20, v58
	v_mul_f32_e32 v16, 0x3fb8aa3b, v14
	v_fma_f32 v17, v14, s48, -v16
	v_rndne_f32_e32 v19, v16
	v_fmac_f32_e32 v17, 0x32a5705f, v14
	v_sub_f32_e32 v16, v16, v19
	v_add_f32_e32 v16, v16, v17
	v_exp_f32_e32 v16, v16
	v_cvt_i32_f32_e32 v17, v19
	v_cmp_ngt_f32_e32 vcc, s49, v14
	;; [unrolled: 18-line block ×3, first 2 shown]
	v_ldexp_f32 v16, v16, v17
	v_cndmask_b32_e32 v16, 0, v16, vcc
	v_cmp_nlt_f32_e32 vcc, s57, v15
	v_cndmask_b32_e32 v16, v241, v16, vcc
	v_add_f32_e32 v17, v16, v14
	v_mov_b32_e32 v15, s63
	v_cndmask_b32_e64 v22, v14, v17, s[38:39]
	v_sub_f32_e32 v14, v59, v58
	v_cndmask_b32_e64 v15, v15, v16, s[38:39]
	v_mul_f32_e32 v16, 0x3fb8aa3b, v14
	v_fma_f32 v17, v14, s48, -v16
	v_rndne_f32_e32 v18, v16
	v_fmac_f32_e32 v17, 0x32a5705f, v14
	v_sub_f32_e32 v16, v16, v18
	v_add_f32_e32 v16, v16, v17
	v_exp_f32_e32 v16, v16
	v_cvt_i32_f32_e32 v17, v18
	v_cmp_ngt_f32_e32 vcc, s49, v14
	v_cvt_f16_f32_e32 v15, v15
	v_ldexp_f32 v16, v16, v17
	v_cndmask_b32_e32 v16, 0, v16, vcc
	v_cmp_nlt_f32_e32 vcc, s57, v14
	v_cndmask_b32_e32 v16, v241, v16, vcc
	v_cmp_le_f32_e32 vcc, s97, v14
	v_cndmask_b32_e32 v14, 0, v16, vcc
	v_fmac_f32_e32 v22, v166, v14
	v_cvt_f16_f32_e32 v14, v14
	v_cvt_f16_f32_e32 v16, v180
	v_add_co_u32_e32 v59, vcc, v66, v56
	v_pk_mul_f16 v252, v14, v252 op_sel_hi:[0,1]
	v_pk_mul_f16 v251, v14, v251 op_sel_hi:[0,1]
	;; [unrolled: 1-line block ×12, first 2 shown]
	v_cvt_f16_f32_e32 v14, v26
	v_mov_b32_e32 v26, s64
	v_cndmask_b32_e64 v174, v26, v64, s[52:53]
	v_pack_b32_f16 v20, v14, v16
	v_cvt_f16_f32_e32 v14, v181
	v_cvt_f16_f32_e32 v16, v179
	v_pack_b32_f16 v21, v14, v16
	v_cvt_f16_f32_e32 v14, v182
	v_cvt_f16_f32_e32 v16, v183
	v_pack_b32_f16 v18, v14, v16
	v_cvt_f16_f32_e32 v14, v240
	v_pack_b32_f16 v19, v0, v14
	v_cvt_f16_f32_e32 v0, v177
	v_cvt_f16_f32_e32 v14, v108
	v_addc_co_u32_e32 v108, vcc, 0, v31, vcc
	v_pack_b32_f16 v16, v0, v14
	v_cvt_f16_f32_e32 v0, v173
	v_cvt_f16_f32_e32 v14, v189
	v_pack_b32_f16 v17, v0, v14
	v_cvt_f16_f32_e32 v0, v164
	v_cvt_f16_f32_e32 v14, v169
	v_pack_b32_f16 v14, v0, v14
	v_cvt_f16_f32_e32 v0, v239
	v_pack_b32_f16 v15, v0, v15
	v_mov_b32_e32 v0, s65
	v_cndmask_b32_e64 v175, v0, v1, s[52:53]
	flat_load_dwordx4 v[180:183], v[174:175]
	v_cndmask_b32_e64 v175, v0, v108, s[10:11]
	v_cndmask_b32_e64 v174, v26, v59, s[10:11]
	v_add_co_u32_e32 v59, vcc, v68, v56
	v_addc_co_u32_e32 v108, vcc, 0, v33, vcc
	v_add_co_u32_e32 v64, vcc, s60, v64
	s_waitcnt vmcnt(0) lgkmcnt(0)
	ds_write_b128 v114, v[180:183]
	flat_load_dwordx4 v[180:183], v[174:175]
	v_cndmask_b32_e64 v175, v0, v108, s[12:13]
	v_cndmask_b32_e64 v174, v26, v59, s[12:13]
	s_waitcnt vmcnt(0) lgkmcnt(0)
	ds_write_b128 v116, v[180:183]
	flat_load_dwordx4 v[180:183], v[174:175]
	s_waitcnt vmcnt(0) lgkmcnt(0)
	ds_write_b128 v223, v[180:183]
	s_waitcnt lgkmcnt(0)
	s_barrier
	ds_read_u16 v0, v123 offset:416
	ds_read_u16 v26, v124
	ds_read_u16 v59, v124 offset:32
	v_cvt_f32_f16_e32 v180, v252
	v_cvt_f32_f16_sdwa v181, v252 dst_sel:DWORD dst_unused:UNUSED_PAD src0_sel:WORD_1
	v_cvt_f32_f16_e32 v182, v251
	s_waitcnt lgkmcnt(1)
	v_perm_b32 v175, v26, v0, s56
	ds_read_u16 v0, v143
	ds_read_u16 v26, v143 offset:32
	ds_read_u16 v108, v123 offset:208
	ds_read_u16 v158, v123 offset:240
	v_cvt_f32_f16_sdwa v183, v251 dst_sel:DWORD dst_unused:UNUSED_PAD src0_sel:WORD_1
	ds_read_u16 v168, v143 offset:3328
	ds_read_u16 v169, v123 offset:3536
	;; [unrolled: 1-line block ×4, first 2 shown]
	s_waitcnt lgkmcnt(5)
	v_perm_b32 v174, v108, v0, s56
	s_nop 1
	v_mfma_f32_16x16x16f16 v[180:183], v[174:175], v[20:21], v[180:183]
	s_waitcnt lgkmcnt(0)
	v_perm_b32 v175, v172, v170, s56
	v_perm_b32 v174, v169, v168, s56
	ds_read_u16 v168, v143 offset:6656
	ds_read_u16 v169, v123 offset:6864
	;; [unrolled: 1-line block ×4, first 2 shown]
	s_nop 3
	v_cvt_f16_f32_e32 v0, v180
	v_cvt_f16_f32_e32 v108, v181
	;; [unrolled: 1-line block ×4, first 2 shown]
	v_cvt_f32_f16_e32 v180, v0
	v_cvt_f32_f16_e32 v181, v108
	;; [unrolled: 1-line block ×4, first 2 shown]
	s_nop 1
	v_mfma_f32_16x16x16f16 v[180:183], v[174:175], v[18:19], v[180:183]
	s_waitcnt lgkmcnt(0)
	v_perm_b32 v175, v172, v170, s56
	v_perm_b32 v174, v169, v168, s56
	ds_read_u16 v168, v143 offset:9984
	ds_read_u16 v169, v123 offset:10192
	;; [unrolled: 1-line block ×4, first 2 shown]
	s_nop 3
	v_cvt_f16_f32_e32 v0, v180
	v_cvt_f16_f32_e32 v108, v181
	v_cvt_f16_f32_e32 v160, v182
	v_cvt_f16_f32_e32 v164, v183
	v_cvt_f32_f16_e32 v180, v0
	v_cvt_f32_f16_e32 v181, v108
	;; [unrolled: 1-line block ×4, first 2 shown]
	s_nop 1
	v_mfma_f32_16x16x16f16 v[180:183], v[174:175], v[16:17], v[180:183]
	s_waitcnt lgkmcnt(0)
	v_perm_b32 v175, v172, v170, s56
	v_perm_b32 v174, v169, v168, s56
	s_nop 7
	v_cvt_f16_f32_e32 v0, v180
	v_cvt_f16_f32_e32 v108, v181
	;; [unrolled: 1-line block ×4, first 2 shown]
	v_cvt_f32_f16_e32 v180, v0
	v_cvt_f32_f16_e32 v181, v108
	;; [unrolled: 1-line block ×4, first 2 shown]
	s_nop 1
	v_mfma_f32_16x16x16f16 v[180:183], v[174:175], v[14:15], v[180:183]
	v_perm_b32 v174, v158, v26, s56
	s_nop 7
	s_nop 1
	v_cvt_f16_f32_e32 v0, v180
	v_cvt_f16_f32_e32 v108, v181
	;; [unrolled: 1-line block ×4, first 2 shown]
	v_cvt_f32_f16_e32 v180, v166
	v_pack_b32_f16 v252, v0, v108
	ds_read_u16 v0, v144 offset:416
	v_cvt_f32_f16_sdwa v181, v166 dst_sel:DWORD dst_unused:UNUSED_PAD src0_sel:WORD_1
	v_cvt_f32_f16_e32 v182, v162
	v_cvt_f32_f16_sdwa v183, v162 dst_sel:DWORD dst_unused:UNUSED_PAD src0_sel:WORD_1
	v_pack_b32_f16 v251, v160, v164
	s_waitcnt lgkmcnt(0)
	v_perm_b32 v175, v59, v0, s56
	ds_read_u16 v158, v143 offset:3360
	ds_read_u16 v160, v123 offset:3568
	ds_read_u16 v162, v128 offset:416
	ds_read_u16 v164, v124 offset:3360
	v_mfma_f32_16x16x16f16 v[180:183], v[174:175], v[20:21], v[180:183]
	s_waitcnt lgkmcnt(0)
	v_perm_b32 v175, v164, v162, s56
	v_perm_b32 v174, v160, v158, s56
	ds_read_u16 v158, v143 offset:6688
	ds_read_u16 v160, v123 offset:6896
	ds_read_u16 v162, v129 offset:416
	ds_read_u16 v164, v124 offset:6688
	s_nop 3
	v_cvt_f16_f32_e32 v0, v180
	v_cvt_f16_f32_e32 v26, v181
	;; [unrolled: 1-line block ×4, first 2 shown]
	v_cvt_f32_f16_e32 v180, v0
	v_cvt_f32_f16_e32 v181, v26
	;; [unrolled: 1-line block ×4, first 2 shown]
	s_nop 1
	v_mfma_f32_16x16x16f16 v[180:183], v[174:175], v[18:19], v[180:183]
	s_waitcnt lgkmcnt(0)
	v_perm_b32 v175, v164, v162, s56
	v_perm_b32 v174, v160, v158, s56
	ds_read_u16 v158, v143 offset:10016
	ds_read_u16 v160, v123 offset:10224
	;; [unrolled: 1-line block ×4, first 2 shown]
	s_nop 3
	v_cvt_f16_f32_e32 v0, v180
	v_cvt_f16_f32_e32 v26, v181
	;; [unrolled: 1-line block ×4, first 2 shown]
	v_cvt_f32_f16_e32 v180, v0
	v_cvt_f32_f16_e32 v181, v26
	;; [unrolled: 1-line block ×4, first 2 shown]
	s_nop 1
	v_mfma_f32_16x16x16f16 v[180:183], v[174:175], v[16:17], v[180:183]
	s_waitcnt lgkmcnt(0)
	v_perm_b32 v175, v164, v162, s56
	v_perm_b32 v174, v160, v158, s56
	s_nop 7
	v_cvt_f16_f32_e32 v0, v180
	v_cvt_f16_f32_e32 v26, v181
	;; [unrolled: 1-line block ×4, first 2 shown]
	v_cvt_f32_f16_e32 v180, v0
	v_cvt_f32_f16_e32 v181, v26
	;; [unrolled: 1-line block ×4, first 2 shown]
	s_nop 1
	v_mfma_f32_16x16x16f16 v[180:183], v[174:175], v[14:15], v[180:183]
	s_nop 7
	s_nop 2
	v_cvt_f16_f32_e32 v0, v180
	v_cvt_f16_f32_e32 v26, v181
	;; [unrolled: 1-line block ×4, first 2 shown]
	v_cvt_f32_f16_e32 v182, v171
	v_pack_b32_f16 v162, v0, v26
	v_cvt_f32_f16_sdwa v183, v171 dst_sel:DWORD dst_unused:UNUSED_PAD src0_sel:WORD_1
	v_pack_b32_f16 v172, v59, v108
	ds_read_u16 v0, v143 offset:64
	ds_read_u16 v26, v123 offset:272
	;; [unrolled: 1-line block ×4, first 2 shown]
	v_cvt_f32_f16_e32 v180, v176
	v_cvt_f32_f16_sdwa v181, v176 dst_sel:DWORD dst_unused:UNUSED_PAD src0_sel:WORD_1
	s_waitcnt lgkmcnt(2)
	v_perm_b32 v170, v26, v0, s56
	ds_read_u16 v158, v143 offset:3392
	ds_read_u16 v160, v123 offset:3600
	;; [unrolled: 1-line block ×4, first 2 shown]
	s_waitcnt lgkmcnt(4)
	v_perm_b32 v171, v108, v59, s56
	s_nop 1
	v_mfma_f32_16x16x16f16 v[180:183], v[170:171], v[20:21], v[180:183]
	s_waitcnt lgkmcnt(0)
	v_perm_b32 v171, v166, v164, s56
	v_perm_b32 v170, v160, v158, s56
	ds_read_u16 v158, v143 offset:6720
	ds_read_u16 v160, v123 offset:6928
	;; [unrolled: 1-line block ×4, first 2 shown]
	s_nop 3
	v_cvt_f16_f32_e32 v0, v180
	v_cvt_f16_f32_e32 v26, v181
	;; [unrolled: 1-line block ×4, first 2 shown]
	v_cvt_f32_f16_e32 v180, v0
	v_cvt_f32_f16_e32 v181, v26
	;; [unrolled: 1-line block ×4, first 2 shown]
	s_nop 1
	v_mfma_f32_16x16x16f16 v[180:183], v[170:171], v[18:19], v[180:183]
	s_waitcnt lgkmcnt(0)
	v_perm_b32 v171, v166, v164, s56
	v_perm_b32 v170, v160, v158, s56
	ds_read_u16 v158, v143 offset:10048
	ds_read_u16 v160, v123 offset:10256
	;; [unrolled: 1-line block ×4, first 2 shown]
	s_nop 3
	v_cvt_f16_f32_e32 v0, v180
	v_cvt_f16_f32_e32 v26, v181
	;; [unrolled: 1-line block ×4, first 2 shown]
	v_cvt_f32_f16_e32 v180, v0
	v_cvt_f32_f16_e32 v181, v26
	;; [unrolled: 1-line block ×4, first 2 shown]
	s_nop 1
	v_mfma_f32_16x16x16f16 v[180:183], v[170:171], v[16:17], v[180:183]
	s_waitcnt lgkmcnt(0)
	v_perm_b32 v171, v166, v164, s56
	v_perm_b32 v170, v160, v158, s56
	s_nop 7
	v_cvt_f16_f32_e32 v0, v180
	v_cvt_f16_f32_e32 v26, v181
	;; [unrolled: 1-line block ×4, first 2 shown]
	v_cvt_f32_f16_e32 v180, v0
	v_cvt_f32_f16_e32 v181, v26
	;; [unrolled: 1-line block ×4, first 2 shown]
	s_nop 1
	v_mfma_f32_16x16x16f16 v[180:183], v[170:171], v[14:15], v[180:183]
	s_nop 7
	s_nop 2
	v_cvt_f16_f32_e32 v0, v180
	v_cvt_f16_f32_e32 v26, v181
	;; [unrolled: 1-line block ×4, first 2 shown]
	v_cvt_f32_f16_e32 v180, v29
	v_pack_b32_f16 v176, v0, v26
	v_cvt_f32_f16_sdwa v181, v29 dst_sel:DWORD dst_unused:UNUSED_PAD src0_sel:WORD_1
	v_pack_b32_f16 v171, v59, v108
	ds_read_u16 v0, v143 offset:96
	ds_read_u16 v26, v123 offset:304
	;; [unrolled: 1-line block ×4, first 2 shown]
	v_cvt_f32_f16_e32 v182, v28
	v_cvt_f32_f16_sdwa v183, v28 dst_sel:DWORD dst_unused:UNUSED_PAD src0_sel:WORD_1
	s_waitcnt lgkmcnt(2)
	v_perm_b32 v28, v26, v0, s56
	s_waitcnt lgkmcnt(0)
	v_perm_b32 v29, v108, v59, s56
	ds_read_u16 v59, v143 offset:3424
	ds_read_u16 v108, v123 offset:3632
	ds_read_u16 v158, v135 offset:416
	ds_read_u16 v160, v124 offset:3424
	v_mfma_f32_16x16x16f16 v[180:183], v[28:29], v[20:21], v[180:183]
	s_nop 7
	s_nop 2
	v_cvt_f16_f32_e32 v28, v182
	v_cvt_f16_f32_e32 v29, v183
	v_cvt_f16_f32_e32 v0, v180
	v_cvt_f16_f32_e32 v26, v181
	v_cvt_f32_f16_e32 v182, v28
	v_cvt_f32_f16_e32 v183, v29
	s_waitcnt lgkmcnt(0)
	v_perm_b32 v29, v160, v158, s56
	v_perm_b32 v28, v108, v59, s56
	v_cvt_f32_f16_e32 v180, v0
	v_cvt_f32_f16_e32 v181, v26
	ds_read_u16 v59, v143 offset:6752
	ds_read_u16 v108, v123 offset:6960
	ds_read_u16 v158, v139 offset:416
	ds_read_u16 v160, v124 offset:6752
	v_mfma_f32_16x16x16f16 v[180:183], v[28:29], v[18:19], v[180:183]
	s_nop 7
	s_nop 2
	v_cvt_f16_f32_e32 v28, v182
	v_cvt_f16_f32_e32 v29, v183
	v_cvt_f16_f32_e32 v0, v180
	v_cvt_f16_f32_e32 v26, v181
	v_cvt_f32_f16_e32 v182, v28
	v_cvt_f32_f16_e32 v183, v29
	s_waitcnt lgkmcnt(0)
	v_perm_b32 v29, v160, v158, s56
	v_perm_b32 v28, v108, v59, s56
	v_cvt_f32_f16_e32 v180, v0
	v_cvt_f32_f16_e32 v181, v26
	;; [unrolled: 18-line block ×3, first 2 shown]
	s_nop 1
	v_mfma_f32_16x16x16f16 v[180:183], v[28:29], v[14:15], v[180:183]
	s_nop 7
	s_nop 2
	v_cvt_f16_f32_e32 v0, v180
	v_cvt_f16_f32_e32 v26, v181
	v_cvt_f16_f32_e32 v28, v182
	v_cvt_f16_f32_e32 v29, v183
	v_pack_b32_f16 v160, v0, v26
	ds_read_u16 v0, v143 offset:128
	ds_read_u16 v59, v123 offset:336
	;; [unrolled: 1-line block ×4, first 2 shown]
	v_pack_b32_f16 v170, v28, v29
	v_cvt_f32_f16_e32 v26, v27
	s_waitcnt lgkmcnt(2)
	v_perm_b32 v174, v59, v0, s56
	v_cvt_f32_f16_sdwa v27, v27 dst_sel:DWORD dst_unused:UNUSED_PAD src0_sel:WORD_1
	s_waitcnt lgkmcnt(0)
	v_perm_b32 v175, v158, v108, s56
	v_cvt_f32_f16_e32 v28, v25
	v_cvt_f32_f16_sdwa v29, v25 dst_sel:DWORD dst_unused:UNUSED_PAD src0_sel:WORD_1
	ds_read_u16 v59, v143 offset:3456
	ds_read_u16 v108, v123 offset:3664
	;; [unrolled: 1-line block ×4, first 2 shown]
	v_mfma_f32_16x16x16f16 v[26:29], v[174:175], v[20:21], v[26:29]
	s_waitcnt lgkmcnt(2)
	v_perm_b32 v174, v108, v59, s56
	s_waitcnt lgkmcnt(0)
	v_perm_b32 v175, v164, v158, s56
	ds_read_u16 v59, v143 offset:6784
	ds_read_u16 v108, v123 offset:6992
	;; [unrolled: 1-line block ×4, first 2 shown]
	s_nop 2
	v_cvt_f16_f32_e32 v0, v26
	v_cvt_f16_f32_e32 v25, v27
	;; [unrolled: 1-line block ×4, first 2 shown]
	v_cvt_f32_f16_e32 v26, v0
	v_cvt_f32_f16_e32 v27, v25
	;; [unrolled: 1-line block ×4, first 2 shown]
	s_nop 1
	v_mfma_f32_16x16x16f16 v[26:29], v[174:175], v[18:19], v[26:29]
	s_waitcnt lgkmcnt(0)
	v_perm_b32 v175, v164, v158, s56
	v_perm_b32 v174, v108, v59, s56
	ds_read_u16 v59, v143 offset:10112
	ds_read_u16 v108, v123 offset:10320
	;; [unrolled: 1-line block ×4, first 2 shown]
	s_nop 3
	v_cvt_f16_f32_e32 v0, v26
	v_cvt_f16_f32_e32 v25, v27
	;; [unrolled: 1-line block ×4, first 2 shown]
	v_cvt_f32_f16_e32 v26, v0
	v_cvt_f32_f16_e32 v27, v25
	;; [unrolled: 1-line block ×4, first 2 shown]
	s_nop 1
	v_mfma_f32_16x16x16f16 v[26:29], v[174:175], v[16:17], v[26:29]
	s_waitcnt lgkmcnt(0)
	v_perm_b32 v175, v164, v158, s56
	v_perm_b32 v174, v108, v59, s56
	s_nop 7
	v_cvt_f16_f32_e32 v0, v26
	v_cvt_f16_f32_e32 v25, v27
	;; [unrolled: 1-line block ×4, first 2 shown]
	v_cvt_f32_f16_e32 v26, v0
	v_cvt_f32_f16_e32 v27, v25
	;; [unrolled: 1-line block ×4, first 2 shown]
	s_nop 1
	v_mfma_f32_16x16x16f16 v[26:29], v[174:175], v[14:15], v[26:29]
	s_nop 7
	s_nop 2
	v_cvt_f16_f32_e32 v0, v26
	v_cvt_f16_f32_e32 v25, v27
	;; [unrolled: 1-line block ×4, first 2 shown]
	v_cvt_f32_f16_e32 v28, v23
	v_pack_b32_f16 v168, v0, v25
	ds_read_u16 v0, v143 offset:160
	ds_read_u16 v59, v123 offset:368
	;; [unrolled: 1-line block ×4, first 2 shown]
	v_pack_b32_f16 v175, v26, v27
	v_cvt_f32_f16_e32 v26, v24
	v_cvt_f32_f16_sdwa v27, v24 dst_sel:DWORD dst_unused:UNUSED_PAD src0_sel:WORD_1
	s_waitcnt lgkmcnt(2)
	v_perm_b32 v24, v59, v0, s56
	s_waitcnt lgkmcnt(0)
	v_perm_b32 v25, v108, v25, s56
	v_cvt_f32_f16_sdwa v29, v23 dst_sel:DWORD dst_unused:UNUSED_PAD src0_sel:WORD_1
	s_nop 1
	v_mfma_f32_16x16x16f16 v[24:27], v[24:25], v[20:21], v[26:29]
	s_nop 6
	ds_read_u16 v28, v143 offset:3488
	ds_read_u16 v29, v123 offset:3696
	;; [unrolled: 1-line block ×4, first 2 shown]
	v_cvt_f16_f32_e32 v20, v25
	v_cvt_f16_f32_e32 v21, v26
	;; [unrolled: 1-line block ×4, first 2 shown]
	v_cvt_f32_f16_e32 v25, v20
	v_cvt_f32_f16_e32 v26, v21
	s_waitcnt lgkmcnt(0)
	v_perm_b32 v21, v108, v59, s56
	v_perm_b32 v20, v29, v28, s56
	v_cvt_f32_f16_e32 v24, v0
	v_cvt_f32_f16_e32 v27, v23
	s_nop 1
	v_mfma_f32_16x16x16f16 v[18:21], v[20:21], v[18:19], v[24:27]
	ds_read_u16 v23, v143 offset:6816
	s_nop 5
	ds_read_u16 v24, v123 offset:7024
	ds_read_u16 v25, v153 offset:416
	;; [unrolled: 1-line block ×3, first 2 shown]
	s_waitcnt lgkmcnt(2)
	v_perm_b32 v24, v24, v23, s56
	s_waitcnt lgkmcnt(0)
	v_perm_b32 v25, v26, v25, s56
	v_cvt_f16_f32_e32 v0, v18
	v_cvt_f16_f32_e32 v19, v19
	v_cvt_f16_f32_e32 v20, v20
	v_cvt_f16_f32_e32 v21, v21
	v_cvt_f32_f16_e32 v18, v0
	v_cvt_f32_f16_e32 v19, v19
	;; [unrolled: 1-line block ×4, first 2 shown]
	s_nop 1
	v_mfma_f32_16x16x16f16 v[18:21], v[24:25], v[16:17], v[18:21]
	s_nop 7
	s_nop 2
	v_cvt_f16_f32_e32 v17, v18
	v_cvt_f16_f32_e32 v18, v19
	;; [unrolled: 1-line block ×4, first 2 shown]
	ds_read_u16 v16, v143 offset:10144
	ds_read_u16 v21, v123 offset:10352
	;; [unrolled: 1-line block ×4, first 2 shown]
	v_cvt_f32_f16_e32 v26, v17
	v_cvt_f32_f16_e32 v27, v18
	s_waitcnt lgkmcnt(2)
	v_perm_b32 v16, v21, v16, s56
	v_cvt_f32_f16_e32 v28, v19
	s_waitcnt lgkmcnt(0)
	v_perm_b32 v17, v24, v23, s56
	v_cvt_f32_f16_e32 v29, v20
	s_barrier
	s_nop 0
	v_mfma_f32_16x16x16f16 v[14:17], v[16:17], v[14:15], v[26:29]
	s_nop 7
	s_nop 2
	v_cvt_f16_f32_e32 v0, v14
	v_cvt_f16_f32_e32 v14, v15
	;; [unrolled: 1-line block ×4, first 2 shown]
	v_pack_b32_f16 v158, v0, v14
	v_mov_b32_e32 v0, s61
	v_addc_co_u32_e32 v1, vcc, v1, v0, vcc
	v_add_co_u32_e32 v66, vcc, s60, v66
	v_addc_co_u32_e32 v31, vcc, v31, v0, vcc
	v_add_co_u32_e32 v68, vcc, s60, v68
	;; [unrolled: 2-line block ×3, first 2 shown]
	v_mov_b32_e32 v0, s59
	v_addc_co_u32_e32 v35, vcc, v35, v0, vcc
	v_add_co_u32_e32 v72, vcc, s58, v72
	v_addc_co_u32_e32 v37, vcc, v37, v0, vcc
	v_add_co_u32_e32 v74, vcc, s58, v74
	;; [unrolled: 2-line block ×18, first 2 shown]
	v_pack_b32_f16 v174, v15, v16
	v_addc_co_u32_e32 v107, vcc, 0, v107, vcc
	s_cbranch_scc0 .LBB14_239
; %bb.237:                              ;   in Loop: Header=BB14_234 Depth=2
	v_mov_b32_e32 v166, v22
	v_mov_b32_e32 v59, v58
	v_cndmask_b32_e64 v14, 0, 1, s[66:67]
	v_cmp_ne_u32_e64 s[68:69], 1, v14
	s_andn2_b64 vcc, exec, s[66:67]
	s_cbranch_vccz .LBB14_225
	s_branch .LBB14_234
.LBB14_238:                             ;   in Loop: Header=BB14_15 Depth=1
	v_mov_b32_e32 v22, 0
	v_mov_b32_e32 v58, 0xfeffffff
	;; [unrolled: 1-line block ×13, first 2 shown]
	s_branch .LBB14_240
.LBB14_239:                             ;   in Loop: Header=BB14_15 Depth=1
	v_lshlrev_b32_e32 v164, 4, v109
	v_mov_b32_e32 v240, 0x3ecccdef
	v_mov_b32_e32 v249, 0x37000000
.LBB14_240:                             ;   in Loop: Header=BB14_15 Depth=1
	s_lshl_b32 s62, s50, 6
	v_readlane_b32 s8, v253, 4
	v_cmp_eq_u64_e32 vcc, 0, v[60:61]
	s_sub_i32 s8, s8, s62
	v_cmp_ne_u64_e64 s[72:73], 0, v[60:61]
	v_readlane_b32 s9, v253, 5
	s_cbranch_vccnz .LBB14_258
; %bb.241:                              ;   in Loop: Header=BB14_15 Depth=1
	v_cmp_le_i32_e32 vcc, s8, v30
                                        ; implicit-def: $sgpr9
	s_and_saveexec_b64 s[40:41], vcc
	s_xor_b64 s[40:41], exec, s[40:41]
	s_cbranch_execz .LBB14_243
; %bb.242:                              ;   in Loop: Header=BB14_15 Depth=1
	ds_write_b16 v112, v191 offset:13312
	ds_write_b16 v193, v191 offset:13312
	s_mov_b32 s9, 0
.LBB14_243:                             ;   in Loop: Header=BB14_15 Depth=1
	s_or_saveexec_b64 s[50:51], s[40:41]
	s_lshl_b64 s[40:41], s[62:63], 1
	v_mov_b32_e32 v0, s41
	v_add_co_u32_e64 v1, s[40:41], s40, v60
	v_addc_co_u32_e64 v0, s[40:41], v61, v0, s[40:41]
	v_lshlrev_b32_e32 v14, 1, v30
	v_add_co_u32_e64 v1, s[40:41], v1, v14
	v_addc_co_u32_e64 v14, s[40:41], 0, v0, s[40:41]
	v_mov_b32_e32 v15, s9
	v_mov_b32_e32 v16, s9
	s_xor_b64 exec, exec, s[50:51]
	s_cbranch_execz .LBB14_245
; %bb.244:                              ;   in Loop: Header=BB14_15 Depth=1
	v_add_u32_e32 v0, s70, v109
	v_readlane_b32 s66, v253, 13
	v_mul_hi_u32 v15, s66, v0
	v_readlane_b32 s67, v253, 14
	v_add_u32_e32 v15, v0, v15
	v_lshrrev_b32_e32 v15, s67, v15
	v_mul_lo_u32 v15, v15, s88
	v_sub_u32_e32 v0, v0, v15
	v_mad_i64_i32 v[16:17], s[40:41], v0, s90, 0
	v_lshlrev_b64 v[16:17], 1, v[16:17]
	v_add_co_u32_e64 v16, s[40:41], v1, v16
	v_addc_co_u32_e64 v17, s[40:41], v14, v17, s[40:41]
	v_add_u32_e32 v15, s70, v192
	flat_load_ushort v0, v[16:17]
	v_mul_hi_u32 v16, s66, v15
	v_add_u32_e32 v16, v15, v16
	v_lshrrev_b32_e32 v16, s67, v16
	v_mul_lo_u32 v16, v16, s88
	v_sub_u32_e32 v15, v15, v16
	v_mad_i64_i32 v[16:17], s[40:41], v15, s90, 0
	v_lshlrev_b64 v[16:17], 1, v[16:17]
	v_add_co_u32_e64 v16, s[40:41], v1, v16
	v_addc_co_u32_e64 v17, s[40:41], v14, v17, s[40:41]
	flat_load_ushort v15, v[16:17]
	s_waitcnt vmcnt(0) lgkmcnt(0)
	ds_write_b16 v112, v0 offset:13312
	ds_write_b16 v193, v15 offset:13312
	v_add_u32_e32 v0, s70, v194
	v_mul_hi_u32 v15, s66, v0
	v_add_u32_e32 v15, v0, v15
	v_lshrrev_b32_e32 v15, s67, v15
	v_mul_lo_u32 v15, v15, s88
	v_sub_u32_e32 v0, v0, v15
	v_mad_i64_i32 v[16:17], s[40:41], v0, s90, 0
	v_lshlrev_b64 v[16:17], 1, v[16:17]
	v_add_co_u32_e64 v16, s[40:41], v1, v16
	v_addc_co_u32_e64 v17, s[40:41], v14, v17, s[40:41]
	v_add_u32_e32 v0, s70, v196
	flat_load_ushort v15, v[16:17]
	v_mul_hi_u32 v16, s66, v0
	v_add_u32_e32 v16, v0, v16
	v_lshrrev_b32_e32 v16, s67, v16
	v_mul_lo_u32 v16, v16, s88
	v_sub_u32_e32 v0, v0, v16
	v_mad_i64_i32 v[16:17], s[40:41], v0, s90, 0
	v_lshlrev_b64 v[16:17], 1, v[16:17]
	v_add_co_u32_e64 v16, s[40:41], v1, v16
	v_addc_co_u32_e64 v17, s[40:41], v14, v17, s[40:41]
	flat_load_ushort v16, v[16:17]
.LBB14_245:                             ;   in Loop: Header=BB14_15 Depth=1
	s_or_b64 exec, exec, s[50:51]
	s_waitcnt vmcnt(0) lgkmcnt(0)
	ds_write_b16 v195, v15 offset:13312
	ds_write_b16 v197, v16 offset:13312
                                        ; implicit-def: $sgpr9
	s_and_saveexec_b64 s[40:41], vcc
	s_xor_b64 s[40:41], exec, s[40:41]
	s_cbranch_execz .LBB14_247
; %bb.246:                              ;   in Loop: Header=BB14_15 Depth=1
	ds_write_b16 v199, v191 offset:13312
	ds_write_b16 v201, v191 offset:13312
	s_mov_b32 s9, 0
.LBB14_247:                             ;   in Loop: Header=BB14_15 Depth=1
	s_or_saveexec_b64 s[50:51], s[40:41]
	v_mov_b32_e32 v15, s9
	v_mov_b32_e32 v16, s9
	s_xor_b64 exec, exec, s[50:51]
	s_cbranch_execz .LBB14_249
; %bb.248:                              ;   in Loop: Header=BB14_15 Depth=1
	v_add_u32_e32 v0, s70, v198
	v_readlane_b32 s66, v253, 13
	v_mul_hi_u32 v15, s66, v0
	v_readlane_b32 s67, v253, 14
	v_add_u32_e32 v15, v0, v15
	v_lshrrev_b32_e32 v15, s67, v15
	v_mul_lo_u32 v15, v15, s88
	v_sub_u32_e32 v0, v0, v15
	v_mad_i64_i32 v[16:17], s[40:41], v0, s90, 0
	v_lshlrev_b64 v[16:17], 1, v[16:17]
	v_add_co_u32_e64 v16, s[40:41], v1, v16
	v_addc_co_u32_e64 v17, s[40:41], v14, v17, s[40:41]
	v_add_u32_e32 v15, s70, v200
	flat_load_ushort v0, v[16:17]
	v_mul_hi_u32 v16, s66, v15
	v_add_u32_e32 v16, v15, v16
	v_lshrrev_b32_e32 v16, s67, v16
	v_mul_lo_u32 v16, v16, s88
	v_sub_u32_e32 v15, v15, v16
	v_mad_i64_i32 v[16:17], s[40:41], v15, s90, 0
	v_lshlrev_b64 v[16:17], 1, v[16:17]
	v_add_co_u32_e64 v16, s[40:41], v1, v16
	v_addc_co_u32_e64 v17, s[40:41], v14, v17, s[40:41]
	flat_load_ushort v15, v[16:17]
	s_waitcnt vmcnt(0) lgkmcnt(0)
	ds_write_b16 v199, v0 offset:13312
	ds_write_b16 v201, v15 offset:13312
	v_add_u32_e32 v0, s70, v202
	v_mul_hi_u32 v15, s66, v0
	v_add_u32_e32 v15, v0, v15
	v_lshrrev_b32_e32 v15, s67, v15
	v_mul_lo_u32 v15, v15, s88
	v_sub_u32_e32 v0, v0, v15
	v_mad_i64_i32 v[16:17], s[40:41], v0, s90, 0
	v_lshlrev_b64 v[16:17], 1, v[16:17]
	v_add_co_u32_e64 v16, s[40:41], v1, v16
	v_addc_co_u32_e64 v17, s[40:41], v14, v17, s[40:41]
	v_add_u32_e32 v0, s70, v204
	flat_load_ushort v15, v[16:17]
	v_mul_hi_u32 v16, s66, v0
	v_add_u32_e32 v16, v0, v16
	v_lshrrev_b32_e32 v16, s67, v16
	v_mul_lo_u32 v16, v16, s88
	v_sub_u32_e32 v0, v0, v16
	v_mad_i64_i32 v[16:17], s[40:41], v0, s90, 0
	v_lshlrev_b64 v[16:17], 1, v[16:17]
	v_add_co_u32_e64 v16, s[40:41], v1, v16
	v_addc_co_u32_e64 v17, s[40:41], v14, v17, s[40:41]
	flat_load_ushort v16, v[16:17]
.LBB14_249:                             ;   in Loop: Header=BB14_15 Depth=1
	s_or_b64 exec, exec, s[50:51]
	s_waitcnt vmcnt(0) lgkmcnt(0)
	ds_write_b16 v203, v15 offset:13312
	ds_write_b16 v205, v16 offset:13312
                                        ; implicit-def: $sgpr9
	s_and_saveexec_b64 s[40:41], vcc
	s_xor_b64 s[40:41], exec, s[40:41]
	s_cbranch_execz .LBB14_251
; %bb.250:                              ;   in Loop: Header=BB14_15 Depth=1
	ds_write_b16 v207, v191 offset:13312
	ds_write_b16 v209, v191 offset:13312
	s_mov_b32 s9, 0
.LBB14_251:                             ;   in Loop: Header=BB14_15 Depth=1
	s_or_saveexec_b64 s[50:51], s[40:41]
	v_mov_b32_e32 v15, s9
	v_mov_b32_e32 v16, s9
	s_xor_b64 exec, exec, s[50:51]
	s_cbranch_execz .LBB14_253
; %bb.252:                              ;   in Loop: Header=BB14_15 Depth=1
	v_add_u32_e32 v0, s70, v206
	v_readlane_b32 s66, v253, 13
	v_mul_hi_u32 v15, s66, v0
	v_readlane_b32 s67, v253, 14
	v_add_u32_e32 v15, v0, v15
	v_lshrrev_b32_e32 v15, s67, v15
	v_mul_lo_u32 v15, v15, s88
	v_sub_u32_e32 v0, v0, v15
	v_mad_i64_i32 v[16:17], s[40:41], v0, s90, 0
	v_lshlrev_b64 v[16:17], 1, v[16:17]
	v_add_co_u32_e64 v16, s[40:41], v1, v16
	v_addc_co_u32_e64 v17, s[40:41], v14, v17, s[40:41]
	v_add_u32_e32 v15, s70, v208
	flat_load_ushort v0, v[16:17]
	v_mul_hi_u32 v16, s66, v15
	v_add_u32_e32 v16, v15, v16
	v_lshrrev_b32_e32 v16, s67, v16
	v_mul_lo_u32 v16, v16, s88
	v_sub_u32_e32 v15, v15, v16
	v_mad_i64_i32 v[16:17], s[40:41], v15, s90, 0
	v_lshlrev_b64 v[16:17], 1, v[16:17]
	v_add_co_u32_e64 v16, s[40:41], v1, v16
	v_addc_co_u32_e64 v17, s[40:41], v14, v17, s[40:41]
	flat_load_ushort v15, v[16:17]
	s_waitcnt vmcnt(0) lgkmcnt(0)
	ds_write_b16 v207, v0 offset:13312
	ds_write_b16 v209, v15 offset:13312
	v_add_u32_e32 v0, s70, v210
	v_mul_hi_u32 v15, s66, v0
	v_add_u32_e32 v15, v0, v15
	v_lshrrev_b32_e32 v15, s67, v15
	v_mul_lo_u32 v15, v15, s88
	v_sub_u32_e32 v0, v0, v15
	v_mad_i64_i32 v[16:17], s[40:41], v0, s90, 0
	v_lshlrev_b64 v[16:17], 1, v[16:17]
	v_add_co_u32_e64 v16, s[40:41], v1, v16
	v_addc_co_u32_e64 v17, s[40:41], v14, v17, s[40:41]
	v_add_u32_e32 v0, s70, v212
	flat_load_ushort v15, v[16:17]
	v_mul_hi_u32 v16, s66, v0
	v_add_u32_e32 v16, v0, v16
	v_lshrrev_b32_e32 v16, s67, v16
	v_mul_lo_u32 v16, v16, s88
	v_sub_u32_e32 v0, v0, v16
	v_mad_i64_i32 v[16:17], s[40:41], v0, s90, 0
	v_lshlrev_b64 v[16:17], 1, v[16:17]
	v_add_co_u32_e64 v16, s[40:41], v1, v16
	v_addc_co_u32_e64 v17, s[40:41], v14, v17, s[40:41]
	flat_load_ushort v16, v[16:17]
.LBB14_253:                             ;   in Loop: Header=BB14_15 Depth=1
	s_or_b64 exec, exec, s[50:51]
	s_waitcnt vmcnt(0) lgkmcnt(0)
	ds_write_b16 v211, v15 offset:13312
	ds_write_b16 v213, v16 offset:13312
                                        ; implicit-def: $sgpr9
	s_and_saveexec_b64 s[40:41], vcc
	s_xor_b64 s[40:41], exec, s[40:41]
	s_cbranch_execz .LBB14_255
; %bb.254:                              ;   in Loop: Header=BB14_15 Depth=1
	ds_write_b16 v215, v191 offset:13312
	ds_write_b16 v217, v191 offset:13312
	s_mov_b32 s9, 0
                                        ; implicit-def: $vgpr1
                                        ; implicit-def: $vgpr14
.LBB14_255:                             ;   in Loop: Header=BB14_15 Depth=1
	s_or_saveexec_b64 s[40:41], s[40:41]
	v_mov_b32_e32 v15, s9
	v_mov_b32_e32 v16, s9
	s_xor_b64 exec, exec, s[40:41]
	s_cbranch_execz .LBB14_257
; %bb.256:                              ;   in Loop: Header=BB14_15 Depth=1
	v_add_u32_e32 v0, s70, v214
	v_readlane_b32 s66, v253, 13
	v_mul_hi_u32 v15, s66, v0
	v_readlane_b32 s67, v253, 14
	v_add_u32_e32 v15, v0, v15
	v_lshrrev_b32_e32 v15, s67, v15
	v_mul_lo_u32 v15, v15, s88
	v_sub_u32_e32 v0, v0, v15
	v_mad_i64_i32 v[16:17], s[50:51], v0, s90, 0
	v_lshlrev_b64 v[16:17], 1, v[16:17]
	v_add_co_u32_e32 v16, vcc, v1, v16
	v_addc_co_u32_e32 v17, vcc, v14, v17, vcc
	v_add_u32_e32 v15, s70, v216
	flat_load_ushort v0, v[16:17]
	v_mul_hi_u32 v16, s66, v15
	v_add_u32_e32 v16, v15, v16
	v_lshrrev_b32_e32 v16, s67, v16
	v_mul_lo_u32 v16, v16, s88
	v_sub_u32_e32 v15, v15, v16
	v_mad_i64_i32 v[16:17], s[50:51], v15, s90, 0
	v_lshlrev_b64 v[16:17], 1, v[16:17]
	v_add_co_u32_e32 v16, vcc, v1, v16
	v_addc_co_u32_e32 v17, vcc, v14, v17, vcc
	flat_load_ushort v15, v[16:17]
	s_waitcnt vmcnt(0) lgkmcnt(0)
	ds_write_b16 v215, v0 offset:13312
	ds_write_b16 v217, v15 offset:13312
	v_add_u32_e32 v0, s70, v218
	v_mul_hi_u32 v15, s66, v0
	v_add_u32_e32 v15, v0, v15
	v_lshrrev_b32_e32 v15, s67, v15
	v_mul_lo_u32 v15, v15, s88
	v_sub_u32_e32 v0, v0, v15
	v_mad_i64_i32 v[16:17], s[50:51], v0, s90, 0
	v_lshlrev_b64 v[16:17], 1, v[16:17]
	v_add_co_u32_e32 v16, vcc, v1, v16
	v_addc_co_u32_e32 v17, vcc, v14, v17, vcc
	v_add_u32_e32 v0, s70, v220
	flat_load_ushort v15, v[16:17]
	v_mul_hi_u32 v16, s66, v0
	v_add_u32_e32 v16, v0, v16
	v_lshrrev_b32_e32 v16, s67, v16
	v_mul_lo_u32 v16, v16, s88
	v_sub_u32_e32 v0, v0, v16
	v_mad_i64_i32 v[16:17], s[50:51], v0, s90, 0
	v_lshlrev_b64 v[16:17], 1, v[16:17]
	v_add_co_u32_e32 v16, vcc, v1, v16
	v_addc_co_u32_e32 v17, vcc, v14, v17, vcc
	flat_load_ushort v16, v[16:17]
.LBB14_257:                             ;   in Loop: Header=BB14_15 Depth=1
	s_or_b64 exec, exec, s[40:41]
	s_waitcnt vmcnt(0) lgkmcnt(0)
	ds_write_b16 v219, v15 offset:13312
	ds_write_b16 v221, v16 offset:13312
.LBB14_258:                             ;   in Loop: Header=BB14_15 Depth=1
	s_mul_i32 s9, s62, s47
	s_mul_hi_u32 s40, s62, s46
	s_add_i32 s41, s40, s9
	s_mul_i32 s40, s62, s46
	s_lshl_b64 s[40:41], s[40:41], 2
	s_add_u32 s9, s42, s40
	s_addc_u32 s40, s43, s41
	v_mov_b32_e32 v0, s40
	v_add_co_u32_e32 v1, vcc, s9, v44
	v_addc_co_u32_e32 v0, vcc, v0, v45, vcc
	v_lshlrev_b32_e32 v27, 2, v36
	v_add_co_u32_e32 v1, vcc, v1, v27
	v_addc_co_u32_e32 v0, vcc, 0, v0, vcc
	v_add_co_u32_e32 v1, vcc, s33, v1
	v_addc_co_u32_e32 v0, vcc, 0, v0, vcc
	v_mov_b32_e32 v20, s65
	v_cmp_gt_i32_e64 s[70:71], s8, v113
	v_cndmask_b32_e64 v15, v20, v0, s[70:71]
	v_mov_b32_e32 v0, s64
	buffer_store_dword v191, off, s[0:3], 0
	buffer_store_dword v191, off, s[0:3], 0 offset:4
	buffer_store_dword v191, off, s[0:3], 0 offset:8
	;; [unrolled: 1-line block ×3, first 2 shown]
	v_cndmask_b32_e64 v14, v0, v1, s[70:71]
	flat_load_dwordx4 v[14:17], v[14:15]
	v_mov_b32_e32 v1, s40
	v_add_co_u32_e32 v18, vcc, s9, v52
	v_lshlrev_b32_e32 v25, 2, v38
	v_addc_co_u32_e32 v1, vcc, v1, v53, vcc
	v_add_co_u32_e32 v18, vcc, v18, v25
	v_addc_co_u32_e32 v1, vcc, 0, v1, vcc
	v_cmp_gt_i32_e64 s[68:69], s8, v115
	v_cndmask_b32_e64 v19, v20, v1, s[68:69]
	v_cndmask_b32_e64 v18, v0, v18, s[68:69]
	v_mov_b32_e32 v1, s40
	v_cmp_gt_i32_e64 s[66:67], s8, v222
	v_add_u32_e32 v23, 0x2000, v117
	v_writelane_b32 v254, s91, 60
	s_mov_b32 s43, s99
	s_mov_b32 s42, s98
	s_waitcnt vmcnt(0) lgkmcnt(0)
	ds_write_b128 v114, v[14:17]
	flat_load_dwordx4 v[14:17], v[18:19]
	v_add_co_u32_e32 v18, vcc, s9, v54
	v_addc_co_u32_e32 v1, vcc, v1, v55, vcc
	v_add_co_u32_e32 v18, vcc, v18, v25
	v_addc_co_u32_e32 v1, vcc, 0, v1, vcc
	v_cndmask_b32_e64 v19, v20, v1, s[66:67]
	v_cndmask_b32_e64 v18, v0, v18, s[66:67]
	v_add_u32_e32 v0, 0x800, v117
	v_add_u32_e32 v1, 0x1800, v117
	s_andn2_b64 vcc, exec, s[72:73]
	s_waitcnt vmcnt(0) lgkmcnt(0)
	ds_write_b128 v116, v[14:17]
	flat_load_dwordx4 v[14:17], v[18:19]
	s_waitcnt vmcnt(0) lgkmcnt(0)
	ds_write_b128 v223, v[14:17]
	s_waitcnt lgkmcnt(0)
	s_barrier
	ds_read2_b64 v[14:17], v117 offset1:4
	ds_read2_b64 v[60:63], v0 offset0:160 offset1:164
	ds_read2_b64 v[80:83], v1 offset0:64 offset1:68
	;; [unrolled: 1-line block ×3, first 2 shown]
	s_waitcnt lgkmcnt(3)
	v_mfma_f32_16x16x16f16 v[18:21], v[14:15], v[10:11], 0
	s_waitcnt lgkmcnt(2)
	v_mfma_f32_16x16x16f16 v[76:79], v[60:61], v[10:11], 0
	;; [unrolled: 2-line block ×4, first 2 shown]
	v_mfma_f32_16x16x16f16 v[14:17], v[16:17], v[12:13], v[18:21]
	v_mfma_f32_16x16x16f16 v[18:21], v[62:63], v[12:13], v[76:79]
	;; [unrolled: 1-line block ×3, first 2 shown]
	s_nop 5
	ds_read2_b64 v[76:79], v117 offset0:8 offset1:12
	ds_read2_b64 v[80:83], v0 offset0:168 offset1:172
	v_mfma_f32_16x16x16f16 v[10:13], v[90:91], v[12:13], v[92:95]
	ds_read2_b64 v[84:87], v1 offset0:72 offset1:76
	ds_read2_b64 v[88:91], v23 offset0:232 offset1:236
	s_waitcnt lgkmcnt(3)
	v_mfma_f32_16x16x16f16 v[14:17], v[76:77], v[6:7], v[14:17]
	s_waitcnt lgkmcnt(2)
	v_mfma_f32_16x16x16f16 v[18:21], v[80:81], v[6:7], v[18:21]
	;; [unrolled: 2-line block ×4, first 2 shown]
	v_mfma_f32_16x16x16f16 v[14:17], v[78:79], v[8:9], v[14:17]
	ds_read2_b64 v[76:79], v0 offset0:176 offset1:180
	v_mfma_f32_16x16x16f16 v[18:21], v[82:83], v[8:9], v[18:21]
	ds_read2_b64 v[80:83], v1 offset0:80 offset1:84
	v_mfma_f32_16x16x16f16 v[60:63], v[86:87], v[8:9], v[60:63]
	ds_read2_b64 v[84:87], v23 offset0:240 offset1:244
	v_mfma_f32_16x16x16f16 v[6:9], v[90:91], v[8:9], v[10:13]
	s_nop 6
	ds_read2_b64 v[10:13], v117 offset0:16 offset1:20
	s_waitcnt lgkmcnt(0)
	v_mfma_f32_16x16x16f16 v[14:17], v[10:11], v[2:3], v[14:17]
	s_barrier
	v_mfma_f32_16x16x16f16 v[18:21], v[76:77], v[2:3], v[18:21]
	v_mfma_f32_16x16x16f16 v[60:63], v[80:81], v[2:3], v[60:63]
	;; [unrolled: 1-line block ×7, first 2 shown]
	s_cbranch_vccnz .LBB14_260
; %bb.259:                              ;   in Loop: Header=BB14_15 Depth=1
	ds_read_b32 v0, v119 offset:13312
	s_waitcnt lgkmcnt(0)
	s_nop 1
	v_cvt_f32_f16_sdwa v19, v0 dst_sel:DWORD dst_unused:UNUSED_PAD src0_sel:WORD_1
	v_cvt_f32_f16_e32 v18, v0
	ds_read_b32 v0, v140 offset:13312
	v_pk_fma_f32 v[14:15], v[178:179], v[18:19], v[14:15] op_sel_hi:[0,1,1]
	s_waitcnt lgkmcnt(0)
	v_cvt_f32_f16_sdwa v21, v0 dst_sel:DWORD dst_unused:UNUSED_PAD src0_sel:WORD_1
	v_cvt_f32_f16_e32 v20, v0
	v_add_u32_e32 v0, 0x3400, v121
	ds_read2_b32 v[18:19], v0 offset1:1
	v_add_u32_e32 v0, 0x3400, v138
	v_pk_fma_f32 v[16:17], v[178:179], v[20:21], v[16:17] op_sel_hi:[0,1,1]
	s_waitcnt lgkmcnt(0)
	v_cvt_f32_f16_e32 v20, v18
	v_cvt_f32_f16_sdwa v21, v18 dst_sel:DWORD dst_unused:UNUSED_PAD src0_sel:WORD_1
	v_cvt_f32_f16_e32 v18, v19
	v_cvt_f32_f16_sdwa v19, v19 dst_sel:DWORD dst_unused:UNUSED_PAD src0_sel:WORD_1
	v_pk_fma_f32 v[10:11], v[178:179], v[20:21], v[10:11] op_sel_hi:[0,1,1]
	v_pk_fma_f32 v[12:13], v[178:179], v[18:19], v[12:13] op_sel_hi:[0,1,1]
	ds_read2_b32 v[18:19], v0 offset1:1
	v_add_u32_e32 v0, 0x3400, v142
	s_waitcnt lgkmcnt(0)
	v_cvt_f32_f16_e32 v20, v18
	v_cvt_f32_f16_sdwa v21, v18 dst_sel:DWORD dst_unused:UNUSED_PAD src0_sel:WORD_1
	v_cvt_f32_f16_e32 v18, v19
	v_cvt_f32_f16_sdwa v19, v19 dst_sel:DWORD dst_unused:UNUSED_PAD src0_sel:WORD_1
	v_pk_fma_f32 v[6:7], v[178:179], v[20:21], v[6:7] op_sel_hi:[0,1,1]
	v_pk_fma_f32 v[8:9], v[178:179], v[18:19], v[8:9] op_sel_hi:[0,1,1]
	ds_read2_b32 v[18:19], v0 offset1:1
	s_waitcnt lgkmcnt(0)
	v_cvt_f32_f16_e32 v20, v18
	v_cvt_f32_f16_sdwa v21, v18 dst_sel:DWORD dst_unused:UNUSED_PAD src0_sel:WORD_1
	v_cvt_f32_f16_e32 v18, v19
	v_cvt_f32_f16_sdwa v19, v19 dst_sel:DWORD dst_unused:UNUSED_PAD src0_sel:WORD_1
	v_pk_fma_f32 v[2:3], v[178:179], v[20:21], v[2:3] op_sel_hi:[0,1,1]
	v_pk_fma_f32 v[4:5], v[178:179], v[18:19], v[4:5] op_sel_hi:[0,1,1]
.LBB14_260:                             ;   in Loop: Header=BB14_15 Depth=1
	s_nop 6
	v_add_f32_e32 v0, 0x40051340, v14
	v_max_f32_e32 v1, v58, v58
	v_cmp_gt_u32_e64 s[40:41], s8, v118
	v_max_f32_e32 v0, v1, v0
	v_cndmask_b32_e64 v0, v58, v0, s[40:41]
	v_add_f32_e32 v1, 0x40051340, v15
	v_max_f32_e32 v18, v0, v0
	v_cmp_gt_u32_e64 s[98:99], s8, v227
	v_max_f32_e32 v1, v18, v1
	v_cndmask_b32_e64 v0, v0, v1, s[98:99]
	v_add_f32_e32 v1, 0x40051340, v16
	v_max_f32_e32 v18, v0, v0
	v_cmp_gt_u32_e64 s[96:97], s8, v228
	v_max_f32_e32 v1, v18, v1
	v_cndmask_b32_e64 v0, v0, v1, s[96:97]
	v_add_f32_e32 v1, 0x40051340, v17
	v_max_f32_e32 v18, v0, v0
	v_cmp_gt_u32_e64 s[94:95], s8, v122
	v_max_f32_e32 v1, v18, v1
	v_cndmask_b32_e64 v0, v0, v1, s[94:95]
	v_add_f32_e32 v1, 0x40051340, v10
	v_max_f32_e32 v18, v0, v0
	v_cmp_gt_u32_e64 s[92:93], s8, v120
	v_max_f32_e32 v1, v18, v1
	v_cndmask_b32_e64 v0, v0, v1, s[92:93]
	v_add_f32_e32 v1, 0x40051340, v11
	v_max_f32_e32 v18, v0, v0
	v_cmp_gt_u32_e64 s[90:91], s8, v229
	v_max_f32_e32 v1, v18, v1
	v_cndmask_b32_e64 v0, v0, v1, s[90:91]
	v_add_f32_e32 v1, 0x40051340, v12
	v_max_f32_e32 v18, v0, v0
	v_cmp_gt_u32_e64 s[88:89], s8, v224
	v_max_f32_e32 v1, v18, v1
	v_cndmask_b32_e64 v0, v0, v1, s[88:89]
	v_add_f32_e32 v1, 0x40051340, v13
	v_max_f32_e32 v18, v0, v0
	v_cmp_gt_u32_e64 s[86:87], s8, v230
	v_max_f32_e32 v1, v18, v1
	v_cndmask_b32_e64 v0, v0, v1, s[86:87]
	v_add_f32_e32 v1, 0x40051340, v6
	v_max_f32_e32 v18, v0, v0
	v_cmp_gt_u32_e64 s[84:85], s8, v136
	v_max_f32_e32 v1, v18, v1
	v_cndmask_b32_e64 v0, v0, v1, s[84:85]
	v_add_f32_e32 v1, 0x40051340, v7
	v_max_f32_e32 v18, v0, v0
	v_cmp_gt_u32_e64 s[82:83], s8, v231
	v_max_f32_e32 v1, v18, v1
	v_cndmask_b32_e64 v0, v0, v1, s[82:83]
	v_add_f32_e32 v1, 0x40051340, v8
	v_max_f32_e32 v18, v0, v0
	v_cmp_gt_u32_e64 s[80:81], s8, v225
	v_max_f32_e32 v1, v18, v1
	v_cndmask_b32_e64 v0, v0, v1, s[80:81]
	v_add_f32_e32 v1, 0x40051340, v9
	v_max_f32_e32 v18, v0, v0
	v_cmp_gt_u32_e64 s[78:79], s8, v232
	v_max_f32_e32 v1, v18, v1
	v_cndmask_b32_e64 v0, v0, v1, s[78:79]
	v_add_f32_e32 v1, 0x40051340, v2
	v_max_f32_e32 v18, v0, v0
	v_cmp_gt_u32_e64 s[76:77], s8, v141
	v_max_f32_e32 v1, v18, v1
	v_cndmask_b32_e64 v0, v0, v1, s[76:77]
	v_add_f32_e32 v1, 0x40051340, v3
	v_max_f32_e32 v18, v0, v0
	v_cmp_gt_u32_e64 s[74:75], s8, v233
	v_max_f32_e32 v1, v18, v1
	v_cndmask_b32_e64 v0, v0, v1, s[74:75]
	v_add_f32_e32 v1, 0x40051340, v4
	v_max_f32_e32 v18, v0, v0
	v_cmp_gt_u32_e64 s[72:73], s8, v226
	v_max_f32_e32 v1, v18, v1
	v_cndmask_b32_e64 v0, v0, v1, s[72:73]
	v_add_f32_e32 v1, 0x40051340, v5
	v_max_f32_e32 v18, v0, v0
	v_cmp_gt_u32_e64 s[50:51], s8, v234
	v_max_f32_e32 v1, v18, v1
	v_cndmask_b32_e64 v0, v0, v1, s[50:51]
	v_and_b32_e32 v1, 64, v190
	v_add_u32_e32 v1, 64, v1
	v_xor_b32_e32 v18, 32, v190
	v_cmp_lt_i32_e32 vcc, v18, v1
	v_cndmask_b32_e32 v18, v190, v18, vcc
	v_lshlrev_b32_e32 v19, 2, v18
	ds_bpermute_b32 v18, v19, v0
	v_max_f32_e32 v0, v0, v0
	v_cndmask_b32_e64 v16, v16, v16, s[98:99]
	v_cndmask_b32_e64 v17, v17, v17, s[98:99]
	;; [unrolled: 1-line block ×3, first 2 shown]
	s_waitcnt lgkmcnt(0)
	v_max_f32_e32 v18, v18, v18
	v_max_f32_e32 v0, v0, v18
	v_xor_b32_e32 v18, 16, v190
	v_cmp_lt_i32_e32 vcc, v18, v1
	v_cndmask_b32_e32 v1, v190, v18, vcc
	v_lshlrev_b32_e32 v1, 2, v1
	ds_bpermute_b32 v18, v1, v0
	v_cndmask_b32_e64 v12, v12, v12, s[92:93]
	v_cndmask_b32_e64 v13, v13, v13, s[92:93]
	;; [unrolled: 1-line block ×4, first 2 shown]
	s_waitcnt lgkmcnt(0)
	v_max_f32_e32 v18, v18, v18
	v_max_f32_e32 v18, v0, v18
	v_sub_f32_e32 v0, v14, v18
	v_mul_f32_e32 v14, 0x3fb8aa3b, v0
	v_fma_f32 v20, v0, s48, -v14
	v_rndne_f32_e32 v21, v14
	v_fmac_f32_e32 v20, 0x32a5705f, v0
	v_sub_f32_e32 v14, v14, v21
	v_add_f32_e32 v14, v14, v20
	v_exp_f32_e32 v14, v14
	v_cvt_i32_f32_e32 v20, v21
	v_cmp_ngt_f32_e32 vcc, s49, v0
	v_sub_f32_e32 v16, v16, v18
	v_sub_f32_e32 v10, v10, v18
	v_ldexp_f32 v14, v14, v20
	v_cndmask_b32_e32 v14, 0, v14, vcc
	v_cmp_nlt_f32_e32 vcc, s57, v0
	v_cndmask_b32_e32 v0, v241, v14, vcc
	v_cndmask_b32_e64 v14, 0, v0, s[40:41]
	v_sub_f32_e32 v0, v15, v18
	v_mul_f32_e32 v15, 0x3fb8aa3b, v0
	v_fma_f32 v20, v0, s48, -v15
	v_rndne_f32_e32 v21, v15
	v_fmac_f32_e32 v20, 0x32a5705f, v0
	v_sub_f32_e32 v15, v15, v21
	v_add_f32_e32 v15, v15, v20
	v_exp_f32_e32 v15, v15
	v_cvt_i32_f32_e32 v20, v21
	v_cmp_ngt_f32_e32 vcc, s49, v0
	v_sub_f32_e32 v11, v11, v18
	v_sub_f32_e32 v6, v6, v18
	v_ldexp_f32 v15, v15, v20
	v_cndmask_b32_e32 v15, 0, v15, vcc
	v_cmp_nlt_f32_e32 vcc, s57, v0
	v_cndmask_b32_e32 v0, v241, v15, vcc
	v_add_f32_e32 v20, v0, v14
	v_mov_b32_e32 v15, s63
	v_cndmask_b32_e64 v0, v15, v0, s[98:99]
	v_cndmask_b32_e64 v15, v14, v20, s[98:99]
	v_mul_f32_e32 v20, 0x3fb8aa3b, v16
	v_fma_f32 v21, v16, s48, -v20
	v_rndne_f32_e32 v23, v20
	v_fmac_f32_e32 v21, 0x32a5705f, v16
	v_sub_f32_e32 v20, v20, v23
	v_add_f32_e32 v20, v20, v21
	v_exp_f32_e32 v20, v20
	v_cvt_i32_f32_e32 v21, v23
	v_cmp_ngt_f32_e32 vcc, s49, v16
	v_sub_f32_e32 v7, v7, v18
	v_cndmask_b32_e64 v9, v9, v9, s[84:85]
	v_ldexp_f32 v20, v20, v21
	v_cndmask_b32_e32 v20, 0, v20, vcc
	v_cmp_nlt_f32_e32 vcc, s57, v16
	v_cndmask_b32_e32 v20, v241, v20, vcc
	v_add_f32_e32 v21, v15, v20
	v_mov_b32_e32 v16, s63
	v_cndmask_b32_e64 v28, v16, v20, s[96:97]
	v_cndmask_b32_e64 v16, v15, v21, s[96:97]
	v_sub_f32_e32 v15, v17, v18
	v_mul_f32_e32 v17, 0x3fb8aa3b, v15
	v_fma_f32 v20, v15, s48, -v17
	v_rndne_f32_e32 v21, v17
	v_fmac_f32_e32 v20, 0x32a5705f, v15
	v_sub_f32_e32 v17, v17, v21
	v_add_f32_e32 v17, v17, v20
	v_exp_f32_e32 v17, v17
	v_cvt_i32_f32_e32 v20, v21
	v_cmp_ngt_f32_e32 vcc, s49, v15
	v_sub_f32_e32 v2, v2, v18
	v_cndmask_b32_e64 v3, v3, v3, s[76:77]
	v_ldexp_f32 v17, v17, v20
	v_cndmask_b32_e32 v17, 0, v17, vcc
	v_cmp_nlt_f32_e32 vcc, s57, v15
	v_cndmask_b32_e32 v17, v241, v17, vcc
	v_add_f32_e32 v20, v16, v17
	v_mov_b32_e32 v15, s63
	v_cndmask_b32_e64 v29, v15, v17, s[94:95]
	v_cndmask_b32_e64 v15, v16, v20, s[94:95]
	v_mul_f32_e32 v16, 0x3fb8aa3b, v10
	v_fma_f32 v17, v10, s48, -v16
	v_rndne_f32_e32 v20, v16
	v_fmac_f32_e32 v17, 0x32a5705f, v10
	v_sub_f32_e32 v16, v16, v20
	v_add_f32_e32 v16, v16, v17
	v_exp_f32_e32 v16, v16
	v_cvt_i32_f32_e32 v17, v20
	v_cmp_ngt_f32_e32 vcc, s49, v10
	v_sub_f32_e32 v3, v3, v18
	v_cndmask_b32_e64 v4, v4, v4, s[76:77]
	v_ldexp_f32 v16, v16, v17
	v_cndmask_b32_e32 v16, 0, v16, vcc
	v_cmp_nlt_f32_e32 vcc, s57, v10
	v_cndmask_b32_e32 v16, v241, v16, vcc
	v_add_f32_e32 v17, v16, v15
	v_mov_b32_e32 v10, s63
	v_cndmask_b32_e64 v31, v10, v16, s[92:93]
	v_cndmask_b32_e64 v10, v15, v17, s[92:93]
	v_mul_f32_e32 v15, 0x3fb8aa3b, v11
	v_fma_f32 v16, v11, s48, -v15
	v_rndne_f32_e32 v17, v15
	v_fmac_f32_e32 v16, 0x32a5705f, v11
	v_sub_f32_e32 v15, v15, v17
	v_add_f32_e32 v15, v15, v16
	v_exp_f32_e32 v15, v15
	v_cvt_i32_f32_e32 v16, v17
	v_cmp_ngt_f32_e32 vcc, s49, v11
	v_cndmask_b32_e64 v5, v5, v5, s[76:77]
	s_mov_b32 s97, 0xc1a00000
	v_ldexp_f32 v15, v15, v16
	v_cndmask_b32_e32 v15, 0, v15, vcc
	v_cmp_nlt_f32_e32 vcc, s57, v11
	v_cndmask_b32_e32 v15, v241, v15, vcc
	v_add_f32_e32 v16, v15, v10
	v_mov_b32_e32 v11, s63
	v_cndmask_b32_e64 v33, v11, v15, s[90:91]
	v_cndmask_b32_e64 v11, v10, v16, s[90:91]
	v_sub_f32_e32 v10, v12, v18
	v_mul_f32_e32 v12, 0x3fb8aa3b, v10
	v_fma_f32 v15, v10, s48, -v12
	v_rndne_f32_e32 v16, v12
	v_fmac_f32_e32 v15, 0x32a5705f, v10
	v_sub_f32_e32 v12, v12, v16
	v_add_f32_e32 v12, v12, v15
	v_exp_f32_e32 v12, v12
	v_cvt_i32_f32_e32 v15, v16
	v_cmp_ngt_f32_e32 vcc, s49, v10
	v_cvt_f16_f32_e32 v0, v0
	s_mul_i32 s8, s62, s55
	v_ldexp_f32 v12, v12, v15
	v_cndmask_b32_e32 v12, 0, v12, vcc
	v_cmp_nlt_f32_e32 vcc, s57, v10
	v_cndmask_b32_e32 v12, v241, v12, vcc
	v_add_f32_e32 v15, v12, v11
	v_mov_b32_e32 v10, s63
	v_cndmask_b32_e64 v35, v10, v12, s[88:89]
	v_cndmask_b32_e64 v10, v11, v15, s[88:89]
	v_sub_f32_e32 v11, v13, v18
	v_mul_f32_e32 v12, 0x3fb8aa3b, v11
	v_fma_f32 v13, v11, s48, -v12
	v_rndne_f32_e32 v15, v12
	v_fmac_f32_e32 v13, 0x32a5705f, v11
	v_sub_f32_e32 v12, v12, v15
	v_add_f32_e32 v12, v12, v13
	v_exp_f32_e32 v12, v12
	v_cvt_i32_f32_e32 v13, v15
	v_cmp_ngt_f32_e32 vcc, s49, v11
	s_mul_hi_u32 s9, s62, s54
	s_add_i32 s9, s9, s8
	v_ldexp_f32 v12, v12, v13
	v_cndmask_b32_e32 v12, 0, v12, vcc
	v_cmp_nlt_f32_e32 vcc, s57, v11
	v_cndmask_b32_e32 v12, v241, v12, vcc
	v_mov_b32_e32 v11, s63
	v_add_f32_e32 v13, v12, v10
	v_cndmask_b32_e64 v37, v11, v12, s[86:87]
	v_mul_f32_e32 v11, 0x3fb8aa3b, v6
	v_cndmask_b32_e64 v10, v10, v13, s[86:87]
	v_fma_f32 v12, v6, s48, -v11
	v_rndne_f32_e32 v13, v11
	v_fmac_f32_e32 v12, 0x32a5705f, v6
	v_sub_f32_e32 v11, v11, v13
	v_add_f32_e32 v11, v11, v12
	v_exp_f32_e32 v11, v11
	v_cvt_i32_f32_e32 v12, v13
	v_cmp_ngt_f32_e32 vcc, s49, v6
	s_mul_i32 s8, s62, s54
	s_lshl_b64 s[40:41], s[8:9], 2
	v_ldexp_f32 v11, v11, v12
	v_cndmask_b32_e32 v11, 0, v11, vcc
	v_cmp_nlt_f32_e32 vcc, s57, v6
	v_cndmask_b32_e32 v11, v241, v11, vcc
	v_add_f32_e32 v12, v11, v10
	v_mov_b32_e32 v6, s63
	v_cndmask_b32_e64 v39, v6, v11, s[84:85]
	v_cndmask_b32_e64 v6, v10, v12, s[84:85]
	v_mul_f32_e32 v10, 0x3fb8aa3b, v7
	v_fma_f32 v11, v7, s48, -v10
	v_rndne_f32_e32 v12, v10
	v_fmac_f32_e32 v11, 0x32a5705f, v7
	v_sub_f32_e32 v10, v10, v12
	v_add_f32_e32 v10, v10, v11
	v_exp_f32_e32 v10, v10
	v_cvt_i32_f32_e32 v11, v12
	v_cmp_ngt_f32_e32 vcc, s49, v7
	v_readlane_b32 s8, v254, 34
	s_add_u32 s9, s8, s40
	v_ldexp_f32 v10, v10, v11
	v_cndmask_b32_e32 v10, 0, v10, vcc
	v_cmp_nlt_f32_e32 vcc, s57, v7
	v_cndmask_b32_e32 v10, v241, v10, vcc
	v_add_f32_e32 v11, v10, v6
	v_mov_b32_e32 v7, s63
	v_cndmask_b32_e64 v59, v7, v10, s[82:83]
	v_cndmask_b32_e64 v7, v6, v11, s[82:83]
	v_sub_f32_e32 v6, v8, v18
	v_mul_f32_e32 v8, 0x3fb8aa3b, v6
	v_fma_f32 v10, v6, s48, -v8
	v_rndne_f32_e32 v11, v8
	v_fmac_f32_e32 v10, 0x32a5705f, v6
	v_sub_f32_e32 v8, v8, v11
	v_add_f32_e32 v8, v8, v10
	v_exp_f32_e32 v8, v8
	v_cvt_i32_f32_e32 v10, v11
	v_cmp_ngt_f32_e32 vcc, s49, v6
	v_readlane_b32 s8, v254, 26
	s_addc_u32 s8, s8, s41
	v_ldexp_f32 v8, v8, v10
	v_cndmask_b32_e32 v8, 0, v8, vcc
	v_cmp_nlt_f32_e32 vcc, s57, v6
	v_cndmask_b32_e32 v8, v241, v8, vcc
	v_add_f32_e32 v10, v8, v7
	v_mov_b32_e32 v6, s63
	v_cndmask_b32_e64 v60, v6, v8, s[80:81]
	v_cndmask_b32_e64 v6, v7, v10, s[80:81]
	v_sub_f32_e32 v7, v9, v18
	v_mul_f32_e32 v8, 0x3fb8aa3b, v7
	v_fma_f32 v9, v7, s48, -v8
	v_rndne_f32_e32 v10, v8
	v_fmac_f32_e32 v9, 0x32a5705f, v7
	v_sub_f32_e32 v8, v8, v10
	v_add_f32_e32 v8, v8, v9
	v_exp_f32_e32 v8, v8
	v_cvt_i32_f32_e32 v9, v10
	v_cmp_ngt_f32_e32 vcc, s49, v7
	buffer_store_dword v191, off, s[0:3], 0
	buffer_store_dword v191, off, s[0:3], 0 offset:4
	buffer_store_dword v191, off, s[0:3], 0 offset:8
	;; [unrolled: 1-line block ×3, first 2 shown]
	v_ldexp_f32 v8, v8, v9
	v_cndmask_b32_e32 v8, 0, v8, vcc
	v_cmp_nlt_f32_e32 vcc, s57, v7
	v_cndmask_b32_e32 v8, v241, v8, vcc
	v_mov_b32_e32 v7, s63
	v_add_f32_e32 v9, v8, v6
	v_cndmask_b32_e64 v61, v7, v8, s[78:79]
	v_mul_f32_e32 v7, 0x3fb8aa3b, v2
	v_cndmask_b32_e64 v6, v6, v9, s[78:79]
	v_fma_f32 v8, v2, s48, -v7
	v_rndne_f32_e32 v9, v7
	v_fmac_f32_e32 v8, 0x32a5705f, v2
	v_sub_f32_e32 v7, v7, v9
	v_add_f32_e32 v7, v7, v8
	v_exp_f32_e32 v7, v7
	v_cvt_i32_f32_e32 v8, v9
	v_cmp_ngt_f32_e32 vcc, s49, v2
	v_ldexp_f32 v7, v7, v8
	v_cndmask_b32_e32 v7, 0, v7, vcc
	v_cmp_nlt_f32_e32 vcc, s57, v2
	v_cndmask_b32_e32 v7, v241, v7, vcc
	v_add_f32_e32 v8, v7, v6
	v_mov_b32_e32 v2, s63
	v_cndmask_b32_e64 v62, v2, v7, s[76:77]
	v_cndmask_b32_e64 v2, v6, v8, s[76:77]
	v_mul_f32_e32 v6, 0x3fb8aa3b, v3
	v_fma_f32 v7, v3, s48, -v6
	v_rndne_f32_e32 v8, v6
	v_fmac_f32_e32 v7, 0x32a5705f, v3
	v_sub_f32_e32 v6, v6, v8
	v_add_f32_e32 v6, v6, v7
	v_exp_f32_e32 v6, v6
	v_cvt_i32_f32_e32 v7, v8
	v_cmp_ngt_f32_e32 vcc, s49, v3
	v_ldexp_f32 v6, v6, v7
	v_cndmask_b32_e32 v6, 0, v6, vcc
	v_cmp_nlt_f32_e32 vcc, s57, v3
	v_cndmask_b32_e32 v6, v241, v6, vcc
	v_add_f32_e32 v7, v6, v2
	v_mov_b32_e32 v3, s63
	v_cndmask_b32_e64 v63, v3, v6, s[74:75]
	v_cndmask_b32_e64 v3, v2, v7, s[74:75]
	v_sub_f32_e32 v2, v4, v18
	v_mul_f32_e32 v4, 0x3fb8aa3b, v2
	v_fma_f32 v6, v2, s48, -v4
	v_rndne_f32_e32 v7, v4
	v_fmac_f32_e32 v6, 0x32a5705f, v2
	v_sub_f32_e32 v4, v4, v7
	v_add_f32_e32 v4, v4, v6
	v_exp_f32_e32 v4, v4
	v_cvt_i32_f32_e32 v6, v7
	v_cmp_ngt_f32_e32 vcc, s49, v2
	v_ldexp_f32 v4, v4, v6
	v_cndmask_b32_e32 v4, 0, v4, vcc
	v_cmp_nlt_f32_e32 vcc, s57, v2
	v_cndmask_b32_e32 v4, v241, v4, vcc
	v_add_f32_e32 v6, v4, v3
	v_mov_b32_e32 v2, s63
	v_cndmask_b32_e64 v64, v2, v4, s[72:73]
	v_cndmask_b32_e64 v2, v3, v6, s[72:73]
	v_sub_f32_e32 v3, v5, v18
	v_mul_f32_e32 v4, 0x3fb8aa3b, v3
	v_fma_f32 v5, v3, s48, -v4
	v_rndne_f32_e32 v6, v4
	v_fmac_f32_e32 v5, 0x32a5705f, v3
	v_sub_f32_e32 v4, v4, v6
	v_add_f32_e32 v4, v4, v5
	v_exp_f32_e32 v4, v4
	v_cvt_i32_f32_e32 v5, v6
	v_cmp_ngt_f32_e32 vcc, s49, v3
	v_ldexp_f32 v4, v4, v5
	v_cndmask_b32_e32 v4, 0, v4, vcc
	v_cmp_nlt_f32_e32 vcc, s57, v3
	v_cndmask_b32_e32 v4, v241, v4, vcc
	v_add_f32_e32 v5, v4, v2
	v_mov_b32_e32 v3, s63
	v_cndmask_b32_e64 v23, v2, v5, s[50:51]
	v_sub_f32_e32 v2, v58, v18
	v_cndmask_b32_e64 v3, v3, v4, s[50:51]
	v_mul_f32_e32 v4, 0x3fb8aa3b, v2
	v_fma_f32 v5, v2, s48, -v4
	v_rndne_f32_e32 v6, v4
	v_fmac_f32_e32 v5, 0x32a5705f, v2
	v_sub_f32_e32 v4, v4, v6
	v_add_f32_e32 v4, v4, v5
	v_exp_f32_e32 v4, v4
	v_cvt_i32_f32_e32 v5, v6
	v_cmp_ngt_f32_e32 vcc, s49, v2
	v_cvt_f16_f32_e32 v3, v3
	v_ldexp_f32 v4, v4, v5
	v_cndmask_b32_e32 v4, 0, v4, vcc
	v_cmp_nlt_f32_e32 vcc, s57, v2
	v_cndmask_b32_e32 v4, v241, v4, vcc
	v_cmp_le_f32_e32 vcc, s97, v2
	v_cndmask_b32_e32 v2, 0, v4, vcc
	v_fmac_f32_e32 v23, v22, v2
	v_cvt_f16_f32_e32 v2, v2
	v_pk_mul_f16 v11, v2, v252 op_sel_hi:[0,1]
	v_pk_mul_f16 v10, v2, v251 op_sel_hi:[0,1]
	;; [unrolled: 1-line block ×12, first 2 shown]
	v_cvt_f16_f32_e32 v2, v14
	v_mov_b32_e32 v14, s8
	v_pack_b32_f16 v8, v2, v0
	v_cvt_f16_f32_e32 v0, v28
	v_cvt_f16_f32_e32 v2, v29
	v_pack_b32_f16 v9, v0, v2
	v_cvt_f16_f32_e32 v0, v31
	v_cvt_f16_f32_e32 v2, v33
	;; [unrolled: 3-line block ×6, first 2 shown]
	v_pack_b32_f16 v2, v0, v2
	v_cvt_f16_f32_e32 v0, v64
	v_pack_b32_f16 v3, v0, v3
	v_add_co_u32_e32 v0, vcc, s9, v42
	v_addc_co_u32_e32 v14, vcc, v14, v43, vcc
	v_add_co_u32_e32 v0, vcc, v0, v27
	v_addc_co_u32_e32 v14, vcc, 0, v14, vcc
	;; [unrolled: 2-line block ×3, first 2 shown]
	v_mov_b32_e32 v27, s65
	v_cndmask_b32_e64 v29, v27, v14, s[70:71]
	v_mov_b32_e32 v14, s64
	v_cndmask_b32_e64 v28, v14, v0, s[70:71]
	flat_load_dwordx4 v[58:61], v[28:29]
	v_add_co_u32_e32 v0, vcc, s9, v48
	v_mov_b32_e32 v28, s8
	v_addc_co_u32_e32 v28, vcc, v28, v49, vcc
	v_add_co_u32_e32 v0, vcc, v0, v25
	v_addc_co_u32_e32 v28, vcc, 0, v28, vcc
	v_cndmask_b32_e64 v29, v27, v28, s[68:69]
	v_cndmask_b32_e64 v28, v14, v0, s[68:69]
	v_add_co_u32_e32 v0, vcc, s9, v50
	s_waitcnt vmcnt(0) lgkmcnt(0)
	ds_write_b128 v114, v[58:61]
	flat_load_dwordx4 v[58:61], v[28:29]
	v_mov_b32_e32 v28, s8
	v_addc_co_u32_e32 v28, vcc, v28, v51, vcc
	v_add_co_u32_e32 v0, vcc, v0, v25
	v_addc_co_u32_e32 v25, vcc, 0, v28, vcc
	v_cndmask_b32_e64 v29, v27, v25, s[66:67]
	v_cndmask_b32_e64 v28, v14, v0, s[66:67]
	v_readlane_b32 s8, v254, 27
	v_readlane_b32 s9, v254, 28
	s_cmp_lg_u64 s[8:9], 0
	s_waitcnt vmcnt(0) lgkmcnt(0)
	ds_write_b128 v116, v[58:61]
	flat_load_dwordx4 v[58:61], v[28:29]
	s_waitcnt vmcnt(0) lgkmcnt(0)
	ds_write_b128 v223, v[58:61]
	s_waitcnt lgkmcnt(0)
	s_barrier
	ds_read_u16 v0, v123 offset:416
	v_cvt_f32_f16_e32 v60, v10
	v_cvt_f32_f16_sdwa v61, v10 dst_sel:DWORD dst_unused:UNUSED_PAD src0_sel:WORD_1
	ds_read_u16 v10, v124
	ds_read_u16 v14, v124 offset:32
	v_cvt_f32_f16_e32 v58, v11
	v_cvt_f32_f16_sdwa v59, v11 dst_sel:DWORD dst_unused:UNUSED_PAD src0_sel:WORD_1
	s_waitcnt lgkmcnt(1)
	v_perm_b32 v11, v10, v0, s56
	ds_read_u16 v0, v143
	ds_read_u16 v25, v143 offset:32
	ds_read_u16 v10, v123 offset:208
	;; [unrolled: 1-line block ×7, first 2 shown]
	s_waitcnt lgkmcnt(5)
	v_perm_b32 v10, v10, v0, s56
	s_nop 1
	v_mfma_f32_16x16x16f16 v[58:61], v[10:11], v[8:9], v[58:61]
	s_nop 7
	s_nop 2
	v_cvt_f16_f32_e32 v10, v59
	v_cvt_f16_f32_e32 v11, v60
	;; [unrolled: 1-line block ×4, first 2 shown]
	v_cvt_f32_f16_e32 v59, v10
	v_cvt_f32_f16_e32 v60, v11
	s_waitcnt lgkmcnt(0)
	v_perm_b32 v11, v35, v33, s56
	v_perm_b32 v10, v31, v29, s56
	v_cvt_f32_f16_e32 v58, v0
	v_cvt_f32_f16_e32 v61, v28
	ds_read_u16 v29, v143 offset:6656
	ds_read_u16 v31, v123 offset:6864
	ds_read_u16 v33, v126 offset:416
	ds_read_u16 v35, v124 offset:6656
	v_mfma_f32_16x16x16f16 v[58:61], v[10:11], v[6:7], v[58:61]
	s_nop 7
	s_nop 2
	v_cvt_f16_f32_e32 v10, v59
	v_cvt_f16_f32_e32 v11, v60
	;; [unrolled: 1-line block ×4, first 2 shown]
	v_cvt_f32_f16_e32 v59, v10
	v_cvt_f32_f16_e32 v60, v11
	s_waitcnt lgkmcnt(0)
	v_perm_b32 v11, v35, v33, s56
	v_perm_b32 v10, v31, v29, s56
	v_cvt_f32_f16_e32 v58, v0
	v_cvt_f32_f16_e32 v61, v28
	ds_read_u16 v29, v143 offset:9984
	ds_read_u16 v31, v123 offset:10192
	;; [unrolled: 1-line block ×4, first 2 shown]
	v_mfma_f32_16x16x16f16 v[58:61], v[10:11], v[4:5], v[58:61]
	s_nop 7
	s_nop 2
	v_cvt_f16_f32_e32 v10, v59
	v_cvt_f16_f32_e32 v11, v60
	;; [unrolled: 1-line block ×4, first 2 shown]
	v_cvt_f32_f16_e32 v59, v10
	v_cvt_f32_f16_e32 v60, v11
	s_waitcnt lgkmcnt(0)
	v_perm_b32 v11, v35, v33, s56
	v_perm_b32 v10, v31, v29, s56
	v_cvt_f32_f16_e32 v58, v0
	v_cvt_f32_f16_e32 v61, v28
	s_nop 1
	v_mfma_f32_16x16x16f16 v[58:61], v[10:11], v[2:3], v[58:61]
	s_nop 7
	s_nop 2
	v_cvt_f16_f32_e32 v0, v58
	v_cvt_f16_f32_e32 v10, v59
	;; [unrolled: 1-line block ×4, first 2 shown]
	v_cvt_f32_f16_e32 v58, v13
	v_pack_b32_f16 v10, v0, v10
	ds_read_u16 v0, v144 offset:416
	v_cvt_f32_f16_sdwa v59, v13 dst_sel:DWORD dst_unused:UNUSED_PAD src0_sel:WORD_1
	v_cvt_f32_f16_e32 v60, v12
	v_cvt_f32_f16_sdwa v61, v12 dst_sel:DWORD dst_unused:UNUSED_PAD src0_sel:WORD_1
	v_perm_b32 v12, v27, v25, s56
	s_waitcnt lgkmcnt(0)
	v_perm_b32 v13, v14, v0, s56
	v_pack_b32_f16 v11, v11, v28
	ds_read_u16 v25, v143 offset:3360
	ds_read_u16 v27, v123 offset:3568
	ds_read_u16 v28, v128 offset:416
	ds_read_u16 v29, v124 offset:3360
	v_mfma_f32_16x16x16f16 v[58:61], v[12:13], v[8:9], v[58:61]
	s_nop 7
	s_nop 2
	v_cvt_f16_f32_e32 v12, v59
	v_cvt_f16_f32_e32 v13, v60
	v_cvt_f16_f32_e32 v0, v58
	v_cvt_f16_f32_e32 v14, v61
	v_cvt_f32_f16_e32 v59, v12
	v_cvt_f32_f16_e32 v60, v13
	s_waitcnt lgkmcnt(0)
	v_perm_b32 v13, v29, v28, s56
	v_perm_b32 v12, v27, v25, s56
	v_cvt_f32_f16_e32 v58, v0
	v_cvt_f32_f16_e32 v61, v14
	ds_read_u16 v25, v143 offset:6688
	ds_read_u16 v27, v123 offset:6896
	ds_read_u16 v28, v129 offset:416
	ds_read_u16 v29, v124 offset:6688
	v_mfma_f32_16x16x16f16 v[58:61], v[12:13], v[6:7], v[58:61]
	s_nop 7
	s_nop 2
	v_cvt_f16_f32_e32 v12, v59
	v_cvt_f16_f32_e32 v13, v60
	v_cvt_f16_f32_e32 v0, v58
	v_cvt_f16_f32_e32 v14, v61
	v_cvt_f32_f16_e32 v59, v12
	v_cvt_f32_f16_e32 v60, v13
	s_waitcnt lgkmcnt(0)
	v_perm_b32 v13, v29, v28, s56
	v_perm_b32 v12, v27, v25, s56
	v_cvt_f32_f16_e32 v58, v0
	v_cvt_f32_f16_e32 v61, v14
	;; [unrolled: 18-line block ×3, first 2 shown]
	s_nop 1
	v_mfma_f32_16x16x16f16 v[58:61], v[12:13], v[2:3], v[58:61]
	s_nop 7
	s_nop 2
	v_cvt_f16_f32_e32 v0, v58
	v_cvt_f16_f32_e32 v12, v59
	;; [unrolled: 1-line block ×4, first 2 shown]
	v_cvt_f32_f16_e32 v60, v15
	v_pack_b32_f16 v12, v0, v12
	v_cvt_f32_f16_sdwa v61, v15 dst_sel:DWORD dst_unused:UNUSED_PAD src0_sel:WORD_1
	v_pack_b32_f16 v13, v13, v14
	ds_read_u16 v0, v143 offset:64
	ds_read_u16 v14, v123 offset:272
	;; [unrolled: 1-line block ×4, first 2 shown]
	v_cvt_f32_f16_e32 v58, v26
	v_cvt_f32_f16_sdwa v59, v26 dst_sel:DWORD dst_unused:UNUSED_PAD src0_sel:WORD_1
	s_waitcnt lgkmcnt(2)
	v_perm_b32 v14, v14, v0, s56
	ds_read_u16 v31, v143 offset:3392
	ds_read_u16 v33, v123 offset:3600
	;; [unrolled: 1-line block ×4, first 2 shown]
	s_waitcnt lgkmcnt(4)
	v_perm_b32 v15, v27, v25, s56
	s_nop 1
	v_mfma_f32_16x16x16f16 v[26:29], v[14:15], v[8:9], v[58:61]
	s_nop 7
	s_nop 2
	v_cvt_f16_f32_e32 v14, v27
	v_cvt_f16_f32_e32 v15, v28
	;; [unrolled: 1-line block ×4, first 2 shown]
	v_cvt_f32_f16_e32 v27, v14
	v_cvt_f32_f16_e32 v28, v15
	s_waitcnt lgkmcnt(0)
	v_perm_b32 v15, v37, v35, s56
	v_perm_b32 v14, v33, v31, s56
	v_cvt_f32_f16_e32 v26, v0
	v_cvt_f32_f16_e32 v29, v25
	ds_read_u16 v31, v143 offset:6720
	ds_read_u16 v33, v123 offset:6928
	;; [unrolled: 1-line block ×4, first 2 shown]
	v_mfma_f32_16x16x16f16 v[26:29], v[14:15], v[6:7], v[26:29]
	s_nop 7
	s_nop 2
	v_cvt_f16_f32_e32 v14, v27
	v_cvt_f16_f32_e32 v15, v28
	;; [unrolled: 1-line block ×4, first 2 shown]
	v_cvt_f32_f16_e32 v27, v14
	v_cvt_f32_f16_e32 v28, v15
	s_waitcnt lgkmcnt(0)
	v_perm_b32 v15, v37, v35, s56
	v_perm_b32 v14, v33, v31, s56
	v_cvt_f32_f16_e32 v26, v0
	v_cvt_f32_f16_e32 v29, v25
	ds_read_u16 v31, v143 offset:10048
	ds_read_u16 v33, v123 offset:10256
	;; [unrolled: 1-line block ×4, first 2 shown]
	v_mfma_f32_16x16x16f16 v[26:29], v[14:15], v[4:5], v[26:29]
	s_nop 7
	s_nop 2
	v_cvt_f16_f32_e32 v14, v27
	v_cvt_f16_f32_e32 v15, v28
	;; [unrolled: 1-line block ×4, first 2 shown]
	v_cvt_f32_f16_e32 v27, v14
	v_cvt_f32_f16_e32 v28, v15
	s_waitcnt lgkmcnt(0)
	v_perm_b32 v15, v37, v35, s56
	v_perm_b32 v14, v33, v31, s56
	v_cvt_f32_f16_e32 v26, v0
	v_cvt_f32_f16_e32 v29, v25
	s_nop 1
	v_mfma_f32_16x16x16f16 v[26:29], v[14:15], v[2:3], v[26:29]
	s_nop 7
	s_nop 2
	v_cvt_f16_f32_e32 v0, v26
	v_cvt_f16_f32_e32 v14, v27
	;; [unrolled: 1-line block ×4, first 2 shown]
	v_cvt_f32_f16_e32 v26, v17
	v_pack_b32_f16 v14, v0, v14
	v_cvt_f32_f16_sdwa v27, v17 dst_sel:DWORD dst_unused:UNUSED_PAD src0_sel:WORD_1
	v_pack_b32_f16 v15, v15, v25
	ds_read_u16 v0, v143 offset:96
	ds_read_u16 v25, v123 offset:304
	;; [unrolled: 1-line block ×4, first 2 shown]
	v_cvt_f32_f16_e32 v28, v16
	v_cvt_f32_f16_sdwa v29, v16 dst_sel:DWORD dst_unused:UNUSED_PAD src0_sel:WORD_1
	s_waitcnt lgkmcnt(2)
	v_perm_b32 v16, v25, v0, s56
	s_waitcnt lgkmcnt(0)
	v_perm_b32 v17, v33, v31, s56
	ds_read_u16 v31, v143 offset:3424
	ds_read_u16 v33, v123 offset:3632
	ds_read_u16 v35, v135 offset:416
	ds_read_u16 v37, v124 offset:3424
	v_mfma_f32_16x16x16f16 v[26:29], v[16:17], v[8:9], v[26:29]
	s_nop 7
	s_nop 2
	v_cvt_f16_f32_e32 v16, v27
	v_cvt_f16_f32_e32 v17, v28
	v_cvt_f16_f32_e32 v0, v26
	v_cvt_f16_f32_e32 v25, v29
	v_cvt_f32_f16_e32 v27, v16
	v_cvt_f32_f16_e32 v28, v17
	s_waitcnt lgkmcnt(0)
	v_perm_b32 v17, v37, v35, s56
	v_perm_b32 v16, v33, v31, s56
	v_cvt_f32_f16_e32 v26, v0
	v_cvt_f32_f16_e32 v29, v25
	ds_read_u16 v31, v143 offset:6752
	ds_read_u16 v33, v123 offset:6960
	ds_read_u16 v35, v139 offset:416
	ds_read_u16 v37, v124 offset:6752
	v_mfma_f32_16x16x16f16 v[26:29], v[16:17], v[6:7], v[26:29]
	s_nop 7
	s_nop 2
	v_cvt_f16_f32_e32 v16, v27
	v_cvt_f16_f32_e32 v17, v28
	v_cvt_f16_f32_e32 v0, v26
	v_cvt_f16_f32_e32 v25, v29
	v_cvt_f32_f16_e32 v27, v16
	v_cvt_f32_f16_e32 v28, v17
	s_waitcnt lgkmcnt(0)
	v_perm_b32 v17, v37, v35, s56
	v_perm_b32 v16, v33, v31, s56
	v_cvt_f32_f16_e32 v26, v0
	v_cvt_f32_f16_e32 v29, v25
	;; [unrolled: 18-line block ×3, first 2 shown]
	s_nop 1
	v_mfma_f32_16x16x16f16 v[26:29], v[16:17], v[2:3], v[26:29]
	s_nop 7
	s_nop 2
	v_cvt_f16_f32_e32 v0, v26
	v_cvt_f16_f32_e32 v16, v27
	;; [unrolled: 1-line block ×4, first 2 shown]
	v_cvt_f32_f16_e32 v26, v21
	v_pack_b32_f16 v16, v0, v16
	v_cvt_f32_f16_sdwa v27, v21 dst_sel:DWORD dst_unused:UNUSED_PAD src0_sel:WORD_1
	v_pack_b32_f16 v17, v17, v25
	ds_read_u16 v0, v143 offset:128
	ds_read_u16 v25, v123 offset:336
	;; [unrolled: 1-line block ×4, first 2 shown]
	v_cvt_f32_f16_e32 v28, v20
	v_cvt_f32_f16_sdwa v29, v20 dst_sel:DWORD dst_unused:UNUSED_PAD src0_sel:WORD_1
	s_waitcnt lgkmcnt(2)
	v_perm_b32 v20, v25, v0, s56
	s_waitcnt lgkmcnt(0)
	v_perm_b32 v21, v33, v31, s56
	ds_read_u16 v31, v143 offset:3456
	ds_read_u16 v33, v123 offset:3664
	ds_read_u16 v35, v148 offset:416
	ds_read_u16 v37, v124 offset:3456
	v_mfma_f32_16x16x16f16 v[26:29], v[20:21], v[8:9], v[26:29]
	s_nop 7
	s_nop 2
	v_cvt_f16_f32_e32 v20, v27
	v_cvt_f16_f32_e32 v21, v28
	v_cvt_f16_f32_e32 v0, v26
	v_cvt_f16_f32_e32 v25, v29
	v_cvt_f32_f16_e32 v27, v20
	v_cvt_f32_f16_e32 v28, v21
	s_waitcnt lgkmcnt(0)
	v_perm_b32 v21, v37, v35, s56
	v_perm_b32 v20, v33, v31, s56
	v_cvt_f32_f16_e32 v26, v0
	v_cvt_f32_f16_e32 v29, v25
	ds_read_u16 v31, v143 offset:6784
	ds_read_u16 v33, v123 offset:6992
	ds_read_u16 v35, v149 offset:416
	ds_read_u16 v37, v124 offset:6784
	v_mfma_f32_16x16x16f16 v[26:29], v[20:21], v[6:7], v[26:29]
	s_nop 7
	s_nop 2
	v_cvt_f16_f32_e32 v20, v27
	v_cvt_f16_f32_e32 v21, v28
	v_cvt_f16_f32_e32 v0, v26
	v_cvt_f16_f32_e32 v25, v29
	v_cvt_f32_f16_e32 v27, v20
	v_cvt_f32_f16_e32 v28, v21
	s_waitcnt lgkmcnt(0)
	v_perm_b32 v21, v37, v35, s56
	v_perm_b32 v20, v33, v31, s56
	v_cvt_f32_f16_e32 v26, v0
	v_cvt_f32_f16_e32 v29, v25
	;; [unrolled: 18-line block ×3, first 2 shown]
	s_nop 1
	v_mfma_f32_16x16x16f16 v[26:29], v[20:21], v[2:3], v[26:29]
	s_nop 7
	s_nop 2
	v_cvt_f16_f32_e32 v0, v26
	v_cvt_f16_f32_e32 v20, v27
	;; [unrolled: 1-line block ×4, first 2 shown]
	v_cvt_f32_f16_e32 v26, v24
	v_pack_b32_f16 v20, v0, v20
	v_cvt_f32_f16_sdwa v27, v24 dst_sel:DWORD dst_unused:UNUSED_PAD src0_sel:WORD_1
	v_pack_b32_f16 v21, v21, v25
	ds_read_u16 v0, v143 offset:160
	ds_read_u16 v31, v123 offset:368
	;; [unrolled: 1-line block ×4, first 2 shown]
	v_cvt_f32_f16_e32 v28, v22
	v_cvt_f32_f16_sdwa v29, v22 dst_sel:DWORD dst_unused:UNUSED_PAD src0_sel:WORD_1
	s_waitcnt lgkmcnt(2)
	v_perm_b32 v24, v31, v0, s56
	s_waitcnt lgkmcnt(0)
	v_perm_b32 v25, v33, v25, s56
	s_nop 1
	v_mfma_f32_16x16x16f16 v[24:27], v[24:25], v[8:9], v[26:29]
	s_nop 6
	ds_read_u16 v28, v143 offset:3488
	ds_read_u16 v29, v123 offset:3696
	;; [unrolled: 1-line block ×4, first 2 shown]
	v_cvt_f16_f32_e32 v8, v25
	v_cvt_f16_f32_e32 v9, v26
	;; [unrolled: 1-line block ×4, first 2 shown]
	v_cvt_f32_f16_e32 v25, v8
	v_cvt_f32_f16_e32 v26, v9
	s_waitcnt lgkmcnt(0)
	v_perm_b32 v9, v33, v31, s56
	v_perm_b32 v8, v29, v28, s56
	v_cvt_f32_f16_e32 v24, v0
	v_cvt_f32_f16_e32 v27, v22
	s_nop 1
	v_mfma_f32_16x16x16f16 v[6:9], v[8:9], v[6:7], v[24:27]
	ds_read_u16 v22, v143 offset:6816
	s_nop 5
	ds_read_u16 v24, v123 offset:7024
	ds_read_u16 v25, v153 offset:416
	;; [unrolled: 1-line block ×3, first 2 shown]
	s_waitcnt lgkmcnt(2)
	v_perm_b32 v24, v24, v22, s56
	s_waitcnt lgkmcnt(0)
	v_perm_b32 v25, v26, v25, s56
	v_cvt_f16_f32_e32 v0, v6
	v_cvt_f16_f32_e32 v7, v7
	;; [unrolled: 1-line block ×4, first 2 shown]
	v_cvt_f32_f16_e32 v6, v0
	v_cvt_f32_f16_e32 v7, v7
	;; [unrolled: 1-line block ×4, first 2 shown]
	s_nop 1
	v_mfma_f32_16x16x16f16 v[6:9], v[24:25], v[4:5], v[6:9]
	s_nop 7
	s_nop 2
	v_cvt_f16_f32_e32 v5, v6
	v_cvt_f16_f32_e32 v6, v7
	;; [unrolled: 1-line block ×4, first 2 shown]
	ds_read_u16 v4, v143 offset:10144
	ds_read_u16 v9, v123 offset:10352
	;; [unrolled: 1-line block ×4, first 2 shown]
	v_cvt_f32_f16_e32 v26, v5
	v_cvt_f32_f16_e32 v27, v6
	s_waitcnt lgkmcnt(2)
	v_perm_b32 v4, v9, v4, s56
	v_cvt_f32_f16_e32 v28, v7
	s_waitcnt lgkmcnt(0)
	v_perm_b32 v5, v24, v22, s56
	v_cvt_f32_f16_e32 v29, v8
	s_barrier
	s_nop 0
	v_mfma_f32_16x16x16f16 v[2:5], v[4:5], v[2:3], v[26:29]
	s_nop 7
	s_nop 2
	v_cvt_f16_f32_e32 v0, v2
	v_cvt_f16_f32_e32 v2, v3
	;; [unrolled: 1-line block ×4, first 2 shown]
	v_pack_b32_f16 v2, v0, v2
	ds_bpermute_b32 v0, v19, v23
	v_pack_b32_f16 v3, v3, v4
	s_waitcnt lgkmcnt(0)
	v_add_f32_e32 v0, v23, v0
	ds_bpermute_b32 v1, v1, v0
	s_waitcnt lgkmcnt(0)
	v_add_f32_e32 v19, v0, v1
	s_cbranch_scc0 .LBB14_262
; %bb.261:                              ;   in Loop: Header=BB14_15 Depth=1
	global_load_dword v0, v191, s[8:9]
	v_max_f32_e32 v1, v18, v18
	s_mov_b64 s[40:41], 0
	s_waitcnt vmcnt(0)
	v_max_f32_e32 v4, v0, v0
	v_max_f32_e32 v4, v1, v4
	v_sub_f32_e32 v1, v18, v4
	v_sub_f32_e32 v0, v0, v4
	v_mul_f32_e32 v5, 0x3fb8aa3b, v1
	v_mul_f32_e32 v6, 0x3fb8aa3b, v0
	v_fma_f32 v7, v1, s48, -v5
	v_rndne_f32_e32 v8, v5
	v_fma_f32 v9, v0, s48, -v6
	v_rndne_f32_e32 v22, v6
	v_fmac_f32_e32 v7, 0x32a5705f, v1
	v_sub_f32_e32 v5, v5, v8
	v_fmac_f32_e32 v9, 0x32a5705f, v0
	v_sub_f32_e32 v6, v6, v22
	v_add_f32_e32 v5, v5, v7
	v_cvt_i32_f32_e32 v8, v8
	v_add_f32_e32 v6, v6, v9
	v_exp_f32_e32 v5, v5
	v_cvt_i32_f32_e32 v22, v22
	v_exp_f32_e32 v6, v6
	v_cmp_ngt_f32_e32 vcc, s49, v1
	v_ldexp_f32 v5, v5, v8
	v_cndmask_b32_e32 v5, 0, v5, vcc
	v_ldexp_f32 v6, v6, v22
	v_cmp_ngt_f32_e32 vcc, s49, v0
	v_cndmask_b32_e32 v6, 0, v6, vcc
	v_cmp_nlt_f32_e32 vcc, s57, v1
	v_cndmask_b32_e32 v5, v241, v5, vcc
	v_cmp_le_f32_e32 vcc, s97, v1
	v_cndmask_b32_e32 v1, 0, v5, vcc
	v_cvt_f16_f32_e32 v29, v1
	v_cmp_nlt_f32_e32 vcc, s57, v0
	v_cndmask_b32_e32 v5, v241, v6, vcc
	v_fmac_f32_e32 v5, v19, v1
	v_pk_mul_f16 v6, v29, v10 op_sel_hi:[0,1]
	v_pk_mul_f16 v7, v29, v11 op_sel_hi:[0,1]
	;; [unrolled: 1-line block ×12, first 2 shown]
	s_branch .LBB14_263
.LBB14_262:                             ;   in Loop: Header=BB14_15 Depth=1
	s_mov_b64 s[40:41], -1
                                        ; implicit-def: $vgpr4_vgpr5
                                        ; implicit-def: $vgpr28_vgpr29
                                        ; implicit-def: $vgpr26_vgpr27
                                        ; implicit-def: $vgpr6_vgpr7
                                        ; implicit-def: $vgpr8_vgpr9
                                        ; implicit-def: $vgpr22_vgpr23
                                        ; implicit-def: $vgpr24_vgpr25
.LBB14_263:                             ;   in Loop: Header=BB14_15 Depth=1
	v_readlane_b32 s72, v253, 58
	v_readlane_b32 s92, v254, 17
	;; [unrolled: 1-line block ×17, first 2 shown]
	s_mov_b32 s98, s42
	v_readlane_b32 s93, v254, 18
	v_readlane_b32 s94, v254, 19
	;; [unrolled: 1-line block ×3, first 2 shown]
	s_mov_b32 s99, s43
	s_andn2_b64 vcc, exec, s[40:41]
	v_readlane_b32 s88, v254, 10
	v_readlane_b32 s96, v254, 16
	;; [unrolled: 1-line block ×5, first 2 shown]
	s_cbranch_vccnz .LBB14_265
; %bb.264:                              ;   in Loop: Header=BB14_15 Depth=1
	v_pk_mov_b32 v[24:25], v[16:17], v[16:17] op_sel:[0,1]
	v_pk_mov_b32 v[22:23], v[14:15], v[14:15] op_sel:[0,1]
	;; [unrolled: 1-line block ×7, first 2 shown]
.LBB14_265:                             ;   in Loop: Header=BB14_15 Depth=1
	s_mov_b64 s[40:41], exec
	v_readlane_b32 s8, v253, 54
	v_readlane_b32 s9, v253, 55
	s_and_b64 s[8:9], s[40:41], s[8:9]
	v_readlane_b32 s90, v254, 14
	v_readlane_b32 s89, v254, 21
	;; [unrolled: 1-line block ×3, first 2 shown]
	s_mov_b64 exec, s[8:9]
	s_cbranch_execz .LBB14_267
; %bb.266:                              ;   in Loop: Header=BB14_15 Depth=1
	buffer_load_dword v0, off, s[0:3], 0 offset:56 ; 4-byte Folded Reload
	s_waitcnt vmcnt(0)
	ds_write2_b32 v0, v4, v5 offset0:48 offset1:49
.LBB14_267:                             ;   in Loop: Header=BB14_15 Depth=1
	s_or_b64 exec, exec, s[40:41]
	v_mov_b32_e32 v1, 50
	s_waitcnt lgkmcnt(0)
	s_barrier
	ds_write2_b32 v111, v6, v7 offset1:1
	ds_write2_b32 v111, v8, v9 offset0:8 offset1:9
	ds_write2_b32 v111, v22, v23 offset0:16 offset1:17
	;; [unrolled: 1-line block ×5, first 2 shown]
	s_waitcnt lgkmcnt(0)
	s_barrier
	s_mov_b64 s[40:41], exec
	v_readlane_b32 s8, v254, 36
	v_readlane_b32 s9, v254, 37
	s_and_b64 s[8:9], s[40:41], s[8:9]
	v_readlane_b32 s91, v254, 60
	s_mov_b64 exec, s[8:9]
	s_cbranch_execz .LBB14_269
; %bb.268:                              ;   in Loop: Header=BB14_15 Depth=1
	buffer_load_dword v0, off, s[0:3], 0 offset:16 ; 4-byte Folded Reload
	v_mad_u64_u32 v[2:3], s[8:9], v248, s89, v[46:47]
	v_ashrrev_i32_e32 v3, 31, v2
	v_lshlrev_b64 v[2:3], 3, v[2:3]
	v_add_co_u32_e32 v2, vcc, s91, v2
	v_mov_b32_e32 v4, s99
	v_addc_co_u32_e32 v3, vcc, v4, v3, vcc
	s_waitcnt vmcnt(0)
	ds_read_b32 v0, v0 offset:196
	ds_read_b32 v1, v155
	s_waitcnt lgkmcnt(0)
	v_cvt_f32_f16_sdwa v5, v1 dst_sel:DWORD dst_unused:UNUSED_PAD src0_sel:WORD_1
	v_cvt_f32_f16_e32 v4, v1
	v_pk_add_f32 v[4:5], v[4:5], 0 op_sel_hi:[1,0]
	v_div_scale_f32 v1, s[8:9], v0, v0, v5
	v_rcp_f32_e32 v6, v1
	v_fma_f32 v7, -v1, v6, 1.0
	v_fmac_f32_e32 v6, v7, v6
	v_div_scale_f32 v7, vcc, v5, v0, v5
	v_mul_f32_e32 v8, v7, v6
	v_fma_f32 v9, -v1, v8, v7
	v_fmac_f32_e32 v8, v9, v6
	v_fma_f32 v1, -v1, v8, v7
	v_div_fmas_f32 v1, v1, v6, v8
	v_div_fixup_f32 v5, v1, v0, v5
	v_div_scale_f32 v1, s[8:9], v0, v0, v4
	v_rcp_f32_e32 v6, v1
	v_fma_f32 v7, -v1, v6, 1.0
	v_fmac_f32_e32 v6, v7, v6
	v_div_scale_f32 v7, vcc, v4, v0, v4
	v_mul_f32_e32 v8, v7, v6
	v_fma_f32 v9, -v1, v8, v7
	v_fmac_f32_e32 v8, v9, v6
	v_fma_f32 v1, -v1, v8, v7
	v_div_fmas_f32 v1, v1, v6, v8
	v_div_fixup_f32 v4, v1, v0, v4
	v_mov_b32_e32 v1, 0
	global_store_dwordx2 v[2:3], v[4:5], off
.LBB14_269:                             ;   in Loop: Header=BB14_15 Depth=1
	s_or_b64 exec, exec, s[40:41]
	v_cmp_gt_i32_e32 vcc, 50, v1
	s_mov_b64 s[40:41], -1
	s_and_saveexec_b64 s[8:9], vcc
; %bb.270:                              ;   in Loop: Header=BB14_15 Depth=1
	v_cmp_eq_u32_e32 vcc, 0, v1
	s_orn2_b64 s[40:41], vcc, exec
; %bb.271:                              ;   in Loop: Header=BB14_15 Depth=1
	s_or_b64 exec, exec, s[8:9]
	s_and_saveexec_b64 s[8:9], s[40:41]
	s_cbranch_execz .LBB14_304
; %bb.272:                              ;   in Loop: Header=BB14_15 Depth=1
	v_mov_b32_e32 v1, 50
	s_mov_b64 s[40:41], exec
	v_readlane_b32 s42, v254, 38
	v_readlane_b32 s43, v254, 39
	s_and_b64 s[42:43], s[40:41], s[42:43]
	s_mov_b64 exec, s[42:43]
	s_cbranch_execz .LBB14_274
; %bb.273:                              ;   in Loop: Header=BB14_15 Depth=1
	buffer_load_dword v0, off, s[0:3], 0 offset:16 ; 4-byte Folded Reload
	v_mad_u64_u32 v[2:3], s[42:43], v247, s89, v[46:47]
	v_ashrrev_i32_e32 v3, 31, v2
	v_lshlrev_b64 v[2:3], 3, v[2:3]
	v_add_co_u32_e32 v2, vcc, s91, v2
	v_mov_b32_e32 v4, s99
	v_addc_co_u32_e32 v3, vcc, v4, v3, vcc
	s_waitcnt vmcnt(0)
	ds_read_b32 v0, v0 offset:1860
	ds_read_b32 v1, v155 offset:1664
	s_waitcnt lgkmcnt(0)
	v_cvt_f32_f16_sdwa v5, v1 dst_sel:DWORD dst_unused:UNUSED_PAD src0_sel:WORD_1
	v_cvt_f32_f16_e32 v4, v1
	v_pk_add_f32 v[4:5], v[4:5], 0 op_sel_hi:[1,0]
	v_div_scale_f32 v1, s[42:43], v0, v0, v5
	v_rcp_f32_e32 v6, v1
	v_fma_f32 v7, -v1, v6, 1.0
	v_fmac_f32_e32 v6, v7, v6
	v_div_scale_f32 v7, vcc, v5, v0, v5
	v_mul_f32_e32 v8, v7, v6
	v_fma_f32 v9, -v1, v8, v7
	v_fmac_f32_e32 v8, v9, v6
	v_fma_f32 v1, -v1, v8, v7
	v_div_fmas_f32 v1, v1, v6, v8
	v_div_fixup_f32 v5, v1, v0, v5
	v_div_scale_f32 v1, s[42:43], v0, v0, v4
	v_rcp_f32_e32 v6, v1
	v_fma_f32 v7, -v1, v6, 1.0
	v_fmac_f32_e32 v6, v7, v6
	v_div_scale_f32 v7, vcc, v4, v0, v4
	v_mul_f32_e32 v8, v7, v6
	v_fma_f32 v9, -v1, v8, v7
	v_fmac_f32_e32 v8, v9, v6
	v_fma_f32 v1, -v1, v8, v7
	v_div_fmas_f32 v1, v1, v6, v8
	v_div_fixup_f32 v4, v1, v0, v4
	v_mov_b32_e32 v1, 0
	global_store_dwordx2 v[2:3], v[4:5], off
.LBB14_274:                             ;   in Loop: Header=BB14_15 Depth=1
	s_or_b64 exec, exec, s[40:41]
	v_cmp_gt_i32_e32 vcc, 50, v1
	s_mov_b64 s[40:41], -1
	s_and_saveexec_b64 s[42:43], vcc
; %bb.275:                              ;   in Loop: Header=BB14_15 Depth=1
	v_cmp_eq_u32_e32 vcc, 0, v1
	s_orn2_b64 s[40:41], vcc, exec
; %bb.276:                              ;   in Loop: Header=BB14_15 Depth=1
	s_or_b64 exec, exec, s[42:43]
	s_and_b64 exec, exec, s[40:41]
	s_cbranch_execz .LBB14_304
; %bb.277:                              ;   in Loop: Header=BB14_15 Depth=1
	v_mov_b32_e32 v1, 50
	s_mov_b64 s[40:41], exec
	v_readlane_b32 s42, v254, 40
	v_readlane_b32 s43, v254, 41
	s_and_b64 s[42:43], s[40:41], s[42:43]
	s_mov_b64 exec, s[42:43]
	s_cbranch_execz .LBB14_279
; %bb.278:                              ;   in Loop: Header=BB14_15 Depth=1
	buffer_load_dword v0, off, s[0:3], 0 offset:80 ; 4-byte Folded Reload
	buffer_load_dword v1, off, s[0:3], 0 offset:60 ; 4-byte Folded Reload
	v_mad_u64_u32 v[2:3], s[42:43], v246, s89, v[46:47]
	v_ashrrev_i32_e32 v3, 31, v2
	v_lshlrev_b64 v[2:3], 3, v[2:3]
	v_add_co_u32_e32 v2, vcc, s91, v2
	v_mov_b32_e32 v4, s99
	v_addc_co_u32_e32 v3, vcc, v4, v3, vcc
	s_waitcnt vmcnt(1)
	ds_read_b32 v0, v0 offset:196
	s_waitcnt vmcnt(0)
	ds_read_b32 v1, v1
	s_waitcnt lgkmcnt(0)
	v_cvt_f32_f16_sdwa v5, v1 dst_sel:DWORD dst_unused:UNUSED_PAD src0_sel:WORD_1
	v_cvt_f32_f16_e32 v4, v1
	v_pk_add_f32 v[4:5], v[4:5], 0 op_sel_hi:[1,0]
	v_div_scale_f32 v1, s[42:43], v0, v0, v5
	v_rcp_f32_e32 v6, v1
	v_fma_f32 v7, -v1, v6, 1.0
	v_fmac_f32_e32 v6, v7, v6
	v_div_scale_f32 v7, vcc, v5, v0, v5
	v_mul_f32_e32 v8, v7, v6
	v_fma_f32 v9, -v1, v8, v7
	v_fmac_f32_e32 v8, v9, v6
	v_fma_f32 v1, -v1, v8, v7
	v_div_fmas_f32 v1, v1, v6, v8
	v_div_fixup_f32 v5, v1, v0, v5
	v_div_scale_f32 v1, s[42:43], v0, v0, v4
	v_rcp_f32_e32 v6, v1
	v_fma_f32 v7, -v1, v6, 1.0
	v_fmac_f32_e32 v6, v7, v6
	v_div_scale_f32 v7, vcc, v4, v0, v4
	v_mul_f32_e32 v8, v7, v6
	v_fma_f32 v9, -v1, v8, v7
	v_fmac_f32_e32 v8, v9, v6
	v_fma_f32 v1, -v1, v8, v7
	v_div_fmas_f32 v1, v1, v6, v8
	v_div_fixup_f32 v4, v1, v0, v4
	v_mov_b32_e32 v1, 0
	global_store_dwordx2 v[2:3], v[4:5], off
.LBB14_279:                             ;   in Loop: Header=BB14_15 Depth=1
	s_or_b64 exec, exec, s[40:41]
	v_cmp_gt_i32_e32 vcc, 50, v1
	s_mov_b64 s[40:41], -1
	s_and_saveexec_b64 s[42:43], vcc
; %bb.280:                              ;   in Loop: Header=BB14_15 Depth=1
	v_cmp_eq_u32_e32 vcc, 0, v1
	s_orn2_b64 s[40:41], vcc, exec
; %bb.281:                              ;   in Loop: Header=BB14_15 Depth=1
	s_or_b64 exec, exec, s[42:43]
	s_and_b64 exec, exec, s[40:41]
	s_cbranch_execz .LBB14_304
; %bb.282:                              ;   in Loop: Header=BB14_15 Depth=1
	v_mov_b32_e32 v1, 50
	s_mov_b64 s[40:41], exec
	v_readlane_b32 s42, v254, 42
	v_readlane_b32 s43, v254, 43
	s_and_b64 s[42:43], s[40:41], s[42:43]
	s_mov_b64 exec, s[42:43]
	s_cbranch_execz .LBB14_284
; %bb.283:                              ;   in Loop: Header=BB14_15 Depth=1
	buffer_load_dword v0, off, s[0:3], 0 offset:16 ; 4-byte Folded Reload
	v_mad_u64_u32 v[2:3], s[42:43], v245, s89, v[46:47]
	v_ashrrev_i32_e32 v3, 31, v2
	v_lshlrev_b64 v[2:3], 3, v[2:3]
	v_add_co_u32_e32 v2, vcc, s91, v2
	v_mov_b32_e32 v4, s99
	v_addc_co_u32_e32 v3, vcc, v4, v3, vcc
	s_waitcnt vmcnt(0)
	ds_read_b32 v0, v0 offset:5188
	ds_read_b32 v1, v155 offset:4992
	s_waitcnt lgkmcnt(0)
	v_cvt_f32_f16_sdwa v5, v1 dst_sel:DWORD dst_unused:UNUSED_PAD src0_sel:WORD_1
	v_cvt_f32_f16_e32 v4, v1
	v_pk_add_f32 v[4:5], v[4:5], 0 op_sel_hi:[1,0]
	v_div_scale_f32 v1, s[42:43], v0, v0, v5
	v_rcp_f32_e32 v6, v1
	v_fma_f32 v7, -v1, v6, 1.0
	v_fmac_f32_e32 v6, v7, v6
	v_div_scale_f32 v7, vcc, v5, v0, v5
	v_mul_f32_e32 v8, v7, v6
	v_fma_f32 v9, -v1, v8, v7
	v_fmac_f32_e32 v8, v9, v6
	v_fma_f32 v1, -v1, v8, v7
	v_div_fmas_f32 v1, v1, v6, v8
	v_div_fixup_f32 v5, v1, v0, v5
	v_div_scale_f32 v1, s[42:43], v0, v0, v4
	v_rcp_f32_e32 v6, v1
	v_fma_f32 v7, -v1, v6, 1.0
	v_fmac_f32_e32 v6, v7, v6
	v_div_scale_f32 v7, vcc, v4, v0, v4
	v_mul_f32_e32 v8, v7, v6
	v_fma_f32 v9, -v1, v8, v7
	v_fmac_f32_e32 v8, v9, v6
	v_fma_f32 v1, -v1, v8, v7
	v_div_fmas_f32 v1, v1, v6, v8
	v_div_fixup_f32 v4, v1, v0, v4
	v_mov_b32_e32 v1, 0
	global_store_dwordx2 v[2:3], v[4:5], off
.LBB14_284:                             ;   in Loop: Header=BB14_15 Depth=1
	s_or_b64 exec, exec, s[40:41]
	v_cmp_gt_i32_e32 vcc, 50, v1
	s_mov_b64 s[40:41], -1
	s_and_saveexec_b64 s[42:43], vcc
; %bb.285:                              ;   in Loop: Header=BB14_15 Depth=1
	v_cmp_eq_u32_e32 vcc, 0, v1
	s_orn2_b64 s[40:41], vcc, exec
; %bb.286:                              ;   in Loop: Header=BB14_15 Depth=1
	s_or_b64 exec, exec, s[42:43]
	s_and_b64 exec, exec, s[40:41]
	s_cbranch_execz .LBB14_304
; %bb.287:                              ;   in Loop: Header=BB14_15 Depth=1
	v_mov_b32_e32 v1, 50
	s_mov_b64 s[40:41], exec
	v_readlane_b32 s42, v254, 44
	v_readlane_b32 s43, v254, 45
	s_and_b64 s[42:43], s[40:41], s[42:43]
	s_mov_b64 exec, s[42:43]
	s_cbranch_execz .LBB14_289
; %bb.288:                              ;   in Loop: Header=BB14_15 Depth=1
	buffer_load_dword v0, off, s[0:3], 0 offset:96 ; 4-byte Folded Reload
	buffer_load_dword v1, off, s[0:3], 0 offset:88 ; 4-byte Folded Reload
	v_mad_u64_u32 v[2:3], s[42:43], v244, s89, v[46:47]
	v_ashrrev_i32_e32 v3, 31, v2
	v_lshlrev_b64 v[2:3], 3, v[2:3]
	v_add_co_u32_e32 v2, vcc, s91, v2
	v_mov_b32_e32 v4, s99
	v_addc_co_u32_e32 v3, vcc, v4, v3, vcc
	s_waitcnt vmcnt(1)
	ds_read_b32 v0, v0 offset:196
	s_waitcnt vmcnt(0)
	ds_read_b32 v1, v1
	s_waitcnt lgkmcnt(0)
	v_cvt_f32_f16_sdwa v5, v1 dst_sel:DWORD dst_unused:UNUSED_PAD src0_sel:WORD_1
	v_cvt_f32_f16_e32 v4, v1
	v_pk_add_f32 v[4:5], v[4:5], 0 op_sel_hi:[1,0]
	v_div_scale_f32 v1, s[42:43], v0, v0, v5
	v_rcp_f32_e32 v6, v1
	v_fma_f32 v7, -v1, v6, 1.0
	v_fmac_f32_e32 v6, v7, v6
	v_div_scale_f32 v7, vcc, v5, v0, v5
	v_mul_f32_e32 v8, v7, v6
	v_fma_f32 v9, -v1, v8, v7
	v_fmac_f32_e32 v8, v9, v6
	v_fma_f32 v1, -v1, v8, v7
	v_div_fmas_f32 v1, v1, v6, v8
	v_div_fixup_f32 v5, v1, v0, v5
	v_div_scale_f32 v1, s[42:43], v0, v0, v4
	v_rcp_f32_e32 v6, v1
	v_fma_f32 v7, -v1, v6, 1.0
	v_fmac_f32_e32 v6, v7, v6
	v_div_scale_f32 v7, vcc, v4, v0, v4
	v_mul_f32_e32 v8, v7, v6
	v_fma_f32 v9, -v1, v8, v7
	v_fmac_f32_e32 v8, v9, v6
	v_fma_f32 v1, -v1, v8, v7
	v_div_fmas_f32 v1, v1, v6, v8
	v_div_fixup_f32 v4, v1, v0, v4
	v_mov_b32_e32 v1, 0
	global_store_dwordx2 v[2:3], v[4:5], off
.LBB14_289:                             ;   in Loop: Header=BB14_15 Depth=1
	s_or_b64 exec, exec, s[40:41]
	v_cmp_gt_i32_e32 vcc, 50, v1
	s_mov_b64 s[40:41], -1
	s_and_saveexec_b64 s[42:43], vcc
; %bb.290:                              ;   in Loop: Header=BB14_15 Depth=1
	v_cmp_eq_u32_e32 vcc, 0, v1
	s_orn2_b64 s[40:41], vcc, exec
; %bb.291:                              ;   in Loop: Header=BB14_15 Depth=1
	s_or_b64 exec, exec, s[42:43]
	s_and_b64 exec, exec, s[40:41]
	s_cbranch_execz .LBB14_304
; %bb.292:                              ;   in Loop: Header=BB14_15 Depth=1
	v_mov_b32_e32 v1, 50
	s_mov_b64 s[40:41], exec
	v_readlane_b32 s42, v254, 46
	v_readlane_b32 s43, v254, 47
	s_and_b64 s[42:43], s[40:41], s[42:43]
	s_mov_b64 exec, s[42:43]
	s_cbranch_execz .LBB14_294
; %bb.293:                              ;   in Loop: Header=BB14_15 Depth=1
	buffer_load_dword v0, off, s[0:3], 0 offset:16 ; 4-byte Folded Reload
	v_mad_u64_u32 v[2:3], s[42:43], v75, s89, v[46:47]
	v_ashrrev_i32_e32 v3, 31, v2
	v_lshlrev_b64 v[2:3], 3, v[2:3]
	v_add_co_u32_e32 v2, vcc, s91, v2
	v_mov_b32_e32 v4, s99
	v_addc_co_u32_e32 v3, vcc, v4, v3, vcc
	s_waitcnt vmcnt(0)
	ds_read_b32 v0, v0 offset:8516
	ds_read_b32 v1, v155 offset:8320
	s_waitcnt lgkmcnt(0)
	v_cvt_f32_f16_sdwa v5, v1 dst_sel:DWORD dst_unused:UNUSED_PAD src0_sel:WORD_1
	v_cvt_f32_f16_e32 v4, v1
	v_pk_add_f32 v[4:5], v[4:5], 0 op_sel_hi:[1,0]
	v_div_scale_f32 v1, s[42:43], v0, v0, v5
	v_rcp_f32_e32 v6, v1
	v_fma_f32 v7, -v1, v6, 1.0
	v_fmac_f32_e32 v6, v7, v6
	v_div_scale_f32 v7, vcc, v5, v0, v5
	v_mul_f32_e32 v8, v7, v6
	v_fma_f32 v9, -v1, v8, v7
	v_fmac_f32_e32 v8, v9, v6
	v_fma_f32 v1, -v1, v8, v7
	v_div_fmas_f32 v1, v1, v6, v8
	v_div_fixup_f32 v5, v1, v0, v5
	v_div_scale_f32 v1, s[42:43], v0, v0, v4
	v_rcp_f32_e32 v6, v1
	v_fma_f32 v7, -v1, v6, 1.0
	v_fmac_f32_e32 v6, v7, v6
	v_div_scale_f32 v7, vcc, v4, v0, v4
	v_mul_f32_e32 v8, v7, v6
	v_fma_f32 v9, -v1, v8, v7
	v_fmac_f32_e32 v8, v9, v6
	v_fma_f32 v1, -v1, v8, v7
	v_div_fmas_f32 v1, v1, v6, v8
	v_div_fixup_f32 v4, v1, v0, v4
	v_mov_b32_e32 v1, 0
	global_store_dwordx2 v[2:3], v[4:5], off
.LBB14_294:                             ;   in Loop: Header=BB14_15 Depth=1
	s_or_b64 exec, exec, s[40:41]
	v_cmp_gt_i32_e32 vcc, 50, v1
	s_mov_b64 s[40:41], -1
	s_and_saveexec_b64 s[42:43], vcc
; %bb.295:                              ;   in Loop: Header=BB14_15 Depth=1
	v_cmp_eq_u32_e32 vcc, 0, v1
	s_orn2_b64 s[40:41], vcc, exec
; %bb.296:                              ;   in Loop: Header=BB14_15 Depth=1
	s_or_b64 exec, exec, s[42:43]
	s_and_b64 exec, exec, s[40:41]
	s_cbranch_execz .LBB14_304
; %bb.297:                              ;   in Loop: Header=BB14_15 Depth=1
	v_mov_b32_e32 v1, 50
	s_mov_b64 s[40:41], exec
	v_readlane_b32 s42, v254, 48
	v_readlane_b32 s43, v254, 49
	s_and_b64 s[42:43], s[40:41], s[42:43]
	s_mov_b64 exec, s[42:43]
	s_cbranch_execz .LBB14_299
; %bb.298:                              ;   in Loop: Header=BB14_15 Depth=1
	buffer_load_dword v0, off, s[0:3], 0 offset:104 ; 4-byte Folded Reload
	buffer_load_dword v1, off, s[0:3], 0 offset:100 ; 4-byte Folded Reload
	v_mad_u64_u32 v[2:3], s[42:43], v73, s89, v[46:47]
	v_ashrrev_i32_e32 v3, 31, v2
	v_lshlrev_b64 v[2:3], 3, v[2:3]
	v_add_co_u32_e32 v2, vcc, s91, v2
	v_mov_b32_e32 v4, s99
	v_addc_co_u32_e32 v3, vcc, v4, v3, vcc
	s_waitcnt vmcnt(1)
	ds_read_b32 v0, v0 offset:196
	s_waitcnt vmcnt(0)
	ds_read_b32 v1, v1
	s_waitcnt lgkmcnt(0)
	v_cvt_f32_f16_sdwa v5, v1 dst_sel:DWORD dst_unused:UNUSED_PAD src0_sel:WORD_1
	v_cvt_f32_f16_e32 v4, v1
	v_pk_add_f32 v[4:5], v[4:5], 0 op_sel_hi:[1,0]
	v_div_scale_f32 v1, s[42:43], v0, v0, v5
	v_rcp_f32_e32 v6, v1
	v_fma_f32 v7, -v1, v6, 1.0
	v_fmac_f32_e32 v6, v7, v6
	v_div_scale_f32 v7, vcc, v5, v0, v5
	v_mul_f32_e32 v8, v7, v6
	v_fma_f32 v9, -v1, v8, v7
	v_fmac_f32_e32 v8, v9, v6
	v_fma_f32 v1, -v1, v8, v7
	v_div_fmas_f32 v1, v1, v6, v8
	v_div_fixup_f32 v5, v1, v0, v5
	v_div_scale_f32 v1, s[42:43], v0, v0, v4
	v_rcp_f32_e32 v6, v1
	v_fma_f32 v7, -v1, v6, 1.0
	v_fmac_f32_e32 v6, v7, v6
	v_div_scale_f32 v7, vcc, v4, v0, v4
	v_mul_f32_e32 v8, v7, v6
	v_fma_f32 v9, -v1, v8, v7
	v_fmac_f32_e32 v8, v9, v6
	v_fma_f32 v1, -v1, v8, v7
	v_div_fmas_f32 v1, v1, v6, v8
	v_div_fixup_f32 v4, v1, v0, v4
	v_mov_b32_e32 v1, 0
	global_store_dwordx2 v[2:3], v[4:5], off
.LBB14_299:                             ;   in Loop: Header=BB14_15 Depth=1
	s_or_b64 exec, exec, s[40:41]
	v_cmp_gt_i32_e32 vcc, 50, v1
	s_mov_b64 s[40:41], -1
	s_and_saveexec_b64 s[42:43], vcc
; %bb.300:                              ;   in Loop: Header=BB14_15 Depth=1
	v_cmp_eq_u32_e32 vcc, 0, v1
	s_orn2_b64 s[40:41], vcc, exec
; %bb.301:                              ;   in Loop: Header=BB14_15 Depth=1
	s_or_b64 exec, exec, s[42:43]
	s_and_b64 exec, exec, s[40:41]
	s_cbranch_execz .LBB14_304
; %bb.302:                              ;   in Loop: Header=BB14_15 Depth=1
	v_readlane_b32 s40, v254, 50
	v_readlane_b32 s41, v254, 51
	s_and_b64 exec, exec, s[40:41]
	s_cbranch_execz .LBB14_304
; %bb.303:                              ;   in Loop: Header=BB14_15 Depth=1
	buffer_load_dword v0, off, s[0:3], 0 offset:16 ; 4-byte Folded Reload
	v_mad_u64_u32 v[2:3], s[40:41], v71, s89, v[46:47]
	v_ashrrev_i32_e32 v3, 31, v2
	v_lshlrev_b64 v[2:3], 3, v[2:3]
	v_add_co_u32_e32 v2, vcc, s91, v2
	v_mov_b32_e32 v4, s99
	v_addc_co_u32_e32 v3, vcc, v4, v3, vcc
	s_waitcnt vmcnt(0)
	ds_read_b32 v0, v0 offset:11844
	ds_read_b32 v1, v155 offset:11648
	s_waitcnt lgkmcnt(0)
	v_cvt_f32_f16_sdwa v5, v1 dst_sel:DWORD dst_unused:UNUSED_PAD src0_sel:WORD_1
	v_cvt_f32_f16_e32 v4, v1
	v_pk_add_f32 v[4:5], v[4:5], 0 op_sel_hi:[1,0]
	v_div_scale_f32 v1, s[40:41], v0, v0, v5
	v_rcp_f32_e32 v6, v1
	v_fma_f32 v7, -v1, v6, 1.0
	v_fmac_f32_e32 v6, v7, v6
	v_div_scale_f32 v7, vcc, v5, v0, v5
	v_mul_f32_e32 v8, v7, v6
	v_fma_f32 v9, -v1, v8, v7
	v_fmac_f32_e32 v8, v9, v6
	v_fma_f32 v1, -v1, v8, v7
	v_div_fmas_f32 v1, v1, v6, v8
	v_div_fixup_f32 v5, v1, v0, v5
	v_div_scale_f32 v1, s[40:41], v0, v0, v4
	v_rcp_f32_e32 v6, v1
	v_fma_f32 v7, -v1, v6, 1.0
	v_fmac_f32_e32 v6, v7, v6
	v_div_scale_f32 v7, vcc, v4, v0, v4
	v_mul_f32_e32 v8, v7, v6
	v_fma_f32 v9, -v1, v8, v7
	v_fmac_f32_e32 v8, v9, v6
	v_fma_f32 v1, -v1, v8, v7
	v_div_fmas_f32 v1, v1, v6, v8
	v_div_fixup_f32 v4, v1, v0, v4
	global_store_dwordx2 v[2:3], v[4:5], off
.LBB14_304:                             ;   in Loop: Header=BB14_15 Depth=1
	s_or_b64 exec, exec, s[8:9]
	v_mov_b32_e32 v1, 50
	s_mov_b64 s[8:9], exec
	v_readlane_b32 s40, v254, 52
	v_readlane_b32 s41, v254, 53
	s_and_b64 s[40:41], s[8:9], s[40:41]
	s_mov_b64 exec, s[40:41]
	s_cbranch_execz .LBB14_306
; %bb.305:                              ;   in Loop: Header=BB14_15 Depth=1
	buffer_load_dword v1, off, s[0:3], 0 offset:24 ; 4-byte Folded Reload
	v_mul_lo_u32 v0, v69, s89
	v_ashrrev_i32_e32 v3, 31, v0
	v_add_co_u32_e32 v2, vcc, v0, v32
	v_addc_co_u32_e32 v3, vcc, 0, v3, vcc
	v_lshlrev_b64 v[2:3], 3, v[2:3]
	v_add_co_u32_e32 v2, vcc, s91, v2
	v_mov_b32_e32 v0, s99
	v_addc_co_u32_e32 v3, vcc, v0, v3, vcc
	s_waitcnt vmcnt(0)
	ds_read_b32 v1, v1 offset:196
	ds_read_b32 v4, v156 offset:128
	s_waitcnt lgkmcnt(0)
	v_cvt_f32_f16_sdwa v5, v4 dst_sel:DWORD dst_unused:UNUSED_PAD src0_sel:WORD_1
	v_cvt_f32_f16_e32 v4, v4
	v_pk_add_f32 v[4:5], v[4:5], 0 op_sel_hi:[1,0]
	v_div_scale_f32 v0, s[40:41], v1, v1, v5
	v_rcp_f32_e32 v6, v0
	v_fma_f32 v7, -v0, v6, 1.0
	v_fmac_f32_e32 v6, v7, v6
	v_div_scale_f32 v7, vcc, v5, v1, v5
	v_mul_f32_e32 v8, v7, v6
	v_fma_f32 v9, -v0, v8, v7
	v_fmac_f32_e32 v8, v9, v6
	v_fma_f32 v0, -v0, v8, v7
	v_div_fmas_f32 v0, v0, v6, v8
	v_div_fixup_f32 v5, v0, v1, v5
	v_div_scale_f32 v0, s[40:41], v1, v1, v4
	v_rcp_f32_e32 v6, v0
	v_fma_f32 v7, -v0, v6, 1.0
	v_fmac_f32_e32 v6, v7, v6
	v_div_scale_f32 v7, vcc, v4, v1, v4
	v_mul_f32_e32 v8, v7, v6
	v_fma_f32 v9, -v0, v8, v7
	v_fmac_f32_e32 v8, v9, v6
	v_fma_f32 v0, -v0, v8, v7
	v_div_fmas_f32 v0, v0, v6, v8
	v_div_fixup_f32 v4, v0, v1, v4
	v_mov_b32_e32 v1, 0
	global_store_dwordx2 v[2:3], v[4:5], off offset:256
.LBB14_306:                             ;   in Loop: Header=BB14_15 Depth=1
	s_or_b64 exec, exec, s[8:9]
	v_cmp_gt_i32_e32 vcc, 50, v1
	s_mov_b64 s[40:41], -1
	s_and_saveexec_b64 s[8:9], vcc
; %bb.307:                              ;   in Loop: Header=BB14_15 Depth=1
	v_cmp_eq_u32_e32 vcc, 0, v1
	s_orn2_b64 s[40:41], vcc, exec
; %bb.308:                              ;   in Loop: Header=BB14_15 Depth=1
	s_or_b64 exec, exec, s[8:9]
                                        ; implicit-def: $vgpr2_vgpr3
	s_and_saveexec_b64 s[8:9], s[40:41]
	s_cbranch_execz .LBB14_324
; %bb.309:                              ;   in Loop: Header=BB14_15 Depth=1
	v_mov_b32_e32 v1, 50
	s_mov_b64 s[40:41], exec
	v_readlane_b32 s42, v254, 54
	v_readlane_b32 s43, v254, 55
	s_and_b64 s[42:43], s[40:41], s[42:43]
	s_mov_b64 exec, s[42:43]
	s_cbranch_execz .LBB14_311
; %bb.310:                              ;   in Loop: Header=BB14_15 Depth=1
	buffer_load_dword v1, off, s[0:3], 0 offset:68 ; 4-byte Folded Reload
	buffer_load_dword v2, off, s[0:3], 0 offset:20 ; 4-byte Folded Reload
	v_mul_lo_u32 v0, v67, s89
	v_ashrrev_i32_e32 v3, 31, v0
	s_waitcnt vmcnt(1)
	ds_read_b32 v1, v1 offset:196
	s_waitcnt vmcnt(0)
	ds_read_b32 v4, v2 offset:128
	v_add_co_u32_e32 v2, vcc, v0, v32
	v_addc_co_u32_e32 v3, vcc, 0, v3, vcc
	s_waitcnt lgkmcnt(0)
	v_cvt_f32_f16_sdwa v5, v4 dst_sel:DWORD dst_unused:UNUSED_PAD src0_sel:WORD_1
	v_cvt_f32_f16_e32 v4, v4
	v_lshlrev_b64 v[2:3], 3, v[2:3]
	v_add_co_u32_e32 v2, vcc, s91, v2
	v_mov_b32_e32 v0, s99
	v_pk_add_f32 v[4:5], v[4:5], 0 op_sel_hi:[1,0]
	v_addc_co_u32_e32 v3, vcc, v0, v3, vcc
	v_div_scale_f32 v0, s[42:43], v1, v1, v5
	v_rcp_f32_e32 v6, v0
	v_fma_f32 v7, -v0, v6, 1.0
	v_fmac_f32_e32 v6, v7, v6
	v_div_scale_f32 v7, vcc, v5, v1, v5
	v_mul_f32_e32 v8, v7, v6
	v_fma_f32 v9, -v0, v8, v7
	v_fmac_f32_e32 v8, v9, v6
	v_fma_f32 v0, -v0, v8, v7
	v_div_fmas_f32 v0, v0, v6, v8
	v_div_fixup_f32 v5, v0, v1, v5
	v_div_scale_f32 v0, s[42:43], v1, v1, v4
	v_rcp_f32_e32 v6, v0
	v_fma_f32 v7, -v0, v6, 1.0
	v_fmac_f32_e32 v6, v7, v6
	v_div_scale_f32 v7, vcc, v4, v1, v4
	v_mul_f32_e32 v8, v7, v6
	v_fma_f32 v9, -v0, v8, v7
	v_fmac_f32_e32 v8, v9, v6
	v_fma_f32 v0, -v0, v8, v7
	v_div_fmas_f32 v0, v0, v6, v8
	v_div_fixup_f32 v4, v0, v1, v4
	v_mov_b32_e32 v1, 0
	global_store_dwordx2 v[2:3], v[4:5], off offset:256
.LBB14_311:                             ;   in Loop: Header=BB14_15 Depth=1
	s_or_b64 exec, exec, s[40:41]
	v_cmp_gt_i32_e32 vcc, 50, v1
	s_mov_b64 s[50:51], -1
	s_and_saveexec_b64 s[40:41], vcc
; %bb.312:                              ;   in Loop: Header=BB14_15 Depth=1
	v_cmp_eq_u32_e32 vcc, 0, v1
	s_orn2_b64 s[50:51], vcc, exec
; %bb.313:                              ;   in Loop: Header=BB14_15 Depth=1
	s_or_b64 exec, exec, s[40:41]
	s_mov_b64 s[42:43], s[44:45]
                                        ; implicit-def: $vgpr2_vgpr3
	s_and_saveexec_b64 s[40:41], s[50:51]
	s_cbranch_execz .LBB14_323
; %bb.314:                              ;   in Loop: Header=BB14_15 Depth=1
	v_mov_b32_e32 v1, 50
	s_mov_b64 s[42:43], exec
	v_readlane_b32 s50, v254, 56
	v_readlane_b32 s51, v254, 57
	s_and_b64 s[50:51], s[42:43], s[50:51]
	s_mov_b64 exec, s[50:51]
	s_cbranch_execz .LBB14_316
; %bb.315:                              ;   in Loop: Header=BB14_15 Depth=1
	buffer_load_dword v1, off, s[0:3], 0 offset:84 ; 4-byte Folded Reload
	buffer_load_dword v2, off, s[0:3], 0 offset:64 ; 4-byte Folded Reload
	v_mul_lo_u32 v0, v65, s89
	v_ashrrev_i32_e32 v3, 31, v0
	s_waitcnt vmcnt(1)
	ds_read_b32 v1, v1 offset:196
	s_waitcnt vmcnt(0)
	ds_read_b32 v4, v2 offset:128
	v_add_co_u32_e32 v2, vcc, v0, v32
	v_addc_co_u32_e32 v3, vcc, 0, v3, vcc
	s_waitcnt lgkmcnt(0)
	v_cvt_f32_f16_sdwa v5, v4 dst_sel:DWORD dst_unused:UNUSED_PAD src0_sel:WORD_1
	v_cvt_f32_f16_e32 v4, v4
	v_lshlrev_b64 v[2:3], 3, v[2:3]
	v_add_co_u32_e32 v2, vcc, s91, v2
	v_mov_b32_e32 v0, s99
	v_pk_add_f32 v[4:5], v[4:5], 0 op_sel_hi:[1,0]
	v_addc_co_u32_e32 v3, vcc, v0, v3, vcc
	v_div_scale_f32 v0, s[50:51], v1, v1, v5
	v_rcp_f32_e32 v6, v0
	v_fma_f32 v7, -v0, v6, 1.0
	v_fmac_f32_e32 v6, v7, v6
	v_div_scale_f32 v7, vcc, v5, v1, v5
	v_mul_f32_e32 v8, v7, v6
	v_fma_f32 v9, -v0, v8, v7
	v_fmac_f32_e32 v8, v9, v6
	v_fma_f32 v0, -v0, v8, v7
	v_div_fmas_f32 v0, v0, v6, v8
	v_div_fixup_f32 v5, v0, v1, v5
	v_div_scale_f32 v0, s[50:51], v1, v1, v4
	v_rcp_f32_e32 v6, v0
	v_fma_f32 v7, -v0, v6, 1.0
	v_fmac_f32_e32 v6, v7, v6
	v_div_scale_f32 v7, vcc, v4, v1, v4
	v_mul_f32_e32 v8, v7, v6
	v_fma_f32 v9, -v0, v8, v7
	v_fmac_f32_e32 v8, v9, v6
	v_fma_f32 v0, -v0, v8, v7
	v_div_fmas_f32 v0, v0, v6, v8
	v_div_fixup_f32 v4, v0, v1, v4
	v_mov_b32_e32 v1, 0
	global_store_dwordx2 v[2:3], v[4:5], off offset:256
.LBB14_316:                             ;   in Loop: Header=BB14_15 Depth=1
	s_or_b64 exec, exec, s[42:43]
	v_cmp_gt_i32_e32 vcc, 50, v1
	s_mov_b64 s[66:67], -1
	s_and_saveexec_b64 s[42:43], vcc
; %bb.317:                              ;   in Loop: Header=BB14_15 Depth=1
	v_cmp_eq_u32_e32 vcc, 0, v1
	s_orn2_b64 s[66:67], vcc, exec
; %bb.318:                              ;   in Loop: Header=BB14_15 Depth=1
	s_or_b64 exec, exec, s[42:43]
	s_mov_b64 s[50:51], s[44:45]
                                        ; implicit-def: $vgpr2_vgpr3
	s_and_saveexec_b64 s[42:43], s[66:67]
	s_cbranch_execz .LBB14_322
; %bb.319:                              ;   in Loop: Header=BB14_15 Depth=1
	s_mov_b64 s[66:67], s[44:45]
                                        ; implicit-def: $vgpr2_vgpr3
	s_mov_b64 s[50:51], exec
	v_readlane_b32 s68, v254, 58
	v_readlane_b32 s69, v254, 59
	s_and_b64 s[68:69], s[50:51], s[68:69]
	s_mov_b64 exec, s[68:69]
	s_cbranch_execz .LBB14_321
; %bb.320:                              ;   in Loop: Header=BB14_15 Depth=1
	buffer_load_dword v0, off, s[0:3], 0 offset:92 ; 4-byte Folded Reload
	buffer_load_dword v1, off, s[0:3], 0 offset:72 ; 4-byte Folded Reload
	s_waitcnt vmcnt(1)
	ds_read_b32 v0, v0 offset:196
	s_waitcnt vmcnt(0)
	ds_read_b32 v1, v1 offset:128
	s_waitcnt lgkmcnt(0)
	v_cvt_f32_f16_sdwa v3, v1 dst_sel:DWORD dst_unused:UNUSED_PAD src0_sel:WORD_1
	v_cvt_f32_f16_e32 v2, v1
	v_pk_add_f32 v[2:3], v[2:3], 0 op_sel_hi:[1,0]
	v_div_scale_f32 v1, s[66:67], v0, v0, v3
	v_rcp_f32_e32 v4, v1
	v_fma_f32 v5, -v1, v4, 1.0
	v_fmac_f32_e32 v4, v5, v4
	v_div_scale_f32 v5, vcc, v3, v0, v3
	v_mul_f32_e32 v6, v5, v4
	v_fma_f32 v7, -v1, v6, v5
	v_fmac_f32_e32 v6, v7, v4
	v_fma_f32 v1, -v1, v6, v5
	v_div_fmas_f32 v1, v1, v4, v6
	v_div_fixup_f32 v3, v1, v0, v3
	v_div_scale_f32 v1, s[66:67], v0, v0, v2
	v_rcp_f32_e32 v4, v1
	s_or_b64 s[66:67], s[44:45], exec
	v_fma_f32 v5, -v1, v4, 1.0
	v_fmac_f32_e32 v4, v5, v4
	v_div_scale_f32 v5, vcc, v2, v0, v2
	v_mul_f32_e32 v6, v5, v4
	v_fma_f32 v7, -v1, v6, v5
	v_fmac_f32_e32 v6, v7, v4
	v_fma_f32 v1, -v1, v6, v5
	v_div_fmas_f32 v1, v1, v4, v6
	v_div_fixup_f32 v2, v1, v0, v2
.LBB14_321:                             ;   in Loop: Header=BB14_15 Depth=1
	s_or_b64 exec, exec, s[50:51]
	s_andn2_b64 s[50:51], s[44:45], exec
	s_and_b64 s[66:67], s[66:67], exec
	s_or_b64 s[50:51], s[50:51], s[66:67]
.LBB14_322:                             ;   in Loop: Header=BB14_15 Depth=1
	s_or_b64 exec, exec, s[42:43]
	s_andn2_b64 s[42:43], s[44:45], exec
	s_and_b64 s[50:51], s[50:51], exec
	s_or_b64 s[42:43], s[42:43], s[50:51]
.LBB14_323:                             ;   in Loop: Header=BB14_15 Depth=1
	s_or_b64 exec, exec, s[40:41]
	s_andn2_b64 s[40:41], s[44:45], exec
	s_and_b64 s[42:43], s[42:43], exec
	s_or_b64 s[44:45], s[40:41], s[42:43]
.LBB14_324:                             ;   in Loop: Header=BB14_15 Depth=1
	s_or_b64 exec, exec, s[8:9]
.LBB14_325:                             ;   in Loop: Header=BB14_15 Depth=1
	s_and_saveexec_b64 s[8:9], s[44:45]
	s_cbranch_execz .LBB14_14
; %bb.326:                              ;   in Loop: Header=BB14_15 Depth=1
	v_mul_lo_u32 v0, v243, s89
	v_ashrrev_i32_e32 v1, 31, v0
	v_add_co_u32_e32 v4, vcc, v0, v32
	v_addc_co_u32_e32 v5, vcc, 0, v1, vcc
	v_lshlrev_b64 v[4:5], 3, v[4:5]
	v_mov_b32_e32 v0, s99
	v_add_co_u32_e32 v4, vcc, s91, v4
	v_addc_co_u32_e32 v5, vcc, v0, v5, vcc
	global_store_dwordx2 v[4:5], v[2:3], off offset:256
	s_branch .LBB14_14
.LBB14_327:
	v_readlane_b32 s18, v253, 34
	s_andn2_b64 vcc, exec, s[8:9]
	s_cbranch_vccnz .LBB14_12
.LBB14_328:
	v_readlane_b32 s11, v253, 7
	s_abs_i32 s4, s11
	v_cvt_f32_u32_e32 v0, s4
	s_sub_i32 s7, 0, s4
	s_abs_i32 s6, s98
	s_xor_b32 s5, s98, s11
	v_rcp_iflag_f32_e32 v0, v0
	s_ashr_i32 s5, s5, 31
	v_readlane_b32 s12, v253, 6
	v_readlane_b32 s13, v253, 3
	v_mul_f32_e32 v0, 0x4f7ffffe, v0
	v_cvt_u32_f32_e32 v0, v0
	s_mov_b64 s[44:45], 0
	v_readfirstlane_b32 s8, v0
	s_mul_i32 s7, s7, s8
	s_mul_hi_u32 s7, s8, s7
	s_add_i32 s8, s8, s7
	s_mul_hi_u32 s7, s6, s8
	s_mul_i32 s8, s7, s4
	s_sub_i32 s6, s6, s8
	s_add_i32 s9, s7, 1
	s_sub_i32 s8, s6, s4
	s_cmp_ge_u32 s6, s4
	s_cselect_b32 s7, s9, s7
	s_cselect_b32 s6, s8, s6
	s_add_i32 s8, s7, 1
	s_cmp_ge_u32 s6, s4
	s_cselect_b32 s4, s8, s7
	s_abs_i32 s6, s12
	v_cvt_f32_u32_e32 v0, s6
	s_xor_b32 s4, s4, s5
	s_sub_i32 s7, 0, s6
	s_sub_i32 s10, s4, s5
	v_rcp_iflag_f32_e32 v0, v0
	s_mul_i32 s4, s10, s11
	s_sub_i32 s4, s98, s4
	s_abs_i32 s8, s4
	v_mul_f32_e32 v0, 0x4f7ffffe, v0
	v_cvt_u32_f32_e32 v0, v0
	s_xor_b32 s5, s4, s12
	s_ashr_i32 s5, s5, 31
	v_readfirstlane_b32 s9, v0
	s_mul_i32 s7, s7, s9
	s_mul_hi_u32 s7, s9, s7
	s_add_i32 s9, s9, s7
	s_mul_hi_u32 s7, s8, s9
	s_mul_i32 s9, s7, s6
	s_sub_i32 s8, s8, s9
	s_add_i32 s11, s7, 1
	s_sub_i32 s9, s8, s6
	s_cmp_ge_u32 s8, s6
	s_cselect_b32 s7, s11, s7
	s_cselect_b32 s8, s9, s8
	s_add_i32 s9, s7, 1
	s_cmp_ge_u32 s8, s6
	s_cselect_b32 s6, s9, s7
	s_abs_i32 s7, s13
	v_cvt_f32_u32_e32 v0, s7
	s_xor_b32 s6, s6, s5
	s_sub_i32 s8, 0, s7
	s_sub_i32 s11, s6, s5
	v_rcp_iflag_f32_e32 v0, v0
	s_mul_i32 s5, s11, s12
	s_sub_i32 s5, s4, s5
	s_abs_i32 s6, s5
	v_mul_f32_e32 v0, 0x4f7ffffe, v0
	v_cvt_u32_f32_e32 v0, v0
	s_xor_b32 s4, s5, s13
	s_ashr_i32 s4, s4, 31
	v_readfirstlane_b32 s9, v0
	s_mul_i32 s8, s8, s9
	s_mul_hi_u32 s8, s9, s8
	s_add_i32 s9, s9, s8
	s_mul_hi_u32 s8, s6, s9
	s_mul_i32 s9, s8, s7
	s_sub_i32 s6, s6, s9
	s_add_i32 s12, s8, 1
	s_sub_i32 s9, s6, s7
	s_cmp_ge_u32 s6, s7
	s_cselect_b32 s8, s12, s8
	s_cselect_b32 s6, s9, s6
	s_add_i32 s9, s8, 1
	s_cmp_ge_u32 s6, s7
	s_cselect_b32 s6, s9, s8
	s_xor_b32 s6, s6, s4
	s_sub_i32 s4, s6, s4
	s_mul_i32 s6, s4, s13
	s_sub_i32 s5, s5, s6
	s_abs_i32 s14, s5
	v_readlane_b32 s6, v253, 30
	s_ashr_i32 s12, s10, 31
	s_mul_hi_u32 s13, s14, s6
	s_cmp_eq_u64 s[78:79], 0
	s_cbranch_scc1 .LBB14_330
; %bb.329:
	v_readlane_b32 s6, v253, 32
	s_abs_i32 s6, s6
	v_cvt_f32_u32_e32 v0, s6
	s_sub_i32 s8, 0, s6
	v_readlane_b32 s7, v253, 33
	s_abs_i32 s7, s10
	v_rcp_iflag_f32_e32 v0, v0
	v_readlane_b32 s16, v253, 21
	v_readlane_b32 s17, v253, 22
	v_mul_f32_e32 v0, 0x4f7ffffe, v0
	v_cvt_u32_f32_e32 v0, v0
	v_readfirstlane_b32 s9, v0
	s_mul_i32 s8, s8, s9
	s_mul_hi_u32 s8, s9, s8
	s_add_i32 s9, s9, s8
	s_mul_hi_u32 s8, s7, s9
	s_mul_i32 s8, s8, s6
	s_sub_i32 s7, s7, s8
	s_sub_i32 s8, s7, s6
	s_cmp_ge_u32 s7, s6
	s_cselect_b32 s7, s8, s7
	s_sub_i32 s8, s7, s6
	s_cmp_ge_u32 s7, s6
	s_cselect_b32 s6, s8, s7
	s_xor_b32 s6, s6, s12
	s_sub_i32 s6, s6, s12
	s_ashr_i32 s7, s6, 31
	s_mul_i32 s8, s6, s17
	s_mul_hi_u32 s9, s6, s16
	s_add_i32 s8, s9, s8
	s_mul_i32 s7, s7, s16
	s_add_i32 s8, s8, s7
	s_mul_i32 s6, s6, s16
	s_add_u32 s44, s78, s6
	s_addc_u32 s45, s79, s8
.LBB14_330:
	s_ashr_i32 s16, s5, 31
	v_readlane_b32 s5, v253, 2
	s_mul_i32 s15, s11, s5
	s_add_i32 s15, s15, s4
	v_cmp_le_f32_e64 s[4:5], s93, 0
	s_and_b64 vcc, exec, s[4:5]
	v_mov_b32_e32 v36, 1.0
	s_cbranch_vccnz .LBB14_332
; %bb.331:
	v_readlane_b32 s5, v253, 18
	s_sub_i32 s4, s15, s5
	s_lshl_b32 s4, s4, 1
	s_add_i32 s6, s15, 1
	s_or_b32 s7, s4, 1
	s_cmp_lt_u32 s15, s5
	s_cselect_b64 vcc, -1, 0
	s_and_b64 s[4:5], vcc, exec
	v_mov_b32_e32 v0, s95
	v_mov_b32_e32 v1, s94
	s_cselect_b32 s4, s6, s7
	v_cndmask_b32_e32 v16, v0, v1, vcc
	v_cvt_f32_i32_e32 v0, s4
	v_cmp_neq_f32_e32 vcc, 1.0, v16
	s_mov_b32 s4, 0x3f2aaaab
	s_movk_i32 s6, 0x204
	v_cndmask_b32_e32 v17, 1.0, v0, vcc
	v_cmp_eq_f32_e32 vcc, 0, v17
	v_cndmask_b32_e64 v18, |v16|, 1.0, vcc
	v_frexp_mant_f32_e32 v0, v18
	v_cmp_gt_f32_e64 s[4:5], s4, v0
	v_cndmask_b32_e64 v1, 1.0, 2.0, s[4:5]
	v_mul_f32_e32 v0, v0, v1
	v_add_f32_e32 v3, 1.0, v0
	v_rcp_f32_e32 v8, v3
	v_add_f32_e32 v1, -1.0, v3
	v_sub_f32_e32 v5, v0, v1
	v_add_f32_e32 v1, -1.0, v0
	v_mul_f32_e32 v9, v1, v8
	v_mul_f32_e32 v2, v3, v9
	v_fma_f32 v4, v9, v3, -v2
	v_fmac_f32_e32 v4, v9, v5
	v_add_f32_e32 v0, v2, v4
	v_sub_f32_e32 v3, v1, v0
	v_pk_add_f32 v[6:7], v[0:1], v[2:3] neg_lo:[0,1] neg_hi:[0,1]
	v_mov_b32_e32 v5, v0
	v_pk_add_f32 v[0:1], v[6:7], v[4:5] neg_lo:[0,1] neg_hi:[0,1]
	v_add_f32_e32 v0, v0, v1
	v_add_f32_e32 v0, v3, v0
	v_mul_f32_e32 v1, v8, v0
	v_add_f32_e32 v0, v9, v1
	v_sub_f32_e32 v2, v0, v9
	v_sub_f32_e32 v10, v1, v2
	v_mul_f32_e32 v1, v0, v0
	v_fma_f32 v3, v0, v0, -v1
	v_add_f32_e32 v2, v10, v10
	v_fmac_f32_e32 v3, v0, v2
	v_add_f32_e32 v2, v1, v3
	v_mov_b32_e32 v4, 0x3e91f4c4
	v_fmac_f32_e32 v4, 0x3e76c4e1, v2
	v_mov_b32_e32 v5, 0x3ecccdef
	v_fmac_f32_e32 v5, v2, v4
	v_sub_f32_e32 v1, v2, v1
	v_sub_f32_e32 v11, v3, v1
	v_mul_f32_e32 v1, v2, v5
	v_fma_f32 v3, v2, v5, -v1
	v_fmac_f32_e32 v3, v11, v5
	v_add_f32_e32 v4, v1, v3
	v_add_f32_e32 v5, 0x3f2aaaaa, v4
	v_sub_f32_e32 v1, v4, v1
	v_sub_f32_e32 v1, v3, v1
	v_add_f32_e32 v3, 0xbf2aaaaa, v5
	v_add_f32_e32 v1, 0x31739010, v1
	v_sub_f32_e32 v3, v4, v3
	v_pk_mul_f32 v[6:7], v[0:1], v[2:3]
	v_fma_f32 v4, v2, v0, -v6
	v_pk_add_f32 v[8:9], v[0:1], v[2:3]
	v_fmac_f32_e32 v4, v2, v10
	v_mov_b32_e32 v7, v9
	v_fmac_f32_e32 v4, v11, v0
	v_pk_add_f32 v[2:3], v[6:7], v[4:5]
	v_sub_f32_e32 v1, v2, v6
	v_sub_f32_e32 v1, v4, v1
	v_sub_f32_e32 v4, v5, v3
	v_add_f32_e32 v7, v9, v4
	v_mov_b32_e32 v4, v3
	v_pk_mul_f32 v[4:5], v[2:3], v[4:5]
	v_cvt_f64_f32_e32 v[8:9], v18
	v_frexp_exp_i32_f64_e32 v5, v[8:9]
	v_subbrev_co_u32_e64 v5, s[4:5], 0, v5, s[4:5]
	v_cvt_f32_i32_e32 v5, v5
	v_fma_f32 v6, v2, v3, -v4
	v_fmac_f32_e32 v6, v2, v7
	s_mov_b32 s4, 0x3f317218
	v_mul_f32_e32 v2, 0x3f317218, v5
	v_fmac_f32_e32 v6, v1, v3
	v_fma_f32 v8, v5, s4, -v2
	v_fmac_f32_e32 v8, 0xb102e308, v5
	v_ldexp_f32 v9, v0, 1
	v_add_f32_e32 v3, v4, v6
	v_pk_add_f32 v[0:1], v[2:3], v[8:9]
	v_ldexp_f32 v12, v10, 1
	v_mov_b32_e32 v10, v3
	v_mov_b32_e32 v11, v1
	v_mov_b32_e32 v5, v9
	v_pk_add_f32 v[4:5], v[10:11], v[4:5] neg_lo:[0,1] neg_hi:[0,1]
	v_mov_b32_e32 v7, v3
	v_pk_add_f32 v[4:5], v[6:7], v[4:5] neg_lo:[0,1] neg_hi:[0,1]
	v_add_f32_e32 v3, v12, v4
	v_add_f32_e32 v3, v3, v5
	v_pk_add_f32 v[4:5], v[0:1], v[2:3] neg_lo:[0,1] neg_hi:[0,1]
	v_pk_add_f32 v[6:7], v[0:1], v[2:3]
	v_mov_b32_e32 v10, v4
	v_mov_b32_e32 v11, v7
	;; [unrolled: 1-line block ×3, first 2 shown]
	v_pk_add_f32 v[10:11], v[8:9], v[10:11]
	v_mov_b32_e32 v2, v11
	v_pk_add_f32 v[12:13], v[2:3], v[0:1] neg_lo:[0,1] neg_hi:[0,1]
	v_mov_b32_e32 v13, v12
	v_mov_b32_e32 v10, v7
	v_mov_b32_e32 v0, v1
	v_mov_b32_e32 v1, v12
	v_pk_add_f32 v[4:5], v[8:9], v[4:5] neg_lo:[0,1] neg_hi:[0,1]
	v_pk_add_f32 v[14:15], v[6:7], v[12:13] neg_lo:[0,1] neg_hi:[0,1]
	;; [unrolled: 1-line block ×3, first 2 shown]
	v_mov_b32_e32 v8, v3
	v_pk_add_f32 v[0:1], v[8:9], v[0:1] neg_lo:[0,1] neg_hi:[0,1]
	v_mov_b32_e32 v14, v4
	v_pk_add_f32 v[6:7], v[14:15], v[0:1]
	v_mov_b32_e32 v8, v7
	v_pk_add_f32 v[8:9], v[6:7], v[8:9]
	v_pk_add_f32 v[2:3], v[2:3], v[8:9]
	v_mov_b32_e32 v5, v11
	v_mov_b32_e32 v7, v2
	v_pk_add_f32 v[10:11], v[6:7], v[4:5] neg_lo:[0,1] neg_hi:[0,1]
	v_mov_b32_e32 v1, v8
	v_sub_f32_e32 v3, v6, v10
	v_pk_add_f32 v[0:1], v[0:1], v[10:11] neg_lo:[0,1] neg_hi:[0,1]
	v_sub_f32_e32 v3, v4, v3
	v_add_f32_e32 v0, v0, v3
	v_add_f32_e32 v0, v0, v1
	;; [unrolled: 1-line block ×3, first 2 shown]
	v_sub_f32_e32 v2, v1, v2
	v_sub_f32_e32 v0, v0, v2
	v_mul_f32_e32 v2, v17, v1
	v_fma_f32 v1, v17, v1, -v2
	v_fmac_f32_e32 v1, v17, v0
	v_add_f32_e32 v0, v2, v1
	v_cmp_class_f32_e64 s[4:5], v2, s6
	v_sub_f32_e32 v3, v0, v2
	v_cndmask_b32_e64 v0, v0, v2, s[4:5]
	s_mov_b32 s8, 0x42b17218
	v_mov_b32_e32 v2, 0x37000000
	v_cmp_eq_f32_e64 s[4:5], s8, v0
	v_cndmask_b32_e64 v2, 0, v2, s[4:5]
	v_sub_f32_e32 v1, v1, v3
	v_sub_f32_e32 v3, v0, v2
	s_mov_b32 s4, 0x3fb8aa3b
	v_mul_f32_e32 v4, 0x3fb8aa3b, v3
	v_fma_f32 v5, v3, s4, -v4
	v_rndne_f32_e32 v6, v4
	v_fmac_f32_e32 v5, 0x32a5705f, v3
	v_sub_f32_e32 v4, v4, v6
	v_add_f32_e32 v4, v4, v5
	v_exp_f32_e32 v4, v4
	v_cvt_i32_f32_e32 v5, v6
	s_mov_b32 s7, 0x7f800000
	v_cmp_neq_f32_e64 s[4:5], |v0|, s7
	v_cndmask_b32_e64 v0, 0, v1, s[4:5]
	s_mov_b32 s4, 0xc2ce8ed0
	v_ldexp_f32 v1, v4, v5
	v_cmp_ngt_f32_e64 s[4:5], s4, v3
	v_add_f32_e32 v0, v2, v0
	v_cndmask_b32_e64 v1, 0, v1, s[4:5]
	v_mov_b32_e32 v2, 0x7f800000
	v_cmp_nlt_f32_e64 s[4:5], s8, v3
	v_cndmask_b32_e64 v1, v2, v1, s[4:5]
	v_fma_f32 v0, v1, v0, v1
	v_cmp_class_f32_e64 s[4:5], v1, s6
	v_trunc_f32_e32 v3, v17
	v_cndmask_b32_e64 v0, v0, v1, s[4:5]
	v_cndmask_b32_e64 v1, v16, 1.0, vcc
	v_cmp_eq_f32_e32 vcc, v3, v17
	v_mul_f32_e32 v3, 0.5, v17
	v_trunc_f32_e32 v5, v3
	v_cmp_neq_f32_e64 s[4:5], v5, v3
	s_and_b64 s[4:5], vcc, s[4:5]
	v_cndmask_b32_e64 v3, 1.0, v1, s[4:5]
	s_brev_b32 s17, -2
	v_mov_b32_e32 v4, 0x7fc00000
	v_bfi_b32 v0, s17, v0, v3
	v_cndmask_b32_e32 v3, v4, v0, vcc
	v_cmp_gt_f32_e32 vcc, 0, v1
	v_cndmask_b32_e32 v0, v0, v3, vcc
	v_cmp_eq_f32_e32 vcc, s7, v18
	v_cmp_eq_f32_e64 s[6:7], 0, v1
	v_cmp_gt_f32_e64 s[8:9], 0, v17
	s_xor_b64 s[8:9], s[8:9], s[6:7]
	v_cndmask_b32_e64 v2, v2, 0, s[8:9]
	v_cndmask_b32_e64 v3, 0, v1, s[4:5]
	v_bfi_b32 v2, s17, v2, v3
	s_or_b64 vcc, vcc, s[6:7]
	v_cndmask_b32_e32 v0, v0, v2, vcc
	v_cmp_o_f32_e32 vcc, v1, v1
	v_cndmask_b32_e32 v36, v4, v0, vcc
.LBB14_332:
	v_readlane_b32 s8, v253, 31
	s_mul_i32 s5, s13, s8
	v_readlane_b32 s4, v253, 29
	s_sub_i32 s5, s14, s5
	s_xor_b32 s4, s16, s4
	s_add_i32 s6, s13, 1
	s_sub_i32 s7, s5, s8
	s_cmp_ge_u32 s5, s8
	s_cselect_b32 s6, s6, s13
	s_cselect_b32 s5, s7, s5
	s_add_i32 s7, s6, 1
	s_cmp_ge_u32 s5, s8
	s_cselect_b32 s5, s7, s6
	s_xor_b32 s5, s5, s4
	s_sub_i32 s4, s5, s4
	s_cmp_eq_u64 s[82:83], 0
	v_mov_b32_e32 v12, s18
	s_cbranch_scc1 .LBB14_334
; %bb.333:
	v_readlane_b32 s5, v253, 0
	s_mul_i32 s5, s10, s5
	s_add_i32 s6, s4, s5
	s_ashr_i32 s7, s6, 31
	s_lshl_b64 s[6:7], s[6:7], 2
	s_add_u32 s6, s82, s6
	s_addc_u32 s7, s83, s7
	v_mov_b32_e32 v0, 0
	global_load_dword v0, v0, s[6:7]
	s_waitcnt vmcnt(0)
	v_ashrrev_i32_e32 v1, 31, v0
	v_lshrrev_b32_e32 v1, 26, v1
	v_add_u32_e32 v0, v0, v1
	v_ashrrev_i32_e32 v0, 6, v0
	v_min_i32_e32 v12, s18, v0
.LBB14_334:
	buffer_load_dword v0, off, s[0:3], 0 offset:76 ; 4-byte Folded Reload
	v_readlane_b32 s8, v253, 10
	v_readlane_b32 s9, v253, 11
	s_mul_i32 s5, s10, s9
	s_ashr_i32 s6, s5, 31
	s_add_u32 s5, s72, s5
	s_mul_i32 s15, s15, s8
	s_addc_u32 s7, s73, s6
	s_ashr_i32 s8, s15, 31
	s_add_u32 s6, s5, s15
	s_addc_u32 s7, s7, s8
	s_lshl_b32 s48, s4, 6
	s_waitcnt vmcnt(0)
	v_and_b32_e32 v83, 0x3ff, v0
	v_lshrrev_b32_e32 v0, 5, v83
	v_lshl_add_u32 v80, v109, 1, v0
	v_and_b32_e32 v34, 31, v83
	v_add_u32_e32 v0, s48, v80
	v_cmp_le_i32_e32 vcc, s88, v0
	v_mad_u32_u24 v35, v80, 52, v34
	s_and_saveexec_b64 s[4:5], vcc
	s_xor_b64 s[4:5], exec, s[4:5]
	s_cbranch_execz .LBB14_336
; %bb.335:
	v_lshl_add_u32 v0, v35, 2, 0
	v_mov_b32_e32 v1, 0
	ds_write_b32 v0, v1
                                        ; implicit-def: $vgpr0
.LBB14_336:
	s_andn2_saveexec_b64 s[4:5], s[4:5]
	s_cbranch_execz .LBB14_338
; %bb.337:
	v_mad_u64_u32 v[0:1], s[8:9], v0, s96, v[34:35]
	v_ashrrev_i32_e32 v1, 31, v0
	v_lshlrev_b64 v[0:1], 3, v[0:1]
	v_mov_b32_e32 v2, s7
	v_add_co_u32_e32 v0, vcc, s6, v0
	v_addc_co_u32_e32 v1, vcc, v2, v1, vcc
	global_load_dwordx2 v[0:1], v[0:1], off
	s_waitcnt vmcnt(0)
	v_cvt_f16_f32_e32 v0, v0
	v_cvt_f16_f32_e32 v1, v1
	v_pack_b32_f16 v0, v0, v1
	v_pk_mul_f16 v0, v47, v0
	v_lshl_add_u32 v1, v35, 2, 0
	ds_write_b32 v1, v0
.LBB14_338:
	s_or_b64 exec, exec, s[4:5]
	v_add_u32_e32 v78, 8, v80
	v_add_u32_e32 v0, s48, v78
	v_cmp_le_i32_e32 vcc, s88, v0
	s_and_saveexec_b64 s[4:5], vcc
	s_xor_b64 s[4:5], exec, s[4:5]
	s_cbranch_execz .LBB14_340
; %bb.339:
	v_mad_u32_u24 v0, v78, 52, v34
	v_lshl_add_u32 v0, v0, 2, 0
	v_mov_b32_e32 v1, 0
	ds_write_b32 v0, v1
                                        ; implicit-def: $vgpr0
.LBB14_340:
	s_andn2_saveexec_b64 s[4:5], s[4:5]
	s_cbranch_execz .LBB14_342
; %bb.341:
	v_mad_u64_u32 v[0:1], s[8:9], v0, s96, v[34:35]
	v_ashrrev_i32_e32 v1, 31, v0
	v_lshlrev_b64 v[0:1], 3, v[0:1]
	v_mov_b32_e32 v2, s7
	v_add_co_u32_e32 v0, vcc, s6, v0
	v_addc_co_u32_e32 v1, vcc, v2, v1, vcc
	global_load_dwordx2 v[0:1], v[0:1], off
	v_mad_u32_u24 v2, v78, 52, v34
	s_waitcnt vmcnt(0)
	v_cvt_f16_f32_e32 v0, v0
	v_cvt_f16_f32_e32 v1, v1
	v_pack_b32_f16 v0, v0, v1
	v_pk_mul_f16 v0, v47, v0
	v_lshl_add_u32 v1, v2, 2, 0
	ds_write_b32 v1, v0
.LBB14_342:
	s_or_b64 exec, exec, s[4:5]
	v_add_u32_e32 v82, 16, v80
	v_add_u32_e32 v0, s48, v82
	v_cmp_le_i32_e32 vcc, s88, v0
	s_and_saveexec_b64 s[4:5], vcc
	s_xor_b64 s[4:5], exec, s[4:5]
	s_cbranch_execz .LBB14_344
; %bb.343:
	v_mad_u32_u24 v0, v82, 52, v34
	v_lshl_add_u32 v0, v0, 2, 0
	v_mov_b32_e32 v1, 0
	ds_write_b32 v0, v1
                                        ; implicit-def: $vgpr0
.LBB14_344:
	s_andn2_saveexec_b64 s[4:5], s[4:5]
	s_cbranch_execz .LBB14_346
; %bb.345:
	v_mad_u64_u32 v[0:1], s[8:9], v0, s96, v[34:35]
	v_ashrrev_i32_e32 v1, 31, v0
	v_lshlrev_b64 v[0:1], 3, v[0:1]
	v_mov_b32_e32 v2, s7
	v_add_co_u32_e32 v0, vcc, s6, v0
	v_addc_co_u32_e32 v1, vcc, v2, v1, vcc
	global_load_dwordx2 v[0:1], v[0:1], off
	v_mad_u32_u24 v2, v82, 52, v34
	s_waitcnt vmcnt(0)
	v_cvt_f16_f32_e32 v0, v0
	v_cvt_f16_f32_e32 v1, v1
	v_pack_b32_f16 v0, v0, v1
	v_pk_mul_f16 v0, v47, v0
	v_lshl_add_u32 v1, v2, 2, 0
	ds_write_b32 v1, v0
.LBB14_346:
	;; [unrolled: 33-line block ×7, first 2 shown]
	s_or_b64 exec, exec, s[4:5]
	v_lshrrev_b32_e32 v0, 4, v83
	v_lshl_add_u32 v87, v109, 2, v0
	v_and_b32_e32 v86, 15, v83
	v_add_u32_e32 v0, s48, v87
	v_cmp_le_i32_e32 vcc, s88, v0
	v_mad_u32_u24 v136, v87, 52, v86
	s_and_saveexec_b64 s[4:5], vcc
	s_xor_b64 s[4:5], exec, s[4:5]
	s_cbranch_execz .LBB14_368
; %bb.367:
	v_lshl_add_u32 v0, v136, 2, 0
	v_mov_b32_e32 v1, 0
	ds_write_b32 v0, v1 offset:128
                                        ; implicit-def: $vgpr0
.LBB14_368:
	s_andn2_saveexec_b64 s[4:5], s[4:5]
	s_cbranch_execz .LBB14_370
; %bb.369:
	v_mul_lo_u32 v0, v0, s96
	v_ashrrev_i32_e32 v1, 31, v0
	v_add_co_u32_e32 v0, vcc, v0, v86
	v_addc_co_u32_e32 v1, vcc, 0, v1, vcc
	v_lshlrev_b64 v[0:1], 3, v[0:1]
	v_mov_b32_e32 v2, s7
	v_add_co_u32_e32 v0, vcc, s6, v0
	v_addc_co_u32_e32 v1, vcc, v2, v1, vcc
	global_load_dwordx2 v[0:1], v[0:1], off offset:256
	s_waitcnt vmcnt(0)
	v_cvt_f16_f32_e32 v0, v0
	v_cvt_f16_f32_e32 v1, v1
	v_pack_b32_f16 v0, v0, v1
	v_pk_mul_f16 v0, v47, v0
	v_lshl_add_u32 v1, v136, 2, 0
	ds_write_b32 v1, v0 offset:128
.LBB14_370:
	s_or_b64 exec, exec, s[4:5]
	v_add_u32_e32 v90, 16, v87
	v_add_u32_e32 v0, s48, v90
	v_cmp_le_i32_e32 vcc, s88, v0
	s_and_saveexec_b64 s[4:5], vcc
	s_xor_b64 s[4:5], exec, s[4:5]
	s_cbranch_execz .LBB14_372
; %bb.371:
	v_mad_u32_u24 v0, v90, 52, v86
	v_lshl_add_u32 v0, v0, 2, 0
	v_mov_b32_e32 v1, 0
	ds_write_b32 v0, v1 offset:128
                                        ; implicit-def: $vgpr0
.LBB14_372:
	s_andn2_saveexec_b64 s[4:5], s[4:5]
	s_cbranch_execz .LBB14_374
; %bb.373:
	v_mul_lo_u32 v0, v0, s96
	v_ashrrev_i32_e32 v1, 31, v0
	v_add_co_u32_e32 v0, vcc, v0, v86
	v_addc_co_u32_e32 v1, vcc, 0, v1, vcc
	v_lshlrev_b64 v[0:1], 3, v[0:1]
	v_mov_b32_e32 v2, s7
	v_add_co_u32_e32 v0, vcc, s6, v0
	v_addc_co_u32_e32 v1, vcc, v2, v1, vcc
	global_load_dwordx2 v[0:1], v[0:1], off offset:256
	v_mad_u32_u24 v2, v90, 52, v86
	s_waitcnt vmcnt(0)
	v_cvt_f16_f32_e32 v0, v0
	v_cvt_f16_f32_e32 v1, v1
	v_pack_b32_f16 v0, v0, v1
	v_pk_mul_f16 v0, v47, v0
	v_lshl_add_u32 v1, v2, 2, 0
	ds_write_b32 v1, v0 offset:128
.LBB14_374:
	s_or_b64 exec, exec, s[4:5]
	v_add_u32_e32 v91, 32, v87
	v_add_u32_e32 v0, s48, v91
	v_cmp_le_i32_e32 vcc, s88, v0
	s_and_saveexec_b64 s[4:5], vcc
	s_xor_b64 s[4:5], exec, s[4:5]
	s_cbranch_execz .LBB14_376
; %bb.375:
	v_mad_u32_u24 v0, v91, 52, v86
	v_lshl_add_u32 v0, v0, 2, 0
	v_mov_b32_e32 v1, 0
	ds_write_b32 v0, v1 offset:128
                                        ; implicit-def: $vgpr0
.LBB14_376:
	s_andn2_saveexec_b64 s[4:5], s[4:5]
	s_cbranch_execz .LBB14_378
; %bb.377:
	v_mul_lo_u32 v0, v0, s96
	v_ashrrev_i32_e32 v1, 31, v0
	v_add_co_u32_e32 v0, vcc, v0, v86
	v_addc_co_u32_e32 v1, vcc, 0, v1, vcc
	v_lshlrev_b64 v[0:1], 3, v[0:1]
	v_mov_b32_e32 v2, s7
	v_add_co_u32_e32 v0, vcc, s6, v0
	v_addc_co_u32_e32 v1, vcc, v2, v1, vcc
	global_load_dwordx2 v[0:1], v[0:1], off offset:256
	v_mad_u32_u24 v2, v91, 52, v86
	s_waitcnt vmcnt(0)
	v_cvt_f16_f32_e32 v0, v0
	v_cvt_f16_f32_e32 v1, v1
	v_pack_b32_f16 v0, v0, v1
	v_pk_mul_f16 v0, v47, v0
	v_lshl_add_u32 v1, v2, 2, 0
	ds_write_b32 v1, v0 offset:128
.LBB14_378:
	s_or_b64 exec, exec, s[4:5]
	v_add_u32_e32 v92, 48, v87
	v_add_u32_e32 v0, s48, v92
	v_cmp_le_i32_e32 vcc, s88, v0
	s_and_saveexec_b64 s[4:5], vcc
	s_xor_b64 s[4:5], exec, s[4:5]
	s_cbranch_execz .LBB14_380
; %bb.379:
	v_mad_u32_u24 v0, v92, 52, v86
	v_lshl_add_u32 v0, v0, 2, 0
	v_mov_b32_e32 v1, 0
	ds_write_b32 v0, v1 offset:128
                                        ; implicit-def: $vgpr0
                                        ; implicit-def: $vgpr47
.LBB14_380:
	s_andn2_saveexec_b64 s[4:5], s[4:5]
	s_cbranch_execz .LBB14_382
; %bb.381:
	v_mul_lo_u32 v0, v0, s96
	v_ashrrev_i32_e32 v1, 31, v0
	v_add_co_u32_e32 v0, vcc, v0, v86
	v_addc_co_u32_e32 v1, vcc, 0, v1, vcc
	v_lshlrev_b64 v[0:1], 3, v[0:1]
	v_mov_b32_e32 v2, s7
	v_add_co_u32_e32 v0, vcc, s6, v0
	v_addc_co_u32_e32 v1, vcc, v2, v1, vcc
	global_load_dwordx2 v[0:1], v[0:1], off offset:256
	v_mad_u32_u24 v2, v92, 52, v86
	s_waitcnt vmcnt(0)
	v_cvt_f16_f32_e32 v0, v0
	v_cvt_f16_f32_e32 v1, v1
	v_pack_b32_f16 v0, v0, v1
	v_pk_mul_f16 v0, v47, v0
	v_lshl_add_u32 v1, v2, 2, 0
	ds_write_b32 v1, v0 offset:128
.LBB14_382:
	s_or_b64 exec, exec, s[4:5]
	v_readlane_b32 s6, v253, 19
	v_readlane_b32 s7, v253, 20
	s_mul_i32 s4, s10, s7
	s_mul_hi_u32 s5, s10, s6
	s_add_i32 s4, s5, s4
	s_mul_i32 s5, s12, s6
	v_readlane_b32 s16, v253, 25
	s_add_i32 s4, s4, s5
	s_mul_i32 s5, s10, s6
	v_readlane_b32 s19, v253, 28
	s_add_u32 s5, s76, s5
	s_mul_i32 s6, s11, s19
	s_addc_u32 s4, s77, s4
	s_ashr_i32 s7, s6, 31
	v_readlane_b32 s17, v253, 26
	s_add_u32 s33, s5, s6
	s_addc_u32 s47, s4, s7
	s_mul_i32 s4, s10, s17
	s_mul_hi_u32 s5, s10, s16
	s_add_i32 s4, s5, s4
	s_mul_i32 s12, s12, s16
	v_readlane_b32 s6, v253, 23
	s_add_i32 s4, s4, s12
	s_mul_i32 s10, s10, s16
	v_readlane_b32 s7, v253, 24
	s_add_u32 s5, s74, s10
	s_mul_i32 s11, s11, s7
	s_addc_u32 s4, s75, s4
	s_ashr_i32 s6, s11, 31
	s_add_u32 s49, s5, s11
	v_lshrrev_b32_e32 v13, 3, v83
	s_addc_u32 s55, s4, s6
	s_movk_i32 s4, 0xd00
	v_and_b32_e32 v0, 0x7e, v13
	v_mad_u32_u24 v14, v109, s4, 0
	v_mul_u32_u24_e32 v110, 0xd0, v86
	v_lshlrev_b32_e32 v111, 2, v0
	v_add3_u32 v93, v14, v110, v111
	s_waitcnt lgkmcnt(0)
	s_barrier
	ds_read2_b64 v[8:11], v93 offset1:4
	ds_read2_b64 v[4:7], v93 offset0:8 offset1:12
	ds_read2_b64 v[0:3], v93 offset0:16 offset1:20
	v_add_u32_e32 v118, -1, v12
	v_cmp_ge_i32_e32 vcc, s70, v118
	s_movk_i32 s10, 0xd0
	s_mov_b32 s56, 0
	s_and_b64 vcc, exec, vcc
	v_mov_b32_e32 v94, 0
	v_lshlrev_b32_e32 v117, 1, v83
	v_mbcnt_lo_u32_b32 v105, -1, 0
	v_lshrrev_b32_e32 v106, 2, v83
	v_lshlrev_b32_e32 v112, 2, v83
	v_lshl_add_u32 v104, v109, 3, v13
	v_lshl_or_b32 v69, v13, 2, 4
	v_lshlrev_b32_e32 v103, 1, v86
	v_readlane_b32 s18, v253, 27
	s_waitcnt lgkmcnt(0)
	s_barrier
	s_cbranch_vccnz .LBB14_398
; %bb.383:
	v_add_u32_e32 v28, s48, v109
	v_readlane_b32 s14, v253, 13
	v_add_u32_e32 v29, 32, v28
	v_mul_hi_u32 v30, s14, v29
	v_readlane_b32 s15, v253, 14
	v_add_u32_e32 v30, v29, v30
	v_lshrrev_b32_e32 v30, s15, v30
	v_mul_lo_u32 v30, v30, s88
	v_sub_u32_e32 v29, v29, v30
	v_mad_i64_i32 v[50:51], s[12:13], v29, s90, 0
	v_add_u32_e32 v29, 36, v28
	v_mul_hi_u32 v30, s14, v29
	v_add_u32_e32 v30, v29, v30
	v_lshrrev_b32_e32 v30, s15, v30
	v_mul_lo_u32 v30, v30, s88
	v_sub_u32_e32 v29, v29, v30
	v_mad_i64_i32 v[52:53], s[12:13], v29, s90, 0
	v_add_u32_e32 v29, 40, v28
	v_mul_hi_u32 v30, s14, v29
	;; [unrolled: 7-line block ×5, first 2 shown]
	v_add_u32_e32 v30, v29, v30
	v_lshrrev_b32_e32 v30, s15, v30
	v_mul_lo_u32 v30, v30, s88
	v_sub_u32_e32 v29, v29, v30
	v_mov_b32_e32 v12, s45
	v_add_co_u32_e32 v120, vcc, s44, v117
	v_mad_i64_i32 v[60:61], s[12:13], v29, s90, 0
	v_add_u32_e32 v29, 56, v28
	v_addc_co_u32_e32 v121, vcc, 0, v12, vcc
	v_mul_hi_u32 v12, s14, v28
	v_mul_hi_u32 v30, s14, v29
	v_add_u32_e32 v12, v28, v12
	v_add_u32_e32 v30, v29, v30
	v_lshrrev_b32_e32 v12, s15, v12
	v_lshrrev_b32_e32 v30, s15, v30
	v_mul_lo_u32 v12, v12, s88
	v_mul_i32_i24_e32 v15, 0xfffff390, v109
	v_mul_lo_u32 v30, v30, s88
	v_sub_u32_e32 v12, v28, v12
	v_add3_u32 v122, v14, v15, v117
	v_add_u32_e32 v14, 4, v28
	v_add_u32_e32 v16, 8, v28
	;; [unrolled: 1-line block ×7, first 2 shown]
	v_sub_u32_e32 v29, v29, v30
	v_add_u32_e32 v28, 60, v28
	v_mad_i64_i32 v[62:63], s[12:13], v29, s90, 0
	v_mul_hi_u32 v29, s14, v28
	v_add_u32_e32 v29, v28, v29
	v_lshrrev_b32_e32 v29, s15, v29
	v_mul_lo_u32 v29, v29, s88
	v_sub_u32_e32 v28, v28, v29
	v_mad_i64_i32 v[64:65], s[12:13], v28, s90, 0
	v_mbcnt_hi_u32_b32 v28, -1, v105
	v_and_b32_e32 v29, 64, v28
	v_add_u32_e32 v29, 64, v29
	v_xor_b32_e32 v30, 32, v28
	v_cmp_lt_i32_e32 vcc, v30, v29
	v_cndmask_b32_e32 v30, v28, v30, vcc
	v_lshlrev_b32_e32 v138, 2, v30
	v_xor_b32_e32 v30, 16, v28
	v_cmp_lt_i32_e32 vcc, v30, v29
	v_cndmask_b32_e32 v28, v28, v30, vcc
	v_lshlrev_b32_e32 v139, 2, v28
	v_add_u32_e32 v28, v164, v106
	v_and_b32_e32 v68, 12, v112
	v_mad_u32_u24 v29, v28, s10, 0
	v_lshlrev_b32_e32 v30, 2, v68
	s_movk_i32 s57, 0x80
	v_and_b32_e32 v70, 28, v112
	v_add3_u32 v140, v29, v30, s57
	v_mul_u32_u24_e32 v29, 0xd0, v104
	v_lshlrev_b32_e32 v30, 2, v70
	v_add3_u32 v141, 0, v29, v30
	v_and_b32_e32 v29, 0xfc, v106
	v_cmp_gt_u32_e64 s[42:43], 64, v28
	v_mul_lo_u32 v66, s46, v28
	v_mul_lo_u32 v76, s54, v28
	v_mul_u32_u24_e32 v28, 0x68, v29
	s_cmp_lg_u64 s[44:45], 0
	v_or_b32_e32 v28, v28, v86
	s_cselect_b64 s[8:9], -1, 0
	v_lshlrev_b32_e32 v28, 1, v28
	s_add_i32 s40, 0, 0xd00
	v_add_u32_e32 v149, s40, v28
	s_add_i32 s40, 0, 0x1a00
	v_add_u32_e32 v150, s40, v28
	;; [unrolled: 2-line block ×13, first 2 shown]
	s_add_i32 s40, 0, 0x80
	v_or_b32_e32 v30, v164, v86
	v_add_u32_e32 v164, s40, v28
	s_add_i32 s40, 0, 0xd80
	v_mul_hi_u32 v15, s14, v14
	v_mul_hi_u32 v17, s14, v16
	;; [unrolled: 1-line block ×7, first 2 shown]
	v_add_u32_e32 v165, s40, v28
	s_add_i32 s40, 0, 0x1a80
	v_add_u32_e32 v15, v14, v15
	v_add_u32_e32 v17, v16, v17
	;; [unrolled: 1-line block ×8, first 2 shown]
	s_add_i32 s40, 0, 0x2780
	v_lshrrev_b32_e32 v15, s15, v15
	v_lshrrev_b32_e32 v17, s15, v17
	;; [unrolled: 1-line block ×7, first 2 shown]
	s_movk_i32 s14, 0x90
	v_add_u32_e32 v167, s40, v28
	s_add_i32 s40, 0, 0xa0
	v_mul_lo_u32 v15, v15, s88
	v_mul_lo_u32 v17, v17, s88
	;; [unrolled: 1-line block ×8, first 2 shown]
	v_mad_u32_u24 v30, v30, s14, 0
	v_mul_lo_u32 v94, s54, v104
	v_add_u32_e32 v168, s40, v28
	s_add_i32 s40, 0, 0xda0
	v_sub_u32_e32 v14, v14, v15
	v_sub_u32_e32 v16, v16, v17
	;; [unrolled: 1-line block ×7, first 2 shown]
	v_lshl_add_u32 v74, s46, 5, v72
	v_lshl_add_u32 v144, v29, 1, v30
	v_add_u32_e32 v145, v30, v69
	v_lshl_add_u32 v96, s54, 5, v94
	v_or_b32_e32 v30, 3, v106
	v_add_u32_e32 v169, s40, v28
	s_add_i32 s40, 0, 0x1aa0
	v_mad_i64_i32 v[12:13], s[12:13], v12, s90, 0
	v_mad_i64_i32 v[14:15], s[12:13], v14, s90, 0
	v_mad_i64_i32 v[16:17], s[12:13], v16, s90, 0
	v_mad_i64_i32 v[18:19], s[12:13], v18, s90, 0
	v_mad_i64_i32 v[20:21], s[12:13], v20, s90, 0
	v_mad_i64_i32 v[22:23], s[12:13], v22, s90, 0
	v_mad_i64_i32 v[24:25], s[12:13], v24, s90, 0
	v_mad_i64_i32 v[26:27], s[12:13], v26, s90, 0
	s_mov_b64 s[50:51], src_private_base
	v_ashrrev_i32_e32 v67, 31, v66
	v_ashrrev_i32_e32 v73, 31, v72
	;; [unrolled: 1-line block ×3, first 2 shown]
	v_add_u32_e32 v37, 32, v144
	v_add_u32_e32 v98, 64, v144
	;; [unrolled: 1-line block ×3, first 2 shown]
	s_movk_i32 s14, 0x100
	s_movk_i32 s16, 0xc0
	v_cmp_gt_u32_e64 s[18:19], 47, v29
	v_cmp_gt_u32_e64 s[20:21], 46, v29
	;; [unrolled: 1-line block ×9, first 2 shown]
	v_ashrrev_i32_e32 v77, 31, v76
	v_ashrrev_i32_e32 v95, 31, v94
	;; [unrolled: 1-line block ×3, first 2 shown]
	v_mul_u32_u24_e32 v29, 0xd0, v29
	v_mul_u32_u24_e32 v30, 0xd0, v30
	v_add_u32_e32 v170, s40, v28
	s_add_i32 s40, 0, 0x27a0
	v_cmp_gt_u32_e64 s[4:5], 64, v83
	v_cmp_lt_u32_e64 s[6:7], 63, v83
	v_mov_b32_e32 v119, 0
	v_add_u32_e32 v123, 0x240, v122
	v_add_u32_e32 v124, 0x480, v122
	v_add_u32_e32 v125, 0x6c0, v122
	v_add_u32_e32 v126, 0x900, v122
	v_add_u32_e32 v127, 0xb40, v122
	v_add_u32_e32 v128, 0xd80, v122
	v_add_u32_e32 v129, 0xfc0, v122
	v_add_u32_e32 v130, 0x1200, v122
	v_add_u32_e32 v131, 0x1440, v122
	v_add_u32_e32 v132, 0x1680, v122
	v_add_u32_e32 v133, 0x18c0, v122
	v_add_u32_e32 v134, 0x1b00, v122
	v_add_u32_e32 v135, 0x1d40, v122
	v_add_u32_e32 v136, 0x1f80, v122
	v_add_u32_e32 v137, 0x21c0, v122
	s_mov_b32 s50, 0
	v_cmp_gt_u32_e64 s[10:11], 64, v104
	v_add_u32_e32 v142, 0x1a00, v141
	v_cmp_gt_u32_e64 s[12:13], 32, v104
	v_add3_u32 v143, 0, v110, v111
	buffer_store_dword v69, off, s[0:3], 0 offset:16 ; 4-byte Folded Spill
	v_cmp_gt_u32_e64 s[14:15], s14, v83
	v_cmp_gt_u32_e64 s[16:17], s16, v83
	;; [unrolled: 1-line block ×3, first 2 shown]
	v_add_u32_e32 v146, 0, v28
	v_add3_u32 v147, 0, v29, v103
	v_add3_u32 v148, 0, v30, v103
	;; [unrolled: 1-line block ×4, first 2 shown]
	v_add_u32_e32 v171, s40, v28
	v_mov_b32_e32 v28, v36
	v_mov_b32_e32 v29, v36
	s_lshl_b32 s52, s70, 6
	v_mov_b32_e32 v108, 0xfeffffff
	v_lshlrev_b64 v[30:31], 1, v[12:13]
	v_lshlrev_b64 v[32:33], 1, v[14:15]
	;; [unrolled: 1-line block ×17, first 2 shown]
	v_lshlrev_b32_e32 v172, 2, v68
	v_lshlrev_b64 v[68:69], 2, v[72:73]
	v_lshlrev_b32_e32 v173, 2, v70
	v_lshlrev_b64 v[70:71], 2, v[74:75]
	v_add_u32_e32 v174, 0x3400, v37
	v_add_u32_e32 v175, 0x3400, v98
	;; [unrolled: 1-line block ×3, first 2 shown]
	s_mov_b32 s60, 0x3fb8aa3b
	s_mov_b32 s61, 0xc2ce8ed0
	;; [unrolled: 1-line block ×4, first 2 shown]
	v_lshlrev_b64 v[72:73], 2, v[76:77]
	v_lshlrev_b64 v[74:75], 2, v[94:95]
	;; [unrolled: 1-line block ×3, first 2 shown]
	s_mov_b32 s64, 0x5040100
	v_mov_b32_e32 v177, 0x7f800000
	v_mov_b32_e32 v178, 0
	;; [unrolled: 1-line block ×14, first 2 shown]
.LBB14_384:                             ; =>This Inner Loop Header: Depth=1
	s_nop 0
	v_cndmask_b32_e64 v12, 0, 1, s[8:9]
	v_cmp_ne_u32_e64 s[40:41], 1, v12
	s_andn2_b64 vcc, exec, s[8:9]
	s_ashr_i32 s53, s52, 31
	s_cbranch_vccnz .LBB14_394
; %bb.385:                              ;   in Loop: Header=BB14_384 Depth=1
                                        ; implicit-def: $sgpr65
	s_and_saveexec_b64 s[58:59], s[6:7]
	s_xor_b64 s[58:59], exec, s[58:59]
	s_cbranch_execz .LBB14_387
; %bb.386:                              ;   in Loop: Header=BB14_384 Depth=1
	ds_write_b16 v122, v119 offset:13312
	ds_write_b16 v123, v119 offset:13312
	;; [unrolled: 1-line block ×4, first 2 shown]
	s_mov_b32 s65, 0
.LBB14_387:                             ;   in Loop: Header=BB14_384 Depth=1
	s_or_saveexec_b64 s[58:59], s[58:59]
	s_lshl_b64 s[66:67], s[52:53], 1
	v_mov_b32_e32 v13, s67
	v_add_co_u32_e32 v12, vcc, s66, v120
	v_addc_co_u32_e32 v13, vcc, v121, v13, vcc
	v_mov_b32_e32 v14, s65
	v_mov_b32_e32 v15, s65
	;; [unrolled: 1-line block ×4, first 2 shown]
	s_xor_b64 exec, exec, s[58:59]
	s_cbranch_execz .LBB14_389
; %bb.388:                              ;   in Loop: Header=BB14_384 Depth=1
	v_add_co_u32_e32 v14, vcc, v12, v30
	v_addc_co_u32_e32 v15, vcc, v13, v31, vcc
	v_add_co_u32_e32 v16, vcc, v12, v32
	v_addc_co_u32_e32 v17, vcc, v13, v33, vcc
	;; [unrolled: 2-line block ×3, first 2 shown]
	flat_load_ushort v24, v[14:15]
	flat_load_ushort v25, v[16:17]
	;; [unrolled: 1-line block ×3, first 2 shown]
	v_add_co_u32_e32 v14, vcc, v12, v40
	v_addc_co_u32_e32 v15, vcc, v13, v41, vcc
	v_add_co_u32_e32 v16, vcc, v12, v42
	v_addc_co_u32_e32 v17, vcc, v13, v43, vcc
	;; [unrolled: 2-line block ×4, first 2 shown]
	v_add_co_u32_e32 v22, vcc, v12, v48
	flat_load_ushort v27, v[14:15]
	v_addc_co_u32_e32 v23, vcc, v13, v49, vcc
	s_waitcnt vmcnt(0) lgkmcnt(0)
	ds_write_b16 v122, v24 offset:13312
	ds_write_b16 v123, v25 offset:13312
	;; [unrolled: 1-line block ×3, first 2 shown]
	flat_load_ushort v14, v[16:17]
	flat_load_ushort v15, v[18:19]
	s_nop 0
	flat_load_ushort v16, v[20:21]
	flat_load_ushort v17, v[22:23]
	ds_write_b16 v125, v27 offset:13312
.LBB14_389:                             ;   in Loop: Header=BB14_384 Depth=1
	s_or_b64 exec, exec, s[58:59]
	s_waitcnt vmcnt(0) lgkmcnt(0)
	ds_write_b16 v126, v14 offset:13312
	ds_write_b16 v127, v15 offset:13312
	;; [unrolled: 1-line block ×4, first 2 shown]
                                        ; implicit-def: $sgpr53
	s_and_saveexec_b64 s[58:59], s[6:7]
	s_xor_b64 s[58:59], exec, s[58:59]
	s_cbranch_execz .LBB14_391
; %bb.390:                              ;   in Loop: Header=BB14_384 Depth=1
	ds_write_b16 v130, v119 offset:13312
	ds_write_b16 v131, v119 offset:13312
	;; [unrolled: 1-line block ×4, first 2 shown]
	s_mov_b32 s53, 0
                                        ; implicit-def: $vgpr12
                                        ; implicit-def: $vgpr13
.LBB14_391:                             ;   in Loop: Header=BB14_384 Depth=1
	s_or_saveexec_b64 s[58:59], s[58:59]
	v_mov_b32_e32 v14, s53
	v_mov_b32_e32 v15, s53
	;; [unrolled: 1-line block ×4, first 2 shown]
	s_xor_b64 exec, exec, s[58:59]
	s_cbranch_execz .LBB14_393
; %bb.392:                              ;   in Loop: Header=BB14_384 Depth=1
	v_add_co_u32_e32 v14, vcc, v12, v50
	v_addc_co_u32_e32 v15, vcc, v13, v51, vcc
	v_add_co_u32_e32 v16, vcc, v12, v52
	v_addc_co_u32_e32 v17, vcc, v13, v53, vcc
	;; [unrolled: 2-line block ×8, first 2 shown]
	flat_load_ushort v37, v[14:15]
	flat_load_ushort v116, v[16:17]
	s_nop 0
	flat_load_ushort v18, v[18:19]
	s_nop 0
	flat_load_ushort v19, v[20:21]
	flat_load_ushort v14, v[22:23]
	;; [unrolled: 1-line block ×5, first 2 shown]
	s_waitcnt vmcnt(0) lgkmcnt(0)
	ds_write_b16 v130, v37 offset:13312
	ds_write_b16 v131, v116 offset:13312
	;; [unrolled: 1-line block ×4, first 2 shown]
.LBB14_393:                             ;   in Loop: Header=BB14_384 Depth=1
	s_or_b64 exec, exec, s[58:59]
	ds_write_b16 v134, v14 offset:13312
	ds_write_b16 v135, v15 offset:13312
	;; [unrolled: 1-line block ×4, first 2 shown]
.LBB14_394:                             ;   in Loop: Header=BB14_384 Depth=1
	s_mul_hi_i32 s59, s52, s46
	s_mul_i32 s58, s52, s46
	s_lshl_b64 s[58:59], s[58:59], 2
	s_add_u32 s53, s49, s58
	s_addc_u32 s58, s55, s59
	v_mov_b32_e32 v12, s58
	v_add_co_u32_e32 v13, vcc, s53, v66
	v_addc_co_u32_e32 v12, vcc, v12, v67, vcc
	v_add_co_u32_e32 v13, vcc, v13, v172
	v_addc_co_u32_e32 v12, vcc, 0, v12, vcc
	;; [unrolled: 2-line block ×3, first 2 shown]
	v_mov_b32_e32 v18, s51
	v_mov_b32_e32 v19, s50
	buffer_store_dword v119, off, s[0:3], 0
	buffer_store_dword v119, off, s[0:3], 0 offset:4
	buffer_store_dword v119, off, s[0:3], 0 offset:8
	;; [unrolled: 1-line block ×3, first 2 shown]
	v_cndmask_b32_e64 v13, v18, v12, s[42:43]
	v_cndmask_b32_e64 v12, v19, v14, s[42:43]
	flat_load_dwordx4 v[12:15], v[12:13]
	v_mov_b32_e32 v16, s58
	v_add_co_u32_e32 v17, vcc, s53, v68
	v_addc_co_u32_e32 v16, vcc, v16, v69, vcc
	v_add_co_u32_e32 v17, vcc, v17, v173
	v_addc_co_u32_e32 v20, vcc, 0, v16, vcc
	v_cndmask_b32_e64 v16, v19, v17, s[10:11]
	v_cndmask_b32_e64 v17, v18, v20, s[10:11]
	v_add_u32_e32 v37, 0x800, v143
	v_add_u32_e32 v116, 0x1800, v143
	;; [unrolled: 1-line block ×3, first 2 shown]
	s_waitcnt vmcnt(0) lgkmcnt(0)
	ds_write_b128 v140, v[12:15]
	flat_load_dwordx4 v[12:15], v[16:17]
	v_mov_b32_e32 v16, s58
	v_add_co_u32_e32 v17, vcc, s53, v70
	v_addc_co_u32_e32 v16, vcc, v16, v71, vcc
	v_add_co_u32_e32 v17, vcc, v17, v173
	v_addc_co_u32_e32 v20, vcc, 0, v16, vcc
	v_cndmask_b32_e64 v16, v19, v17, s[12:13]
	v_cndmask_b32_e64 v17, v18, v20, s[12:13]
	s_and_b64 vcc, exec, s[40:41]
	s_waitcnt vmcnt(0) lgkmcnt(0)
	ds_write_b128 v141, v[12:15]
	flat_load_dwordx4 v[12:15], v[16:17]
	s_waitcnt vmcnt(0) lgkmcnt(0)
	ds_write_b128 v142, v[12:15]
	s_waitcnt lgkmcnt(0)
	s_barrier
	ds_read2_b64 v[12:15], v143 offset1:4
	ds_read2_b64 v[20:23], v37 offset0:160 offset1:164
	ds_read2_b64 v[180:183], v116 offset0:64 offset1:68
	;; [unrolled: 1-line block ×3, first 2 shown]
	s_waitcnt lgkmcnt(3)
	v_mfma_f32_16x16x16f16 v[16:19], v[12:13], v[8:9], 0
	ds_read2_b64 v[196:199], v179 offset0:240 offset1:244
	s_waitcnt lgkmcnt(3)
	v_mfma_f32_16x16x16f16 v[24:27], v[20:21], v[8:9], 0
	s_waitcnt lgkmcnt(2)
	v_mfma_f32_16x16x16f16 v[184:187], v[180:181], v[8:9], 0
	;; [unrolled: 2-line block ×3, first 2 shown]
	v_mfma_f32_16x16x16f16 v[12:15], v[14:15], v[10:11], v[16:19]
	v_mfma_f32_16x16x16f16 v[16:19], v[22:23], v[10:11], v[24:27]
	v_mfma_f32_16x16x16f16 v[20:23], v[182:183], v[10:11], v[184:187]
	ds_read2_b64 v[180:183], v143 offset0:8 offset1:12
	v_mfma_f32_16x16x16f16 v[24:27], v[190:191], v[10:11], v[192:195]
	s_nop 4
	ds_read2_b64 v[184:187], v37 offset0:168 offset1:172
	ds_read2_b64 v[188:191], v116 offset0:72 offset1:76
	;; [unrolled: 1-line block ×3, first 2 shown]
	s_waitcnt lgkmcnt(3)
	v_mfma_f32_16x16x16f16 v[12:15], v[180:181], v[4:5], v[12:15]
	s_waitcnt lgkmcnt(2)
	v_mfma_f32_16x16x16f16 v[16:19], v[184:185], v[4:5], v[16:19]
	;; [unrolled: 2-line block ×4, first 2 shown]
	v_mfma_f32_16x16x16f16 v[12:15], v[182:183], v[6:7], v[12:15]
	ds_read2_b64 v[180:183], v143 offset0:16 offset1:20
	v_mfma_f32_16x16x16f16 v[16:19], v[186:187], v[6:7], v[16:19]
	ds_read2_b64 v[184:187], v37 offset0:176 offset1:180
	;; [unrolled: 2-line block ×3, first 2 shown]
	s_waitcnt lgkmcnt(0)
	s_barrier
	v_mfma_f32_16x16x16f16 v[24:27], v[194:195], v[6:7], v[24:27]
	v_mfma_f32_16x16x16f16 v[12:15], v[180:181], v[0:1], v[12:15]
	;; [unrolled: 1-line block ×9, first 2 shown]
	s_cbranch_vccnz .LBB14_396
; %bb.395:                              ;   in Loop: Header=BB14_384 Depth=1
	ds_read_b32 v37, v144 offset:13312
	ds_read_b32 v116, v145 offset:13312
	ds_read2_b32 v[180:181], v174 offset1:1
	ds_read2_b32 v[182:183], v175 offset1:1
	s_waitcnt lgkmcnt(3)
	v_cvt_f32_f16_sdwa v185, v37 dst_sel:DWORD dst_unused:UNUSED_PAD src0_sel:WORD_1
	v_cvt_f32_f16_e32 v184, v37
	s_waitcnt lgkmcnt(1)
	v_cvt_f32_f16_e32 v188, v180
	v_cvt_f32_f16_e32 v190, v181
	v_cvt_f32_f16_sdwa v191, v181 dst_sel:DWORD dst_unused:UNUSED_PAD src0_sel:WORD_1
	v_cvt_f32_f16_sdwa v189, v180 dst_sel:DWORD dst_unused:UNUSED_PAD src0_sel:WORD_1
	ds_read2_b32 v[180:181], v176 offset1:1
	v_cvt_f32_f16_sdwa v187, v116 dst_sel:DWORD dst_unused:UNUSED_PAD src0_sel:WORD_1
	v_cvt_f32_f16_e32 v186, v116
	v_mov_b32_e32 v37, v36
	v_pk_fma_f32 v[24:25], v[28:29], v[184:185], v[24:25]
	v_pk_fma_f32 v[20:21], v[28:29], v[188:189], v[20:21]
	;; [unrolled: 1-line block ×3, first 2 shown]
	s_waitcnt lgkmcnt(1)
	v_cvt_f32_f16_e32 v184, v182
	v_cvt_f32_f16_sdwa v185, v182 dst_sel:DWORD dst_unused:UNUSED_PAD src0_sel:WORD_1
	v_cvt_f32_f16_e32 v182, v183
	v_cvt_f32_f16_sdwa v183, v183 dst_sel:DWORD dst_unused:UNUSED_PAD src0_sel:WORD_1
	s_waitcnt lgkmcnt(0)
	v_cvt_f32_f16_e32 v186, v180
	v_cvt_f32_f16_e32 v188, v181
	v_cvt_f32_f16_sdwa v189, v181 dst_sel:DWORD dst_unused:UNUSED_PAD src0_sel:WORD_1
	v_cvt_f32_f16_sdwa v187, v180 dst_sel:DWORD dst_unused:UNUSED_PAD src0_sel:WORD_1
	v_pk_fma_f32 v[22:23], v[36:37], v[190:191], v[22:23]
	v_pk_fma_f32 v[18:19], v[36:37], v[182:183], v[18:19]
	;; [unrolled: 1-line block ×5, first 2 shown]
.LBB14_396:                             ;   in Loop: Header=BB14_384 Depth=1
	s_nop 6
	v_add_f32_e32 v37, 0x40051340, v24
	v_max_f32_e32 v116, v108, v108
	v_max_f32_e32 v37, v116, v37
	v_cndmask_b32_e64 v37, v108, v37, s[14:15]
	v_add_f32_e32 v116, 0x40051340, v25
	v_max_f32_e32 v37, v37, v37
	v_max_f32_e32 v37, v37, v116
	v_cndmask_b32_e64 v37, v108, v37, s[14:15]
	;; [unrolled: 4-line block ×16, first 2 shown]
	ds_bpermute_b32 v116, v138, v37
	v_max_f32_e32 v37, v37, v37
	v_cndmask_b32_e64 v27, v27, v27, s[14:15]
	s_mul_hi_i32 s41, s52, s54
	s_mul_i32 s40, s52, s54
	s_waitcnt lgkmcnt(0)
	v_max_f32_e32 v116, v116, v116
	v_max_f32_e32 v37, v37, v116
	ds_bpermute_b32 v116, v139, v37
	s_lshl_b64 s[40:41], s[40:41], 2
	s_add_u32 s40, s33, s40
	s_addc_u32 s41, s47, s41
	v_mov_b32_e32 v186, s51
	s_waitcnt lgkmcnt(0)
	v_max_f32_e32 v116, v116, v116
	v_max_f32_e32 v37, v37, v116
	v_sub_f32_e32 v24, v24, v37
	v_mul_f32_e32 v116, 0x3fb8aa3b, v24
	v_fma_f32 v179, v24, s60, -v116
	v_rndne_f32_e32 v180, v116
	v_fmac_f32_e32 v179, 0x32a5705f, v24
	v_sub_f32_e32 v116, v116, v180
	v_add_f32_e32 v116, v116, v179
	v_exp_f32_e32 v116, v116
	v_cvt_i32_f32_e32 v179, v180
	v_sub_f32_e32 v25, v25, v37
	v_cmp_ngt_f32_e32 vcc, s61, v24
	v_sub_f32_e32 v27, v27, v37
	v_ldexp_f32 v116, v116, v179
	v_mul_f32_e32 v179, 0x3fb8aa3b, v25
	v_fma_f32 v180, v25, s60, -v179
	v_rndne_f32_e32 v181, v179
	v_fmac_f32_e32 v180, 0x32a5705f, v25
	v_sub_f32_e32 v179, v179, v181
	v_add_f32_e32 v179, v179, v180
	v_exp_f32_e32 v179, v179
	v_cvt_i32_f32_e32 v180, v181
	v_cndmask_b32_e32 v116, 0, v116, vcc
	v_cmp_nlt_f32_e32 vcc, s62, v24
	v_cndmask_b32_e32 v116, v177, v116, vcc
	v_ldexp_f32 v179, v179, v180
	v_cmp_ngt_f32_e32 vcc, s61, v25
	v_cndmask_b32_e32 v179, 0, v179, vcc
	v_cmp_nlt_f32_e32 vcc, s62, v25
	v_cndmask_b32_e64 v25, v26, v26, s[14:15]
	v_sub_f32_e32 v26, v25, v37
	v_mul_f32_e32 v25, 0x3fb8aa3b, v26
	v_fma_f32 v180, v26, s60, -v25
	v_rndne_f32_e32 v181, v25
	v_fmac_f32_e32 v180, 0x32a5705f, v26
	v_sub_f32_e32 v25, v25, v181
	v_add_f32_e32 v25, v25, v180
	v_exp_f32_e32 v180, v25
	v_cvt_i32_f32_e32 v181, v181
	v_cndmask_b32_e32 v179, v177, v179, vcc
	v_mov_b32_e32 v25, s56
	v_cndmask_b32_e64 v189, v25, v179, s[14:15]
	v_ldexp_f32 v25, v180, v181
	v_cmp_ngt_f32_e32 vcc, s61, v26
	v_cndmask_b32_e32 v25, 0, v25, vcc
	v_cmp_nlt_f32_e32 vcc, s62, v26
	v_mul_f32_e32 v26, 0x3fb8aa3b, v27
	v_cndmask_b32_e64 v24, 0, v116, s[14:15]
	v_add_f32_e32 v116, v116, v179
	v_fma_f32 v179, v27, s60, -v26
	v_rndne_f32_e32 v180, v26
	v_fmac_f32_e32 v179, 0x32a5705f, v27
	v_sub_f32_e32 v26, v26, v180
	v_add_f32_e32 v26, v26, v179
	v_exp_f32_e32 v179, v26
	v_cvt_i32_f32_e32 v180, v180
	v_cndmask_b32_e32 v25, v177, v25, vcc
	v_mov_b32_e32 v26, s56
	v_add_f32_e32 v116, v116, v25
	v_cndmask_b32_e64 v192, v26, v25, s[14:15]
	v_ldexp_f32 v25, v179, v180
	v_cmp_ngt_f32_e32 vcc, s61, v27
	v_cndmask_b32_e32 v25, 0, v25, vcc
	v_cmp_nlt_f32_e32 vcc, s62, v27
	v_cndmask_b32_e32 v179, v177, v25, vcc
	v_mov_b32_e32 v26, s41
	v_add_co_u32_e32 v27, vcc, s40, v72
	v_addc_co_u32_e32 v26, vcc, v26, v73, vcc
	v_add_co_u32_e32 v27, vcc, v27, v172
	v_addc_co_u32_e32 v26, vcc, 0, v26, vcc
	;; [unrolled: 2-line block ×3, first 2 shown]
	v_mov_b32_e32 v187, s50
	buffer_store_dword v119, off, s[0:3], 0
	buffer_store_dword v119, off, s[0:3], 0 offset:4
	buffer_store_dword v119, off, s[0:3], 0 offset:8
	;; [unrolled: 1-line block ×3, first 2 shown]
	v_cndmask_b32_e64 v27, v186, v26, s[42:43]
	v_cndmask_b32_e64 v26, v187, v180, s[42:43]
	flat_load_dwordx4 v[180:183], v[26:27]
	v_sub_f32_e32 v20, v20, v37
	v_mul_f32_e32 v25, 0x3fb8aa3b, v20
	v_fma_f32 v184, v20, s60, -v25
	v_rndne_f32_e32 v26, v25
	v_fmac_f32_e32 v184, 0x32a5705f, v20
	v_sub_f32_e32 v25, v25, v26
	v_add_f32_e32 v25, v25, v184
	v_cndmask_b32_e64 v21, v21, v21, s[16:17]
	v_add_f32_e32 v116, v116, v179
	v_exp_f32_e32 v27, v25
	v_mov_b32_e32 v25, s56
	v_sub_f32_e32 v21, v21, v37
	v_cndmask_b32_e64 v193, v25, v179, s[14:15]
	v_cndmask_b32_e64 v25, 0, v116, s[14:15]
	;; [unrolled: 1-line block ×3, first 2 shown]
	v_mul_f32_e32 v23, 0x3fb8aa3b, v21
	v_fma_f32 v179, v21, s60, -v23
	v_rndne_f32_e32 v184, v23
	v_cvt_i32_f32_e32 v26, v26
	v_fmac_f32_e32 v179, 0x32a5705f, v21
	v_sub_f32_e32 v23, v23, v184
	v_add_f32_e32 v23, v23, v179
	v_exp_f32_e32 v23, v23
	v_cvt_i32_f32_e32 v179, v184
	v_ldexp_f32 v26, v27, v26
	v_cmp_ngt_f32_e32 vcc, s61, v20
	v_cndmask_b32_e32 v26, 0, v26, vcc
	v_cmp_nlt_f32_e32 vcc, s62, v20
	v_cndmask_b32_e64 v22, v22, v22, s[16:17]
	v_cndmask_b32_e32 v26, v177, v26, vcc
	v_ldexp_f32 v23, v23, v179
	v_cmp_ngt_f32_e32 vcc, s61, v21
	v_sub_f32_e32 v22, v22, v37
	v_add_f32_e32 v27, v26, v25
	v_mov_b32_e32 v20, s56
	v_cndmask_b32_e32 v23, 0, v23, vcc
	v_cmp_nlt_f32_e32 vcc, s62, v21
	v_mul_f32_e32 v21, 0x3fb8aa3b, v22
	v_cndmask_b32_e64 v198, v20, v26, s[16:17]
	v_cndmask_b32_e64 v20, v25, v27, s[16:17]
	v_cndmask_b32_e32 v25, v177, v23, vcc
	v_fma_f32 v23, v22, s60, -v21
	v_rndne_f32_e32 v26, v21
	v_fmac_f32_e32 v23, 0x32a5705f, v22
	v_sub_f32_e32 v21, v21, v26
	v_add_f32_e32 v21, v21, v23
	v_exp_f32_e32 v27, v21
	v_cvt_i32_f32_e32 v26, v26
	v_mov_b32_e32 v23, s56
	v_add_f32_e32 v21, v25, v20
	v_cndmask_b32_e64 v199, v23, v25, s[18:19]
	v_sub_f32_e32 v25, v116, v37
	v_ldexp_f32 v23, v27, v26
	v_mul_f32_e32 v26, 0x3fb8aa3b, v25
	v_fma_f32 v27, v25, s60, -v26
	v_rndne_f32_e32 v116, v26
	v_fmac_f32_e32 v27, 0x32a5705f, v25
	v_sub_f32_e32 v26, v26, v116
	v_add_f32_e32 v26, v26, v27
	v_exp_f32_e32 v26, v26
	v_cvt_i32_f32_e32 v27, v116
	v_cmp_ngt_f32_e32 vcc, s61, v22
	v_cndmask_b32_e32 v23, 0, v23, vcc
	v_cmp_nlt_f32_e32 vcc, s62, v22
	v_cndmask_b32_e32 v23, v177, v23, vcc
	v_mov_b32_e32 v22, s56
	v_cndmask_b32_e64 v200, v22, v23, s[20:21]
	v_ldexp_f32 v22, v26, v27
	v_cmp_ngt_f32_e32 vcc, s61, v25
	v_cndmask_b32_e32 v22, 0, v22, vcc
	v_cmp_nlt_f32_e32 vcc, s62, v25
	v_cndmask_b32_e32 v22, v177, v22, vcc
	v_mov_b32_e32 v25, s56
	v_sub_f32_e32 v16, v16, v37
	v_cndmask_b32_e64 v201, v25, v22, s[22:23]
	v_mul_f32_e32 v25, 0x3fb8aa3b, v16
	v_fma_f32 v26, v16, s60, -v25
	v_rndne_f32_e32 v27, v25
	v_fmac_f32_e32 v26, 0x32a5705f, v16
	v_sub_f32_e32 v25, v25, v27
	v_add_f32_e32 v25, v25, v26
	v_cvt_i32_f32_e32 v116, v27
	v_mov_b32_e32 v26, s41
	v_add_co_u32_e32 v27, vcc, s40, v74
	v_addc_co_u32_e32 v26, vcc, v26, v75, vcc
	v_add_co_u32_e32 v179, vcc, v27, v173
	v_addc_co_u32_e32 v26, vcc, 0, v26, vcc
	s_waitcnt vmcnt(0) lgkmcnt(0)
	ds_write_b128 v140, v[180:183]
	v_cndmask_b32_e64 v27, v186, v26, s[10:11]
	v_cndmask_b32_e64 v26, v187, v179, s[10:11]
	flat_load_dwordx4 v[180:183], v[26:27]
	v_exp_f32_e32 v25, v25
	v_cndmask_b32_e64 v17, v17, v17, s[24:25]
	v_sub_f32_e32 v17, v17, v37
	v_mul_f32_e32 v26, 0x3fb8aa3b, v17
	v_ldexp_f32 v25, v25, v116
	v_fma_f32 v27, v17, s60, -v26
	v_rndne_f32_e32 v116, v26
	v_fmac_f32_e32 v27, 0x32a5705f, v17
	v_sub_f32_e32 v26, v26, v116
	v_add_f32_e32 v26, v26, v27
	v_exp_f32_e32 v26, v26
	v_cvt_i32_f32_e32 v27, v116
	v_cmp_ngt_f32_e32 vcc, s61, v16
	v_cndmask_b32_e32 v25, 0, v25, vcc
	v_cmp_nlt_f32_e32 vcc, s62, v16
	v_cndmask_b32_e64 v18, v18, v18, s[24:25]
	v_cndmask_b32_e32 v25, v177, v25, vcc
	v_mov_b32_e32 v16, s56
	v_sub_f32_e32 v18, v18, v37
	v_cndmask_b32_e64 v202, v16, v25, s[24:25]
	v_ldexp_f32 v16, v26, v27
	v_mul_f32_e32 v26, 0x3fb8aa3b, v18
	v_fma_f32 v27, v18, s60, -v26
	v_rndne_f32_e32 v116, v26
	v_fmac_f32_e32 v27, 0x32a5705f, v18
	v_sub_f32_e32 v26, v26, v116
	v_cmp_ngt_f32_e32 vcc, s61, v17
	v_add_f32_e32 v26, v26, v27
	v_cndmask_b32_e32 v16, 0, v16, vcc
	v_exp_f32_e32 v26, v26
	v_cvt_i32_f32_e32 v27, v116
	v_cmp_nlt_f32_e32 vcc, s62, v17
	v_cndmask_b32_e64 v19, v19, v19, s[24:25]
	v_cndmask_b32_e32 v116, v177, v16, vcc
	v_mov_b32_e32 v17, s56
	v_cndmask_b32_e64 v184, v17, v116, s[26:27]
	v_sub_f32_e32 v17, v19, v37
	v_mul_f32_e32 v19, 0x3fb8aa3b, v17
	v_ldexp_f32 v16, v26, v27
	v_fma_f32 v26, v17, s60, -v19
	v_rndne_f32_e32 v27, v19
	v_fmac_f32_e32 v26, 0x32a5705f, v17
	v_sub_f32_e32 v19, v19, v27
	v_add_f32_e32 v19, v19, v26
	v_exp_f32_e32 v19, v19
	v_cvt_i32_f32_e32 v27, v27
	v_cmp_ngt_f32_e32 vcc, s61, v18
	v_cndmask_b32_e32 v16, 0, v16, vcc
	v_cmp_nlt_f32_e32 vcc, s62, v18
	v_sub_f32_e32 v12, v12, v37
	v_cndmask_b32_e32 v26, v177, v16, vcc
	v_mov_b32_e32 v16, s56
	v_mul_f32_e32 v18, 0x3fb8aa3b, v12
	v_cndmask_b32_e64 v185, v16, v26, s[28:29]
	v_ldexp_f32 v16, v19, v27
	v_fma_f32 v19, v12, s60, -v18
	v_rndne_f32_e32 v27, v18
	v_fmac_f32_e32 v19, 0x32a5705f, v12
	v_sub_f32_e32 v18, v18, v27
	v_add_f32_e32 v18, v18, v19
	v_exp_f32_e32 v18, v18
	v_cvt_i32_f32_e32 v19, v27
	v_cmp_ngt_f32_e32 vcc, s61, v17
	v_cndmask_b32_e32 v16, 0, v16, vcc
	v_cmp_nlt_f32_e32 vcc, s62, v17
	v_cndmask_b32_e32 v179, v177, v16, vcc
	v_ldexp_f32 v16, v18, v19
	v_cmp_ngt_f32_e32 vcc, s61, v12
	v_mov_b32_e32 v17, s56
	v_cndmask_b32_e32 v16, 0, v16, vcc
	v_cmp_nlt_f32_e32 vcc, s62, v12
	v_cndmask_b32_e64 v188, v17, v179, s[30:31]
	v_cndmask_b32_e32 v27, v177, v16, vcc
	v_mov_b32_e32 v16, s41
	v_add_co_u32_e32 v17, vcc, s40, v76
	v_addc_co_u32_e32 v16, vcc, v16, v77, vcc
	v_cndmask_b32_e64 v13, v13, v13, s[4:5]
	s_waitcnt vmcnt(0) lgkmcnt(0)
	ds_write_b128 v141, v[180:183]
	v_add_co_u32_e32 v180, vcc, v17, v173
	v_addc_co_u32_e32 v16, vcc, 0, v16, vcc
	v_cndmask_b32_e64 v17, v186, v16, s[12:13]
	v_cndmask_b32_e64 v16, v187, v180, s[12:13]
	flat_load_dwordx4 v[194:197], v[16:17]
	v_sub_f32_e32 v13, v13, v37
	v_mul_f32_e32 v18, 0x3fb8aa3b, v13
	v_fma_f32 v19, v13, s60, -v18
	v_rndne_f32_e32 v190, v18
	v_fmac_f32_e32 v19, 0x32a5705f, v13
	v_sub_f32_e32 v16, v18, v190
	v_add_f32_e32 v16, v16, v19
	v_exp_f32_e32 v16, v16
	v_cvt_i32_f32_e32 v17, v190
	v_cndmask_b32_e64 v14, v14, v14, s[4:5]
	v_mov_b32_e32 v12, s56
	v_sub_f32_e32 v14, v14, v37
	v_cndmask_b32_e64 v190, v12, v27, s[4:5]
	v_ldexp_f32 v12, v16, v17
	v_mul_f32_e32 v16, 0x3fb8aa3b, v14
	v_fma_f32 v17, v14, s60, -v16
	v_rndne_f32_e32 v18, v16
	v_fmac_f32_e32 v17, 0x32a5705f, v14
	v_sub_f32_e32 v16, v16, v18
	v_add_f32_e32 v16, v16, v17
	v_exp_f32_e32 v16, v16
	v_cvt_i32_f32_e32 v17, v18
	v_cmp_ngt_f32_e32 vcc, s61, v13
	v_cndmask_b32_e32 v12, 0, v12, vcc
	v_cmp_nlt_f32_e32 vcc, s62, v13
	v_cndmask_b32_e32 v181, v177, v12, vcc
	v_ldexp_f32 v12, v16, v17
	v_cmp_ngt_f32_e32 vcc, s61, v14
	v_cndmask_b32_e32 v12, 0, v12, vcc
	v_cmp_nlt_f32_e32 vcc, s62, v14
	v_cndmask_b32_e64 v15, v15, v15, s[4:5]
	v_cndmask_b32_e32 v180, v177, v12, vcc
	v_mov_b32_e32 v12, s56
	v_mov_b32_e32 v13, s56
	v_cndmask_b32_e64 v187, v12, v180, s[36:37]
	v_sub_f32_e32 v12, v15, v37
	v_cndmask_b32_e64 v186, v13, v181, s[34:35]
	v_mul_f32_e32 v13, 0x3fb8aa3b, v12
	v_fma_f32 v14, v12, s60, -v13
	v_rndne_f32_e32 v15, v13
	v_fmac_f32_e32 v14, 0x32a5705f, v12
	v_sub_f32_e32 v13, v13, v15
	v_add_f32_e32 v13, v13, v14
	v_cvt_i32_f32_e32 v14, v15
	v_sub_f32_e32 v15, v108, v37
	v_mul_f32_e32 v16, 0x3fb8aa3b, v15
	v_fma_f32 v17, v15, s60, -v16
	v_rndne_f32_e32 v18, v16
	v_fmac_f32_e32 v17, 0x32a5705f, v15
	v_sub_f32_e32 v16, v16, v18
	v_exp_f32_e32 v13, v13
	v_add_f32_e32 v16, v16, v17
	v_exp_f32_e32 v16, v16
	v_cvt_i32_f32_e32 v17, v18
	v_ldexp_f32 v13, v13, v14
	v_cmp_ngt_f32_e32 vcc, s61, v12
	v_cndmask_b32_e32 v13, 0, v13, vcc
	v_ldexp_f32 v14, v16, v17
	v_cmp_ngt_f32_e32 vcc, s61, v15
	v_cndmask_b32_e32 v14, 0, v14, vcc
	v_cmp_nlt_f32_e32 vcc, s62, v15
	v_cndmask_b32_e32 v14, v177, v14, vcc
	v_cmp_le_f32_e32 vcc, s63, v15
	v_cndmask_b32_e32 v182, 0, v14, vcc
	v_cvt_f16_f32_e32 v108, v182
	v_cmp_nlt_f32_e32 vcc, s62, v12
	v_cndmask_b32_e32 v183, v177, v13, vcc
	v_mov_b32_e32 v13, s56
	v_cndmask_b32_e64 v191, v13, v183, s[38:39]
	v_pk_mul_f16 v13, v108, v114 op_sel_hi:[0,1]
	v_pk_mul_f16 v15, v108, v113 op_sel_hi:[0,1]
	;; [unrolled: 1-line block ×3, first 2 shown]
	v_cvt_f16_f32_e32 v12, v24
	v_cvt_f16_f32_e32 v14, v189
	;; [unrolled: 1-line block ×8, first 2 shown]
	v_pack_b32_f16 v19, v16, v17
	v_pack_b32_f16 v16, v24, v114
	v_cvt_f16_f32_e32 v114, v202
	v_pack_b32_f16 v17, v115, v189
	s_waitcnt vmcnt(0) lgkmcnt(0)
	ds_write_b128 v142, v[194:197]
	s_waitcnt lgkmcnt(0)
	s_barrier
	ds_read_u16 v115, v147 offset:3536
	ds_read_u16 v189, v147 offset:208
	;; [unrolled: 1-line block ×6, first 2 shown]
	ds_read_u16 v192, v148
	ds_read_u16 v199, v148 offset:32
	ds_read_u16 v200, v148 offset:64
	;; [unrolled: 1-line block ×9, first 2 shown]
	s_waitcnt lgkmcnt(4)
	v_perm_b32 v193, v192, v193, s64
	ds_read_u16 v206, v146 offset:3360
	ds_read_u16 v192, v146
	ds_read_u16 v207, v146 offset:32
	ds_read_u16 v208, v146 offset:64
	;; [unrolled: 1-line block ×6, first 2 shown]
	s_waitcnt lgkmcnt(6)
	v_perm_b32 v192, v189, v192, s64
	v_pack_b32_f16 v18, v12, v14
	v_cvt_f32_f16_e32 v12, v13
	v_cvt_f32_f16_sdwa v13, v13 dst_sel:DWORD dst_unused:UNUSED_PAD src0_sel:WORD_1
	v_cvt_f32_f16_e32 v14, v15
	v_cvt_f32_f16_sdwa v15, v15 dst_sel:DWORD dst_unused:UNUSED_PAD src0_sel:WORD_1
	v_cvt_f16_f32_e32 v184, v184
	v_cvt_f16_f32_e32 v185, v185
	v_mfma_f32_16x16x16f16 v[12:15], v[192:193], v[18:19], v[12:15]
	v_cvt_f16_f32_e32 v188, v188
	v_cvt_f16_f32_e32 v191, v191
	v_pk_mul_f16 v102, v108, v102 op_sel_hi:[0,1]
	v_cndmask_b32_e64 v20, v20, v21, s[18:19]
	v_add_f32_e32 v21, v23, v20
	v_cndmask_b32_e64 v20, v20, v21, s[20:21]
	v_pk_mul_f16 v101, v108, v101 op_sel_hi:[0,1]
	s_nop 3
	v_cvt_f16_f32_e32 v12, v12
	v_cvt_f16_f32_e32 v14, v14
	;; [unrolled: 1-line block ×4, first 2 shown]
	v_cvt_f32_f16_e32 v192, v12
	v_cvt_f32_f16_e32 v194, v14
	ds_read_u16 v12, v149 offset:416
	ds_read_u16 v213, v150 offset:416
	;; [unrolled: 1-line block ×8, first 2 shown]
	s_waitcnt lgkmcnt(7)
	v_perm_b32 v15, v195, v12, s64
	v_perm_b32 v14, v115, v211, s64
	v_cvt_f32_f16_e32 v193, v13
	v_cvt_f32_f16_e32 v195, v189
	v_pack_b32_f16 v12, v114, v184
	v_pack_b32_f16 v13, v185, v188
	v_mfma_f32_16x16x16f16 v[192:195], v[14:15], v[16:17], v[192:195]
	v_cvt_f16_f32_e32 v188, v190
	v_cvt_f16_f32_e32 v189, v186
	;; [unrolled: 1-line block ×3, first 2 shown]
	v_pk_mul_f16 v100, v108, v100 op_sel_hi:[0,1]
	v_pk_mul_f16 v99, v108, v99 op_sel_hi:[0,1]
	s_add_i32 s70, s70, 1
	v_cmp_lt_i32_e32 vcc, s70, v118
	s_nop 3
	v_cvt_f16_f32_e32 v14, v192
	v_cvt_f16_f32_e32 v15, v193
	;; [unrolled: 1-line block ×4, first 2 shown]
	v_cvt_f32_f16_e32 v192, v14
	ds_read_u16 v14, v148 offset:6656
	ds_read_u16 v211, v148 offset:6688
	;; [unrolled: 1-line block ×8, first 2 shown]
	v_cvt_f32_f16_e32 v193, v15
	v_cvt_f32_f16_e32 v194, v114
	s_waitcnt lgkmcnt(7)
	v_perm_b32 v15, v14, v213, s64
	ds_read_u16 v14, v147 offset:6864
	ds_read_u16 v213, v147 offset:6896
	;; [unrolled: 1-line block ×16, first 2 shown]
	s_waitcnt lgkmcnt(12)
	v_perm_b32 v14, v14, v114, s64
	v_cvt_f32_f16_e32 v195, v115
	s_and_b64 vcc, exec, vcc
	s_add_i32 s52, s52, 64
	v_mfma_f32_16x16x16f16 v[184:187], v[14:15], v[12:13], v[192:195]
	s_nop 7
	s_nop 2
	v_cvt_f16_f32_e32 v14, v184
	v_cvt_f16_f32_e32 v15, v185
	;; [unrolled: 1-line block ×4, first 2 shown]
	v_cvt_f32_f16_e32 v184, v14
	ds_read_u16 v192, v148 offset:6752
	ds_read_u16 v193, v148 offset:6784
	;; [unrolled: 1-line block ×8, first 2 shown]
	v_cvt_f32_f16_e32 v185, v15
	v_cvt_f32_f16_e32 v186, v114
	s_waitcnt lgkmcnt(5)
	v_perm_b32 v115, v14, v214, s64
	ds_read_u16 v214, v146 offset:6784
	ds_read_u16 v242, v147 offset:6960
	ds_read_u16 v243, v147 offset:6992
	ds_read_u16 v14, v147 offset:10192
	ds_read_u16 v244, v147 offset:10224
	ds_read_u16 v245, v147 offset:10256
	ds_read_u16 v246, v147 offset:10288
	ds_read_u16 v247, v147 offset:10320
	ds_read_u16 v15, v146 offset:9984
	ds_read_u16 v248, v146 offset:10016
	ds_read_u16 v249, v146 offset:10048
	ds_read_u16 v250, v146 offset:10080
	ds_read_u16 v251, v146 offset:10112
	ds_read_u16 v252, v146 offset:10144
	ds_read_u16 v89, v146 offset:6816
	ds_read_u16 v107, v147 offset:7024
	s_waitcnt lgkmcnt(7)
	v_perm_b32 v114, v14, v15, s64
	v_cvt_f32_f16_e32 v187, v187
	v_pack_b32_f16 v14, v188, v189
	v_pack_b32_f16 v15, v190, v191
	v_cvt_f32_f16_e32 v188, v113
	v_cvt_f32_f16_sdwa v189, v113 dst_sel:DWORD dst_unused:UNUSED_PAD src0_sel:WORD_1
	v_mfma_f32_16x16x16f16 v[184:187], v[114:115], v[14:15], v[184:187]
	v_perm_b32 v115, v199, v215, s64
	v_perm_b32 v114, v24, v207, s64
	v_cvt_f32_f16_e32 v190, v102
	v_cvt_f32_f16_sdwa v191, v102 dst_sel:DWORD dst_unused:UNUSED_PAD src0_sel:WORD_1
	s_nop 1
	v_mfma_f32_16x16x16f16 v[188:191], v[114:115], v[18:19], v[188:191]
	v_perm_b32 v115, v221, v216, s64
	v_perm_b32 v114, v233, v206, s64
	s_nop 7
	s_nop 0
	v_cvt_f16_f32_e32 v21, v188
	v_cvt_f16_f32_e32 v23, v189
	v_cvt_f16_f32_e32 v24, v190
	v_cvt_f16_f32_e32 v102, v191
	v_cvt_f32_f16_e32 v188, v21
	v_cvt_f32_f16_e32 v189, v23
	;; [unrolled: 1-line block ×4, first 2 shown]
	v_add_f32_e32 v21, v22, v20
	v_cndmask_b32_e64 v24, v20, v21, s[22:23]
	v_mfma_f32_16x16x16f16 v[20:23], v[114:115], v[16:17], v[188:191]
	v_perm_b32 v115, v211, v217, s64
	v_perm_b32 v114, v213, v227, s64
	v_add_f32_e32 v25, v25, v24
	v_cndmask_b32_e64 v102, v24, v25, s[24:25]
	v_perm_b32 v25, v194, v218, s64
	s_waitcnt lgkmcnt(6)
	v_perm_b32 v24, v244, v248, s64
	v_add_f32_e32 v113, v116, v102
	s_nop 2
	v_cvt_f16_f32_e32 v20, v20
	v_cvt_f16_f32_e32 v21, v21
	;; [unrolled: 1-line block ×4, first 2 shown]
	v_cvt_f32_f16_e32 v20, v20
	v_cvt_f32_f16_e32 v21, v21
	;; [unrolled: 1-line block ×4, first 2 shown]
	v_cndmask_b32_e64 v102, v102, v113, s[26:27]
	v_cvt_f32_f16_e32 v188, v101
	v_mfma_f32_16x16x16f16 v[20:23], v[114:115], v[12:13], v[20:23]
	v_cvt_f32_f16_sdwa v189, v101 dst_sel:DWORD dst_unused:UNUSED_PAD src0_sel:WORD_1
	v_cvt_f32_f16_e32 v190, v100
	v_cvt_f32_f16_sdwa v191, v100 dst_sel:DWORD dst_unused:UNUSED_PAD src0_sel:WORD_1
	v_add_f32_e32 v26, v26, v102
	v_cndmask_b32_e64 v26, v102, v26, s[28:29]
	v_add_f32_e32 v102, v179, v26
	v_cndmask_b32_e64 v102, v26, v102, s[30:31]
	s_nop 3
	v_cvt_f16_f32_e32 v20, v20
	v_cvt_f16_f32_e32 v21, v21
	;; [unrolled: 1-line block ×4, first 2 shown]
	v_cvt_f32_f16_e32 v20, v20
	v_cvt_f32_f16_e32 v21, v21
	;; [unrolled: 1-line block ×4, first 2 shown]
	s_nop 1
	v_mfma_f32_16x16x16f16 v[20:23], v[24:25], v[14:15], v[20:23]
	ds_read_u16 v24, v156 offset:416
	ds_read_u16 v101, v157 offset:416
	;; [unrolled: 1-line block ×8, first 2 shown]
	s_waitcnt lgkmcnt(7)
	v_perm_b32 v25, v200, v24, s64
	v_perm_b32 v24, v196, v208, s64
	s_waitcnt lgkmcnt(6)
	v_perm_b32 v101, v222, v101, s64
	s_waitcnt lgkmcnt(3)
	v_perm_b32 v115, v201, v115, s64
	v_mfma_f32_16x16x16f16 v[188:191], v[24:25], v[18:19], v[188:191]
	s_nop 7
	s_nop 2
	v_cvt_f16_f32_e32 v100, v190
	v_cvt_f16_f32_e32 v24, v188
	;; [unrolled: 1-line block ×4, first 2 shown]
	v_cvt_f32_f16_e32 v190, v100
	v_perm_b32 v100, v234, v230, s64
	v_cvt_f32_f16_e32 v188, v24
	v_cvt_f32_f16_e32 v189, v25
	;; [unrolled: 1-line block ×3, first 2 shown]
	v_add_f32_e32 v116, v27, v102
	v_cndmask_b32_e64 v102, v102, v116, s[4:5]
	v_mfma_f32_16x16x16f16 v[24:27], v[100:101], v[16:17], v[188:191]
	v_perm_b32 v101, v220, v113, s64
	v_perm_b32 v100, v226, v228, s64
	v_pk_mul_f16 v116, v108, v98 op_sel_hi:[0,1]
	v_cvt_f32_f16_e32 v98, v99
	v_cvt_f32_f16_sdwa v99, v99 dst_sel:DWORD dst_unused:UNUSED_PAD src0_sel:WORD_1
	v_add_f32_e32 v113, v181, v102
	v_cndmask_b32_e64 v102, v102, v113, s[34:35]
	s_nop 3
	v_cvt_f16_f32_e32 v24, v24
	v_cvt_f16_f32_e32 v25, v25
	;; [unrolled: 1-line block ×4, first 2 shown]
	v_cvt_f32_f16_e32 v24, v24
	v_cvt_f32_f16_e32 v25, v25
	;; [unrolled: 1-line block ×4, first 2 shown]
	v_add_f32_e32 v113, v180, v102
	v_cndmask_b32_e64 v102, v102, v113, s[36:37]
	v_mfma_f32_16x16x16f16 v[24:27], v[100:101], v[12:13], v[24:27]
	v_perm_b32 v101, v195, v114, s64
	v_perm_b32 v100, v245, v249, s64
	;; [unrolled: 1-line block ×3, first 2 shown]
	v_add_f32_e32 v113, v183, v102
	v_pk_mul_f16 v180, v108, v95 op_sel_hi:[0,1]
	v_cvt_f16_f32_e32 v181, v186
	s_nop 4
	v_cvt_f16_f32_e32 v24, v24
	v_cvt_f16_f32_e32 v25, v25
	;; [unrolled: 1-line block ×4, first 2 shown]
	v_cvt_f32_f16_e32 v24, v24
	v_cvt_f32_f16_e32 v25, v25
	;; [unrolled: 1-line block ×4, first 2 shown]
	s_nop 1
	v_mfma_f32_16x16x16f16 v[24:27], v[100:101], v[14:15], v[24:27]
	v_cvt_f32_f16_e32 v100, v116
	v_cvt_f32_f16_sdwa v101, v116 dst_sel:DWORD dst_unused:UNUSED_PAD src0_sel:WORD_1
	v_cndmask_b32_e64 v116, v102, v113, s[38:39]
	v_pk_mul_f16 v102, v108, v97 op_sel_hi:[0,1]
	v_pk_mul_f16 v113, v108, v96 op_sel_hi:[0,1]
	;; [unrolled: 1-line block ×3, first 2 shown]
	v_fmac_f32_e32 v116, v178, v182
	v_mfma_f32_16x16x16f16 v[98:101], v[114:115], v[18:19], v[98:101]
	s_waitcnt lgkmcnt(2)
	v_perm_b32 v115, v223, v194, s64
	v_perm_b32 v114, v235, v231, s64
	v_cvt_f16_f32_e32 v182, v187
	v_perm_b32 v178, v198, v210, s64
	s_nop 5
	v_cvt_f16_f32_e32 v98, v98
	v_cvt_f16_f32_e32 v99, v99
	;; [unrolled: 1-line block ×4, first 2 shown]
	v_cvt_f32_f16_e32 v98, v98
	v_cvt_f32_f16_e32 v99, v99
	;; [unrolled: 1-line block ×4, first 2 shown]
	s_nop 1
	v_mfma_f32_16x16x16f16 v[96:99], v[114:115], v[16:17], v[98:101]
	v_cvt_f16_f32_e32 v114, v184
	v_cvt_f16_f32_e32 v115, v185
	v_pack_b32_f16 v114, v114, v115
	s_waitcnt lgkmcnt(1)
	s_nop 2
	v_perm_b32 v101, v192, v199, s64
	s_nop 2
	v_cvt_f16_f32_e32 v96, v96
	v_cvt_f16_f32_e32 v97, v97
	;; [unrolled: 1-line block ×4, first 2 shown]
	v_perm_b32 v100, v242, v229, s64
	v_cvt_f32_f16_e32 v96, v96
	v_cvt_f32_f16_e32 v97, v97
	;; [unrolled: 1-line block ×4, first 2 shown]
	v_cvt_f16_f32_e32 v115, v20
	s_nop 0
	v_mfma_f32_16x16x16f16 v[94:97], v[100:101], v[12:13], v[96:99]
	v_cvt_f32_f16_e32 v100, v113
	s_waitcnt lgkmcnt(0)
	s_nop 4
	v_perm_b32 v99, v239, v206, s64
	s_nop 2
	v_cvt_f16_f32_e32 v94, v94
	v_cvt_f16_f32_e32 v95, v95
	;; [unrolled: 1-line block ×4, first 2 shown]
	v_perm_b32 v98, v246, v250, s64
	v_cvt_f32_f16_e32 v94, v94
	v_cvt_f32_f16_e32 v95, v95
	;; [unrolled: 1-line block ×4, first 2 shown]
	s_nop 1
	v_mfma_f32_16x16x16f16 v[94:97], v[98:99], v[14:15], v[94:97]
	v_cvt_f32_f16_e32 v98, v102
	v_cvt_f32_f16_sdwa v99, v102 dst_sel:DWORD dst_unused:UNUSED_PAD src0_sel:WORD_1
	ds_read_u16 v101, v164 offset:416
	ds_read_u16 v102, v165 offset:416
	;; [unrolled: 1-line block ×8, first 2 shown]
	s_waitcnt lgkmcnt(7)
	v_perm_b32 v179, v202, v101, s64
	v_cvt_f32_f16_sdwa v101, v113 dst_sel:DWORD dst_unused:UNUSED_PAD src0_sel:WORD_1
	v_pack_b32_f16 v113, v181, v182
	v_cvt_f16_f32_e32 v181, v22
	v_mfma_f32_16x16x16f16 v[98:101], v[178:179], v[18:19], v[98:101]
	s_waitcnt lgkmcnt(6)
	v_perm_b32 v179, v224, v102, s64
	v_perm_b32 v178, v236, v232, s64
	v_cvt_f16_f32_e32 v102, v21
	v_cvt_f16_f32_e32 v182, v23
	;; [unrolled: 1-line block ×5, first 2 shown]
	s_nop 2
	v_cvt_f16_f32_e32 v20, v98
	v_cvt_f16_f32_e32 v99, v99
	;; [unrolled: 1-line block ×4, first 2 shown]
	v_cvt_f32_f16_e32 v98, v20
	v_cvt_f32_f16_e32 v99, v99
	;; [unrolled: 1-line block ×4, first 2 shown]
	v_cvt_f16_f32_e32 v97, v97
	v_pack_b32_f16 v115, v115, v102
	v_mfma_f32_16x16x16f16 v[20:23], v[178:179], v[16:17], v[98:101]
	v_cvt_f16_f32_e32 v178, v26
	v_cvt_f16_f32_e32 v179, v27
	v_cvt_f32_f16_e32 v26, v108
	v_cvt_f32_f16_sdwa v27, v108 dst_sel:DWORD dst_unused:UNUSED_PAD src0_sel:WORD_1
	s_waitcnt lgkmcnt(5)
	s_nop 1
	v_perm_b32 v99, v193, v183, s64
	v_perm_b32 v98, v243, v214, s64
	v_cvt_f16_f32_e32 v100, v24
	s_nop 0
	v_cvt_f16_f32_e32 v20, v20
	v_cvt_f16_f32_e32 v21, v21
	;; [unrolled: 1-line block ×4, first 2 shown]
	v_cvt_f32_f16_e32 v20, v20
	v_cvt_f32_f16_e32 v21, v21
	;; [unrolled: 1-line block ×4, first 2 shown]
	v_cvt_f16_f32_e32 v101, v25
	v_cvt_f32_f16_e32 v24, v180
	v_mfma_f32_16x16x16f16 v[20:23], v[98:99], v[12:13], v[20:23]
	s_waitcnt lgkmcnt(4)
	v_perm_b32 v99, v240, v184, s64
	v_perm_b32 v98, v247, v251, s64
	v_cvt_f32_f16_sdwa v25, v180 dst_sel:DWORD dst_unused:UNUSED_PAD src0_sel:WORD_1
	v_pack_b32_f16 v102, v181, v182
	v_pack_b32_f16 v101, v100, v101
	;; [unrolled: 1-line block ×3, first 2 shown]
	s_waitcnt lgkmcnt(0)
	s_nop 2
	v_cvt_f16_f32_e32 v20, v20
	v_cvt_f16_f32_e32 v21, v21
	;; [unrolled: 1-line block ×4, first 2 shown]
	v_cvt_f32_f16_e32 v20, v20
	v_cvt_f32_f16_e32 v21, v21
	;; [unrolled: 1-line block ×4, first 2 shown]
	s_barrier
	s_nop 0
	v_mfma_f32_16x16x16f16 v[20:23], v[98:99], v[14:15], v[20:23]
	v_perm_b32 v99, v204, v185, s64
	v_perm_b32 v98, v203, v212, s64
	s_nop 1
	v_mfma_f32_16x16x16f16 v[24:27], v[98:99], v[18:19], v[24:27]
	s_nop 5
	v_cvt_f16_f32_e32 v20, v20
	v_cvt_f16_f32_e32 v21, v21
	;; [unrolled: 1-line block ×4, first 2 shown]
	v_pack_b32_f16 v99, v94, v95
	v_pack_b32_f16 v98, v96, v97
	;; [unrolled: 1-line block ×3, first 2 shown]
	v_cvt_f16_f32_e32 v18, v24
	v_cvt_f16_f32_e32 v19, v25
	v_cvt_f16_f32_e32 v26, v26
	v_cvt_f16_f32_e32 v27, v27
	v_cvt_f32_f16_e32 v24, v18
	v_cvt_f32_f16_e32 v25, v19
	v_perm_b32 v19, v225, v186, s64
	v_perm_b32 v18, v238, v237, s64
	v_cvt_f32_f16_e32 v26, v26
	v_cvt_f32_f16_e32 v27, v27
	v_pack_b32_f16 v96, v22, v23
	s_nop 0
	v_mfma_f32_16x16x16f16 v[16:19], v[18:19], v[16:17], v[24:27]
	s_nop 6
	v_perm_b32 v25, v241, v187, s64
	s_nop 2
	v_cvt_f16_f32_e32 v16, v16
	v_cvt_f16_f32_e32 v17, v17
	;; [unrolled: 1-line block ×4, first 2 shown]
	v_perm_b32 v24, v107, v89, s64
	v_cvt_f32_f16_e32 v16, v16
	v_cvt_f32_f16_e32 v17, v17
	;; [unrolled: 1-line block ×4, first 2 shown]
	s_nop 1
	v_mfma_f32_16x16x16f16 v[16:19], v[24:25], v[12:13], v[16:19]
	s_nop 7
	s_nop 2
	v_cvt_f16_f32_e32 v12, v16
	v_cvt_f16_f32_e32 v13, v17
	v_cvt_f16_f32_e32 v18, v18
	v_cvt_f16_f32_e32 v19, v19
	v_cvt_f32_f16_e32 v16, v12
	v_cvt_f32_f16_e32 v17, v13
	v_perm_b32 v13, v219, v188, s64
	v_perm_b32 v12, v205, v252, s64
	v_cvt_f32_f16_e32 v18, v18
	v_cvt_f32_f16_e32 v19, v19
	s_nop 1
	v_mfma_f32_16x16x16f16 v[12:15], v[12:13], v[14:15], v[16:19]
	s_nop 7
	s_nop 2
	v_cvt_f16_f32_e32 v12, v12
	v_cvt_f16_f32_e32 v13, v13
	;; [unrolled: 1-line block ×4, first 2 shown]
	v_pack_b32_f16 v95, v12, v13
	v_pack_b32_f16 v94, v14, v15
	s_cbranch_vccz .LBB14_399
; %bb.397:                              ;   in Loop: Header=BB14_384 Depth=1
	v_mov_b32_e32 v178, v116
	v_mov_b32_e32 v108, v37
	s_branch .LBB14_384
.LBB14_398:
	v_mov_b32_e32 v116, 0
	v_mov_b32_e32 v37, 0xfeffffff
	v_mov_b32_e32 v95, 0
	v_mov_b32_e32 v96, 0
	v_mov_b32_e32 v97, 0
	v_mov_b32_e32 v113, 0
	v_mov_b32_e32 v114, 0
	v_mov_b32_e32 v102, 0
	v_mov_b32_e32 v115, 0
	v_mov_b32_e32 v100, 0
	v_mov_b32_e32 v101, 0
	v_mov_b32_e32 v98, 0
	v_mov_b32_e32 v99, 0
	s_branch .LBB14_400
.LBB14_399:
	buffer_load_dword v69, off, s[0:3], 0 offset:16 ; 4-byte Folded Reload
	v_lshlrev_b32_e32 v164, 4, v109
	v_mad_u32_u24 v136, v87, 52, v86
.LBB14_400:
	s_lshl_b32 s50, s70, 6
	v_readlane_b32 s4, v253, 4
	s_sub_i32 s52, s4, s50
	s_cmp_lg_u64 s[44:45], 0
	s_cselect_b64 s[6:7], -1, 0
	s_ashr_i32 s51, s50, 31
	s_cmp_eq_u64 s[44:45], 0
	v_readlane_b32 s5, v253, 5
	s_cbranch_scc1 .LBB14_434
; %bb.401:
	s_lshl_b64 s[4:5], s[50:51], 1
	s_add_u32 s4, s44, s4
	s_addc_u32 s5, s45, s5
	v_mov_b32_e32 v13, s5
	v_add_co_u32_e64 v12, s[4:5], s4, v117
	v_cmp_gt_i32_e32 vcc, s52, v83
	v_mov_b32_e32 v14, 0
	v_addc_co_u32_e64 v13, s[4:5], 0, v13, s[4:5]
	v_mov_b32_e32 v16, 0
	s_and_saveexec_b64 s[8:9], vcc
	s_cbranch_execz .LBB14_403
; %bb.402:
	v_add_u32_e32 v15, s48, v109
	v_readlane_b32 s4, v253, 13
	v_mul_hi_u32 v16, s4, v15
	v_readlane_b32 s5, v253, 14
	v_add_u32_e32 v16, v15, v16
	v_lshrrev_b32_e32 v16, s5, v16
	v_mul_lo_u32 v16, v16, s88
	v_sub_u32_e32 v15, v15, v16
	v_mad_i64_i32 v[16:17], s[4:5], v15, s90, 0
	v_lshlrev_b64 v[16:17], 1, v[16:17]
	v_add_co_u32_e64 v16, s[4:5], v12, v16
	v_addc_co_u32_e64 v17, s[4:5], v13, v17, s[4:5]
	flat_load_ushort v16, v[16:17]
.LBB14_403:
	s_or_b64 exec, exec, s[8:9]
	s_movk_i32 s4, 0x90
	v_mad_u32_u24 v15, v109, s4, 0
	v_lshl_add_u32 v17, v83, 1, v15
	s_waitcnt vmcnt(0) lgkmcnt(0)
	ds_write_b16 v17, v16 offset:13312
	s_and_saveexec_b64 s[8:9], vcc
	s_cbranch_execz .LBB14_405
; %bb.404:
	v_add3_u32 v14, v109, s48, 4
	v_readlane_b32 s4, v253, 13
	v_mul_hi_u32 v16, s4, v14
	v_readlane_b32 s5, v253, 14
	v_add_u32_e32 v16, v14, v16
	v_lshrrev_b32_e32 v16, s5, v16
	v_mul_lo_u32 v16, v16, s88
	v_sub_u32_e32 v14, v14, v16
	v_mad_i64_i32 v[16:17], s[4:5], v14, s90, 0
	v_lshlrev_b64 v[16:17], 1, v[16:17]
	v_add_co_u32_e64 v16, s[4:5], v12, v16
	v_addc_co_u32_e64 v17, s[4:5], v13, v17, s[4:5]
	flat_load_ushort v14, v[16:17]
.LBB14_405:
	s_or_b64 exec, exec, s[8:9]
	v_add_u32_e32 v15, 0x240, v15
	v_lshl_add_u32 v16, v83, 1, v15
	s_waitcnt vmcnt(0) lgkmcnt(0)
	ds_write_b16 v16, v14 offset:13312
	v_mov_b32_e32 v14, 0
	v_mov_b32_e32 v16, 0
	s_and_saveexec_b64 s[8:9], vcc
	s_cbranch_execz .LBB14_407
; %bb.406:
	v_add3_u32 v16, v109, s48, 8
	v_readlane_b32 s4, v253, 13
	v_mul_hi_u32 v17, s4, v16
	v_readlane_b32 s5, v253, 14
	v_add_u32_e32 v17, v16, v17
	v_lshrrev_b32_e32 v17, s5, v17
	v_mul_lo_u32 v17, v17, s88
	v_sub_u32_e32 v16, v16, v17
	v_mad_i64_i32 v[16:17], s[4:5], v16, s90, 0
	v_lshlrev_b64 v[16:17], 1, v[16:17]
	v_add_co_u32_e64 v16, s[4:5], v12, v16
	v_addc_co_u32_e64 v17, s[4:5], v13, v17, s[4:5]
	flat_load_ushort v16, v[16:17]
.LBB14_407:
	s_or_b64 exec, exec, s[8:9]
	v_add_u32_e32 v15, 0x240, v15
	v_lshl_add_u32 v17, v83, 1, v15
	s_waitcnt vmcnt(0) lgkmcnt(0)
	ds_write_b16 v17, v16 offset:13312
	s_and_saveexec_b64 s[8:9], vcc
	s_cbranch_execz .LBB14_409
; %bb.408:
	v_add3_u32 v14, v109, s48, 12
	v_readlane_b32 s4, v253, 13
	v_mul_hi_u32 v16, s4, v14
	v_readlane_b32 s5, v253, 14
	v_add_u32_e32 v16, v14, v16
	v_lshrrev_b32_e32 v16, s5, v16
	v_mul_lo_u32 v16, v16, s88
	v_sub_u32_e32 v14, v14, v16
	v_mad_i64_i32 v[16:17], s[4:5], v14, s90, 0
	v_lshlrev_b64 v[16:17], 1, v[16:17]
	v_add_co_u32_e64 v16, s[4:5], v12, v16
	v_addc_co_u32_e64 v17, s[4:5], v13, v17, s[4:5]
	flat_load_ushort v14, v[16:17]
.LBB14_409:
	s_or_b64 exec, exec, s[8:9]
	v_add_u32_e32 v15, 0x240, v15
	v_lshl_add_u32 v16, v83, 1, v15
	s_waitcnt vmcnt(0) lgkmcnt(0)
	ds_write_b16 v16, v14 offset:13312
	v_mov_b32_e32 v14, 0
	v_mov_b32_e32 v16, 0
	s_and_saveexec_b64 s[8:9], vcc
	s_cbranch_execz .LBB14_411
; %bb.410:
	v_add3_u32 v16, v109, s48, 16
	v_readlane_b32 s4, v253, 13
	v_mul_hi_u32 v17, s4, v16
	v_readlane_b32 s5, v253, 14
	v_add_u32_e32 v17, v16, v17
	v_lshrrev_b32_e32 v17, s5, v17
	v_mul_lo_u32 v17, v17, s88
	v_sub_u32_e32 v16, v16, v17
	v_mad_i64_i32 v[16:17], s[4:5], v16, s90, 0
	v_lshlrev_b64 v[16:17], 1, v[16:17]
	v_add_co_u32_e64 v16, s[4:5], v12, v16
	v_addc_co_u32_e64 v17, s[4:5], v13, v17, s[4:5]
	flat_load_ushort v16, v[16:17]
.LBB14_411:
	s_or_b64 exec, exec, s[8:9]
	v_add_u32_e32 v15, 0x240, v15
	;; [unrolled: 46-line block ×7, first 2 shown]
	v_lshl_add_u32 v15, v83, 1, v15
	s_waitcnt vmcnt(0) lgkmcnt(0)
	ds_write_b16 v15, v16 offset:13312
	s_and_saveexec_b64 s[4:5], vcc
	s_cbranch_execz .LBB14_433
; %bb.432:
	v_add3_u32 v14, v109, s48, 60
	v_readlane_b32 s8, v253, 13
	v_mul_hi_u32 v16, s8, v14
	v_readlane_b32 s9, v253, 14
	v_add_u32_e32 v16, v14, v16
	v_lshrrev_b32_e32 v16, s9, v16
	v_mul_lo_u32 v16, v16, s88
	v_sub_u32_e32 v14, v14, v16
	v_mad_i64_i32 v[16:17], s[8:9], v14, s90, 0
	v_lshlrev_b64 v[16:17], 1, v[16:17]
	v_add_co_u32_e32 v12, vcc, v12, v16
	v_addc_co_u32_e32 v13, vcc, v13, v17, vcc
	flat_load_ushort v14, v[12:13]
.LBB14_433:
	s_or_b64 exec, exec, s[4:5]
	s_waitcnt vmcnt(0) lgkmcnt(0)
	ds_write_b16 v15, v14 offset:13888
.LBB14_434:
	s_mul_hi_i32 s5, s50, s46
	s_mul_i32 s4, s50, s46
	v_mov_b32_e32 v12, 0
	v_add_u32_e32 v42, v164, v106
	s_lshl_b64 s[4:5], s[4:5], 2
	buffer_store_dword v12, off, s[0:3], 0
	buffer_store_dword v12, off, s[0:3], 0 offset:4
	buffer_store_dword v12, off, s[0:3], 0 offset:8
	;; [unrolled: 1-line block ×3, first 2 shown]
	v_mul_lo_u32 v12, s46, v42
	s_add_u32 s8, s49, s4
	v_ashrrev_i32_e32 v13, 31, v12
	s_addc_u32 s9, s55, s5
	v_lshlrev_b64 v[12:13], 2, v[12:13]
	v_mov_b32_e32 v14, s9
	v_add_co_u32_e32 v12, vcc, s8, v12
	v_addc_co_u32_e32 v13, vcc, v14, v13, vcc
	v_and_b32_e32 v14, 12, v112
	v_lshlrev_b32_e32 v41, 2, v14
	s_mov_b64 s[4:5], src_private_base
	v_add_co_u32_e32 v12, vcc, v12, v41
	s_movk_i32 s4, 0x80
	v_addc_co_u32_e32 v13, vcc, 0, v13, vcc
	v_add_co_u32_e32 v12, vcc, s4, v12
	v_addc_co_u32_e32 v13, vcc, 0, v13, vcc
	v_mov_b32_e32 v20, s5
	v_cmp_gt_i32_e64 s[38:39], s52, v42
	v_mov_b32_e32 v21, 0
	v_cndmask_b32_e64 v13, v20, v13, s[38:39]
	v_cndmask_b32_e64 v12, v21, v12, s[38:39]
	flat_load_dwordx4 v[12:15], v[12:13]
	v_and_b32_e32 v17, 28, v112
	v_mul_lo_u32 v16, s46, v104
	v_mul_u32_u24_e32 v18, 0xd0, v42
	v_lshlrev_b32_e32 v38, 2, v17
	v_ashrrev_i32_e32 v17, 31, v16
	v_add3_u32 v43, 0, v18, v41
	v_lshlrev_b64 v[18:19], 2, v[16:17]
	v_mov_b32_e32 v17, s9
	v_add_co_u32_e32 v18, vcc, s8, v18
	v_addc_co_u32_e32 v17, vcc, v17, v19, vcc
	v_add_co_u32_e32 v18, vcc, v18, v38
	v_addc_co_u32_e32 v17, vcc, 0, v17, vcc
	v_cmp_gt_i32_e64 s[36:37], s52, v104
	v_cndmask_b32_e64 v19, v20, v17, s[36:37]
	v_cndmask_b32_e64 v18, v21, v18, s[36:37]
	v_mul_u32_u24_e32 v17, 0xd0, v104
	v_lshl_add_u32 v16, s46, 5, v16
	v_add3_u32 v39, 0, v17, v38
	v_ashrrev_i32_e32 v17, 31, v16
	v_lshlrev_b64 v[16:17], 2, v[16:17]
	v_add_co_u32_e32 v16, vcc, s8, v16
	v_add3_u32 v32, 0, v110, v111
	v_add_u32_e32 v33, 0x800, v32
	v_add_u32_e32 v40, 0x1800, v32
	;; [unrolled: 1-line block ×3, first 2 shown]
	s_waitcnt vmcnt(0) lgkmcnt(0)
	ds_write_b128 v43, v[12:15] offset:128
	flat_load_dwordx4 v[12:15], v[18:19]
	v_mov_b32_e32 v19, s9
	v_addc_co_u32_e32 v17, vcc, v19, v17, vcc
	v_add_u32_e32 v18, 32, v104
	v_add_co_u32_e32 v16, vcc, v16, v38
	v_addc_co_u32_e32 v17, vcc, 0, v17, vcc
	v_cmp_gt_i32_e64 s[34:35], s52, v18
	v_cndmask_b32_e64 v17, v20, v17, s[34:35]
	v_cndmask_b32_e64 v16, v21, v16, s[34:35]
	s_and_b64 vcc, exec, s[6:7]
	s_waitcnt vmcnt(0) lgkmcnt(0)
	ds_write_b128 v39, v[12:15]
	flat_load_dwordx4 v[12:15], v[16:17]
	s_waitcnt vmcnt(0) lgkmcnt(0)
	ds_write_b128 v39, v[12:15] offset:6656
	s_waitcnt lgkmcnt(0)
	s_barrier
	ds_read2_b64 v[12:15], v32 offset1:4
	ds_read2_b64 v[20:23], v33 offset0:160 offset1:164
	ds_read2_b64 v[28:31], v40 offset0:64 offset1:68
	;; [unrolled: 1-line block ×3, first 2 shown]
	s_waitcnt lgkmcnt(3)
	v_mfma_f32_16x16x16f16 v[16:19], v[12:13], v[8:9], 0
	s_waitcnt lgkmcnt(2)
	v_mfma_f32_16x16x16f16 v[24:27], v[20:21], v[8:9], 0
	s_waitcnt lgkmcnt(1)
	v_mfma_f32_16x16x16f16 v[44:47], v[28:29], v[8:9], 0
	s_waitcnt lgkmcnt(0)
	v_mfma_f32_16x16x16f16 v[52:55], v[48:49], v[8:9], 0
	v_mfma_f32_16x16x16f16 v[12:15], v[14:15], v[10:11], v[16:19]
	v_mfma_f32_16x16x16f16 v[16:19], v[22:23], v[10:11], v[24:27]
	;; [unrolled: 1-line block ×3, first 2 shown]
	s_nop 5
	ds_read2_b64 v[24:27], v32 offset0:8 offset1:12
	ds_read2_b64 v[28:31], v33 offset0:168 offset1:172
	v_mfma_f32_16x16x16f16 v[8:11], v[50:51], v[10:11], v[52:55]
	ds_read2_b64 v[44:47], v40 offset0:72 offset1:76
	ds_read2_b64 v[48:51], v56 offset0:232 offset1:236
	s_waitcnt lgkmcnt(3)
	v_mfma_f32_16x16x16f16 v[12:15], v[24:25], v[4:5], v[12:15]
	s_nop 2
	ds_read2_b64 v[52:55], v56 offset0:240 offset1:244
	s_waitcnt lgkmcnt(3)
	v_mfma_f32_16x16x16f16 v[16:19], v[28:29], v[4:5], v[16:19]
	s_waitcnt lgkmcnt(2)
	v_mfma_f32_16x16x16f16 v[20:23], v[44:45], v[4:5], v[20:23]
	;; [unrolled: 2-line block ×3, first 2 shown]
	v_mfma_f32_16x16x16f16 v[12:15], v[26:27], v[6:7], v[12:15]
	ds_read2_b64 v[24:27], v33 offset0:176 offset1:180
	v_mfma_f32_16x16x16f16 v[16:19], v[30:31], v[6:7], v[16:19]
	v_mfma_f32_16x16x16f16 v[20:23], v[46:47], v[6:7], v[20:23]
	ds_read2_b64 v[44:47], v40 offset0:80 offset1:84
	v_and_b32_e32 v40, 0xfc, v106
	v_mfma_f32_16x16x16f16 v[4:7], v[50:51], v[6:7], v[8:11]
	s_nop 6
	ds_read2_b64 v[8:11], v32 offset0:16 offset1:20
	s_waitcnt lgkmcnt(0)
	v_mfma_f32_16x16x16f16 v[12:15], v[8:9], v[0:1], v[12:15]
	s_barrier
	v_mfma_f32_16x16x16f16 v[28:31], v[24:25], v[0:1], v[16:19]
	v_mfma_f32_16x16x16f16 v[48:51], v[44:45], v[0:1], v[20:23]
	v_add_u32_e32 v44, 32, v40
	v_mfma_f32_16x16x16f16 v[4:7], v[52:53], v[0:1], v[4:7]
	v_add_u32_e32 v0, 16, v40
	v_add_u32_e32 v1, 18, v40
	v_mfma_f32_16x16x16f16 v[18:21], v[10:11], v[2:3], v[12:15]
	v_mfma_f32_16x16x16f16 v[22:25], v[26:27], v[2:3], v[28:31]
	;; [unrolled: 1-line block ×3, first 2 shown]
	v_add_u32_e32 v46, 34, v40
	v_mfma_f32_16x16x16f16 v[30:33], v[54:55], v[2:3], v[4:7]
	s_nop 4
	v_add_u32_e32 v48, 48, v40
	v_add_u32_e32 v49, 50, v40
	s_cbranch_vccz .LBB14_440
; %bb.435:
	v_or_b32_e32 v2, v164, v86
	s_movk_i32 s4, 0x90
	v_mad_u32_u24 v51, v2, s4, 0
	v_lshl_add_u32 v2, v40, 1, v51
	v_add_u32_e32 v3, v51, v69
	ds_read_b32 v9, v2 offset:13312
	ds_read_b32 v7, v3 offset:13312
	v_add_u32_e32 v45, 16, v40
	v_add_u32_e32 v47, 32, v40
	v_lshlrev_b32_e32 v4, 1, v45
	s_movk_i32 s4, 0x3400
	v_lshlrev_b32_e32 v2, 1, v47
	v_add3_u32 v4, v51, v4, s4
	v_add3_u32 v5, v51, v2, s4
	ds_read2_b32 v[2:3], v4 offset1:1
	ds_read2_b32 v[4:5], v5 offset1:1
	s_waitcnt lgkmcnt(2)
	v_cvt_f32_f16_e32 v6, v7
	v_cvt_f32_f16_sdwa v7, v7 dst_sel:DWORD dst_unused:UNUSED_PAD src0_sel:WORD_1
	v_add_u32_e32 v50, 48, v40
	s_waitcnt lgkmcnt(1)
	v_cvt_f32_f16_e32 v10, v3
	v_cvt_f32_f16_sdwa v11, v3 dst_sel:DWORD dst_unused:UNUSED_PAD src0_sel:WORD_1
	v_pk_fma_f32 v[16:17], v[36:37], v[6:7], v[20:21] op_sel_hi:[0,1,1]
	v_cvt_f32_f16_e32 v6, v2
	v_cvt_f32_f16_sdwa v7, v2 dst_sel:DWORD dst_unused:UNUSED_PAD src0_sel:WORD_1
	s_waitcnt lgkmcnt(0)
	v_cvt_f32_f16_e32 v2, v5
	v_cvt_f32_f16_sdwa v3, v5 dst_sel:DWORD dst_unused:UNUSED_PAD src0_sel:WORD_1
	v_lshlrev_b32_e32 v5, 1, v50
	v_add3_u32 v5, v51, v5, s4
	v_pk_fma_f32 v[12:13], v[36:37], v[10:11], v[24:25] op_sel_hi:[0,1,1]
	v_pk_fma_f32 v[10:11], v[36:37], v[6:7], v[22:23] op_sel_hi:[0,1,1]
	ds_read2_b32 v[6:7], v5 offset1:1
	v_cvt_f32_f16_e32 v8, v9
	v_cvt_f32_f16_sdwa v9, v9 dst_sel:DWORD dst_unused:UNUSED_PAD src0_sel:WORD_1
	v_cvt_f32_f16_e32 v54, v4
	v_cvt_f32_f16_sdwa v55, v4 dst_sel:DWORD dst_unused:UNUSED_PAD src0_sel:WORD_1
	s_waitcnt lgkmcnt(0)
	v_cvt_f32_f16_e32 v4, v7
	v_pk_fma_f32 v[14:15], v[36:37], v[8:9], v[18:19] op_sel_hi:[0,1,1]
	v_pk_fma_f32 v[8:9], v[36:37], v[2:3], v[28:29] op_sel_hi:[0,1,1]
	v_cvt_f32_f16_e32 v2, v6
	v_cvt_f32_f16_sdwa v5, v7 dst_sel:DWORD dst_unused:UNUSED_PAD src0_sel:WORD_1
	v_cvt_f32_f16_sdwa v3, v6 dst_sel:DWORD dst_unused:UNUSED_PAD src0_sel:WORD_1
	v_add_u32_e32 v52, 18, v40
	v_add_u32_e32 v53, 34, v40
	v_pk_fma_f32 v[6:7], v[36:37], v[54:55], v[26:27] op_sel_hi:[0,1,1]
	v_add_u32_e32 v51, 50, v40
	v_pk_fma_f32 v[4:5], v[36:37], v[4:5], v[32:33] op_sel_hi:[0,1,1]
	v_pk_fma_f32 v[2:3], v[36:37], v[2:3], v[30:31] op_sel_hi:[0,1,1]
	v_add_u32_e32 v36, 0x80, v43
	v_add_u32_e32 v43, 0x1a00, v39
	s_cbranch_execnz .LBB14_437
.LBB14_436:
	v_pk_mov_b32 v[2:3], v[30:31], v[30:31] op_sel:[0,1]
	v_pk_mov_b32 v[6:7], v[26:27], v[26:27] op_sel:[0,1]
	;; [unrolled: 1-line block ×4, first 2 shown]
	v_mov_b32_e32 v51, v49
	v_mov_b32_e32 v50, v48
	;; [unrolled: 1-line block ×6, first 2 shown]
	v_pk_mov_b32 v[4:5], v[32:33], v[32:33] op_sel:[0,1]
	v_pk_mov_b32 v[8:9], v[28:29], v[28:29] op_sel:[0,1]
	;; [unrolled: 1-line block ×4, first 2 shown]
.LBB14_437:
	v_add_f32_e32 v0, 0x40051340, v14
	v_max_f32_e32 v1, v37, v37
	v_max_f32_e32 v0, v1, v0
	v_cmp_gt_u32_e64 s[40:41], s52, v40
	v_cndmask_b32_e64 v0, v37, v0, s[40:41]
	v_or_b32_e32 v1, 1, v40
	v_add_f32_e32 v18, 0x40051340, v15
	v_max_f32_e32 v19, v0, v0
	v_max_f32_e32 v18, v19, v18
	v_cmp_gt_u32_e64 s[30:31], s52, v1
	v_cndmask_b32_e64 v0, v0, v18, s[30:31]
	v_or_b32_e32 v1, 2, v40
	;; [unrolled: 6-line block ×3, first 2 shown]
	v_add_f32_e32 v1, 0x40051340, v17
	v_max_f32_e32 v18, v0, v0
	v_max_f32_e32 v1, v18, v1
	v_cmp_gt_u32_e64 s[28:29], s52, v28
	v_cndmask_b32_e64 v0, v0, v1, s[28:29]
	v_add_f32_e32 v1, 0x40051340, v10
	v_max_f32_e32 v18, v0, v0
	v_max_f32_e32 v1, v18, v1
	v_cmp_gt_u32_e64 s[24:25], s52, v45
	v_cndmask_b32_e64 v0, v0, v1, s[24:25]
	v_add_u32_e32 v1, 17, v40
	v_add_f32_e32 v18, 0x40051340, v11
	v_max_f32_e32 v19, v0, v0
	v_max_f32_e32 v18, v19, v18
	v_cmp_gt_u32_e64 s[22:23], s52, v1
	v_cndmask_b32_e64 v0, v0, v18, s[22:23]
	v_add_f32_e32 v1, 0x40051340, v12
	v_max_f32_e32 v18, v0, v0
	v_max_f32_e32 v1, v18, v1
	v_cmp_gt_u32_e64 s[20:21], s52, v52
	v_cndmask_b32_e64 v0, v0, v1, s[20:21]
	v_add_u32_e32 v1, 19, v40
	;; [unrolled: 11-line block ×6, first 2 shown]
	v_add_f32_e32 v18, 0x40051340, v5
	v_max_f32_e32 v19, v0, v0
	v_max_f32_e32 v18, v19, v18
	v_cmp_gt_u32_e32 vcc, s52, v1
	v_mbcnt_hi_u32_b32 v1, -1, v105
	v_cndmask_b32_e32 v0, v0, v18, vcc
	v_and_b32_e32 v18, 64, v1
	v_add_u32_e32 v18, 64, v18
	v_xor_b32_e32 v19, 32, v1
	v_cmp_lt_i32_e64 s[8:9], v19, v18
	v_cndmask_b32_e64 v19, v1, v19, s[8:9]
	v_lshlrev_b32_e32 v27, 2, v19
	ds_bpermute_b32 v19, v27, v0
	v_max_f32_e32 v0, v0, v0
	s_mov_b32 s46, 0x3fb8aa3b
	s_mov_b32 s48, 0xc2ce8ed0
	;; [unrolled: 1-line block ×3, first 2 shown]
	s_waitcnt lgkmcnt(0)
	v_max_f32_e32 v19, v19, v19
	v_max_f32_e32 v0, v0, v19
	v_xor_b32_e32 v19, 16, v1
	v_cmp_lt_i32_e64 s[8:9], v19, v18
	v_cndmask_b32_e64 v1, v1, v19, s[8:9]
	v_lshlrev_b32_e32 v32, 2, v1
	ds_bpermute_b32 v1, v32, v0
	v_mov_b32_e32 v22, 0x7f800000
	s_mov_b32 s45, 0
	v_cndmask_b32_e64 v17, v17, v17, s[30:31]
	v_mov_b32_e32 v30, 0
	s_waitcnt lgkmcnt(0)
	v_max_f32_e32 v1, v1, v1
	v_max_f32_e32 v26, v0, v1
	v_sub_f32_e32 v0, v14, v26
	v_mul_f32_e32 v1, 0x3fb8aa3b, v0
	v_fma_f32 v14, v0, s46, -v1
	v_rndne_f32_e32 v18, v1
	v_fmac_f32_e32 v14, 0x32a5705f, v0
	v_sub_f32_e32 v1, v1, v18
	v_add_f32_e32 v1, v1, v14
	v_exp_f32_e32 v1, v1
	v_cvt_i32_f32_e32 v14, v18
	v_cmp_ngt_f32_e64 s[8:9], s48, v0
	v_sub_f32_e32 v10, v10, v26
	v_cndmask_b32_e64 v11, v11, v11, s[24:25]
	v_ldexp_f32 v1, v1, v14
	v_sub_f32_e32 v14, v15, v26
	v_mul_f32_e32 v15, 0x3fb8aa3b, v14
	v_fma_f32 v18, v14, s46, -v15
	v_rndne_f32_e32 v19, v15
	v_fmac_f32_e32 v18, 0x32a5705f, v14
	v_sub_f32_e32 v15, v15, v19
	v_add_f32_e32 v15, v15, v18
	v_exp_f32_e32 v15, v15
	v_cvt_i32_f32_e32 v18, v19
	v_cndmask_b32_e64 v1, 0, v1, s[8:9]
	v_cmp_nlt_f32_e64 s[8:9], s44, v0
	v_cndmask_b32_e64 v0, v22, v1, s[8:9]
	v_ldexp_f32 v1, v15, v18
	v_cmp_ngt_f32_e64 s[8:9], s48, v14
	v_cndmask_b32_e64 v1, 0, v1, s[8:9]
	v_cmp_nlt_f32_e64 s[8:9], s44, v14
	v_cndmask_b32_e64 v14, v22, v1, s[8:9]
	v_cndmask_b32_e64 v1, v16, v16, s[30:31]
	v_sub_f32_e32 v15, v1, v26
	v_mul_f32_e32 v1, 0x3fb8aa3b, v15
	v_fma_f32 v16, v15, s46, -v1
	v_rndne_f32_e32 v18, v1
	v_fmac_f32_e32 v16, 0x32a5705f, v15
	v_sub_f32_e32 v1, v1, v18
	v_add_f32_e32 v1, v1, v16
	v_exp_f32_e32 v16, v1
	v_cvt_i32_f32_e32 v18, v18
	v_mov_b32_e32 v1, s45
	v_cndmask_b32_e64 v23, v1, v14, s[30:31]
	v_cmp_ngt_f32_e64 s[8:9], s48, v15
	v_ldexp_f32 v1, v16, v18
	v_sub_f32_e32 v18, v17, v26
	v_mul_f32_e32 v16, 0x3fb8aa3b, v18
	v_fma_f32 v17, v18, s46, -v16
	v_rndne_f32_e32 v19, v16
	v_fmac_f32_e32 v17, 0x32a5705f, v18
	v_sub_f32_e32 v16, v16, v19
	v_add_f32_e32 v16, v16, v17
	v_exp_f32_e32 v17, v16
	v_cvt_i32_f32_e32 v19, v19
	v_cndmask_b32_e64 v1, 0, v1, s[8:9]
	v_cmp_nlt_f32_e64 s[8:9], s44, v15
	v_cndmask_b32_e64 v15, v22, v1, s[8:9]
	v_ldexp_f32 v1, v17, v19
	v_cmp_ngt_f32_e64 s[8:9], s48, v18
	v_mov_b32_e32 v16, s45
	v_cndmask_b32_e64 v19, 0, v1, s[8:9]
	v_mul_f32_e32 v1, 0x3fb8aa3b, v10
	v_cndmask_b32_e64 v24, v16, v15, s[26:27]
	v_fma_f32 v16, v10, s46, -v1
	v_rndne_f32_e32 v17, v1
	v_fmac_f32_e32 v16, 0x32a5705f, v10
	v_sub_f32_e32 v1, v1, v17
	s_mul_hi_i32 s9, s50, s54
	s_mul_i32 s8, s50, s54
	v_add_f32_e32 v1, v1, v16
	s_lshl_b64 s[8:9], s[8:9], 2
	v_mul_lo_u32 v16, s54, v42
	v_cvt_i32_f32_e32 v21, v17
	s_add_u32 s33, s33, s8
	v_ashrrev_i32_e32 v17, 31, v16
	v_cndmask_b32_e64 v0, 0, v0, s[40:41]
	s_addc_u32 s40, s47, s9
	v_lshlrev_b64 v[16:17], 2, v[16:17]
	v_mov_b32_e32 v25, s40
	v_add_co_u32_e64 v16, s[8:9], s33, v16
	v_addc_co_u32_e64 v17, s[8:9], v25, v17, s[8:9]
	v_add_co_u32_e64 v16, s[8:9], v16, v41
	v_addc_co_u32_e64 v17, s[8:9], 0, v17, s[8:9]
	s_movk_i32 s8, 0x80
	s_mov_b64 s[50:51], src_private_base
	v_add_co_u32_e64 v16, s[8:9], s8, v16
	v_exp_f32_e32 v20, v1
	v_mov_b32_e32 v1, 0
	v_addc_co_u32_e64 v17, s[8:9], 0, v17, s[8:9]
	v_mov_b32_e32 v25, s51
	buffer_store_dword v1, off, s[0:3], 0
	buffer_store_dword v1, off, s[0:3], 0 offset:4
	buffer_store_dword v1, off, s[0:3], 0 offset:8
	;; [unrolled: 1-line block ×3, first 2 shown]
	v_cndmask_b32_e64 v17, v25, v17, s[38:39]
	v_cndmask_b32_e64 v16, v30, v16, s[38:39]
	flat_load_dwordx4 v[44:47], v[16:17]
	v_cmp_nlt_f32_e64 s[8:9], s44, v18
	v_sub_f32_e32 v11, v11, v26
	v_cndmask_b32_e64 v17, v22, v19, s[8:9]
	v_mov_b32_e32 v19, s45
	v_mul_f32_e32 v18, 0x3fb8aa3b, v11
	v_cndmask_b32_e64 v50, v19, v17, s[28:29]
	v_ldexp_f32 v16, v20, v21
	v_fma_f32 v19, v11, s46, -v18
	v_rndne_f32_e32 v20, v18
	v_fmac_f32_e32 v19, 0x32a5705f, v11
	v_sub_f32_e32 v18, v18, v20
	v_add_f32_e32 v18, v18, v19
	v_exp_f32_e32 v18, v18
	v_cvt_i32_f32_e32 v19, v20
	v_cmp_ngt_f32_e64 s[8:9], s48, v10
	v_cndmask_b32_e64 v16, 0, v16, s[8:9]
	v_cmp_nlt_f32_e64 s[8:9], s44, v10
	v_cndmask_b32_e64 v12, v12, v12, s[24:25]
	v_cndmask_b32_e64 v16, v22, v16, s[8:9]
	v_mov_b32_e32 v10, s45
	v_sub_f32_e32 v12, v12, v26
	v_cndmask_b32_e64 v51, v10, v16, s[24:25]
	v_ldexp_f32 v10, v18, v19
	v_mul_f32_e32 v18, 0x3fb8aa3b, v12
	v_fma_f32 v19, v12, s46, -v18
	v_rndne_f32_e32 v20, v18
	v_fmac_f32_e32 v19, 0x32a5705f, v12
	v_sub_f32_e32 v18, v18, v20
	v_cmp_ngt_f32_e64 s[8:9], s48, v11
	v_add_f32_e32 v18, v18, v19
	v_cndmask_b32_e64 v10, 0, v10, s[8:9]
	v_exp_f32_e32 v19, v18
	v_cvt_i32_f32_e32 v20, v20
	v_cmp_nlt_f32_e64 s[8:9], s44, v11
	v_cndmask_b32_e64 v13, v13, v13, s[24:25]
	v_cndmask_b32_e64 v18, v22, v10, s[8:9]
	v_mov_b32_e32 v11, s45
	v_cndmask_b32_e64 v52, v11, v18, s[22:23]
	v_sub_f32_e32 v11, v13, v26
	v_mul_f32_e32 v13, 0x3fb8aa3b, v11
	v_ldexp_f32 v10, v19, v20
	v_fma_f32 v19, v11, s46, -v13
	v_rndne_f32_e32 v20, v13
	v_fmac_f32_e32 v19, 0x32a5705f, v11
	v_sub_f32_e32 v13, v13, v20
	v_add_f32_e32 v13, v13, v19
	v_exp_f32_e32 v13, v13
	v_cvt_i32_f32_e32 v19, v20
	v_cmp_ngt_f32_e64 s[8:9], s48, v12
	v_cndmask_b32_e64 v10, 0, v10, s[8:9]
	v_cmp_nlt_f32_e64 s[8:9], s44, v12
	v_sub_f32_e32 v6, v6, v26
	v_cndmask_b32_e64 v21, v22, v10, s[8:9]
	v_mov_b32_e32 v10, s45
	v_mul_f32_e32 v12, 0x3fb8aa3b, v6
	v_cndmask_b32_e64 v53, v10, v21, s[20:21]
	v_ldexp_f32 v10, v13, v19
	v_fma_f32 v13, v6, s46, -v12
	v_rndne_f32_e32 v19, v12
	v_fmac_f32_e32 v13, 0x32a5705f, v6
	v_sub_f32_e32 v12, v12, v19
	v_add_f32_e32 v12, v12, v13
	v_exp_f32_e32 v12, v12
	v_cvt_i32_f32_e32 v13, v19
	v_cmp_ngt_f32_e64 s[8:9], s48, v11
	v_cndmask_b32_e64 v10, 0, v10, s[8:9]
	v_cmp_nlt_f32_e64 s[8:9], s44, v11
	v_cndmask_b32_e64 v20, v22, v10, s[8:9]
	v_ldexp_f32 v10, v12, v13
	v_cmp_ngt_f32_e64 s[8:9], s48, v6
	v_cndmask_b32_e64 v10, 0, v10, s[8:9]
	v_cmp_nlt_f32_e64 s[8:9], s44, v6
	v_mov_b32_e32 v11, s45
	v_cndmask_b32_e64 v19, v22, v10, s[8:9]
	v_mul_lo_u32 v10, s54, v104
	v_cndmask_b32_e64 v54, v11, v20, s[18:19]
	v_ashrrev_i32_e32 v11, 31, v10
	v_lshlrev_b64 v[12:13], 2, v[10:11]
	v_mov_b32_e32 v11, s40
	v_add_co_u32_e64 v12, s[8:9], s33, v12
	v_addc_co_u32_e64 v11, s[8:9], v11, v13, s[8:9]
	v_add_co_u32_e64 v12, s[8:9], v12, v38
	v_addc_co_u32_e64 v11, s[8:9], 0, v11, s[8:9]
	s_waitcnt vmcnt(0) lgkmcnt(0)
	ds_write_b128 v36, v[44:47]
	v_cndmask_b32_e64 v13, v25, v11, s[36:37]
	v_cndmask_b32_e64 v12, v30, v12, s[36:37]
	flat_load_dwordx4 v[44:47], v[12:13]
	v_cndmask_b32_e64 v7, v7, v7, s[16:17]
	v_sub_f32_e32 v7, v7, v26
	v_mul_f32_e32 v11, 0x3fb8aa3b, v7
	v_fma_f32 v12, v7, s46, -v11
	v_rndne_f32_e32 v13, v11
	v_fmac_f32_e32 v12, 0x32a5705f, v7
	v_sub_f32_e32 v11, v11, v13
	v_add_f32_e32 v11, v11, v12
	v_exp_f32_e32 v11, v11
	v_cvt_i32_f32_e32 v12, v13
	v_cndmask_b32_e64 v8, v8, v8, s[16:17]
	v_sub_f32_e32 v8, v8, v26
	v_mov_b32_e32 v6, s45
	v_cndmask_b32_e64 v13, v9, v9, s[16:17]
	v_mul_f32_e32 v9, 0x3fb8aa3b, v8
	v_cndmask_b32_e64 v55, v6, v19, s[16:17]
	v_ldexp_f32 v6, v11, v12
	v_fma_f32 v11, v8, s46, -v9
	v_rndne_f32_e32 v12, v9
	v_fmac_f32_e32 v11, 0x32a5705f, v8
	v_sub_f32_e32 v9, v9, v12
	v_add_f32_e32 v9, v9, v11
	v_cmp_ngt_f32_e64 s[8:9], s48, v7
	v_exp_f32_e32 v11, v9
	v_cvt_i32_f32_e32 v12, v12
	v_cndmask_b32_e64 v6, 0, v6, s[8:9]
	v_cmp_nlt_f32_e64 s[8:9], s44, v7
	v_cndmask_b32_e64 v33, v22, v6, s[8:9]
	v_mov_b32_e32 v7, s45
	v_cndmask_b32_e64 v9, v7, v33, s[12:13]
	v_sub_f32_e32 v7, v13, v26
	v_ldexp_f32 v6, v11, v12
	v_mul_f32_e32 v11, 0x3fb8aa3b, v7
	v_fma_f32 v12, v7, s46, -v11
	v_rndne_f32_e32 v13, v11
	v_fmac_f32_e32 v12, 0x32a5705f, v7
	v_sub_f32_e32 v11, v11, v13
	v_add_f32_e32 v11, v11, v12
	v_exp_f32_e32 v11, v11
	v_cvt_i32_f32_e32 v12, v13
	v_cmp_ngt_f32_e64 s[8:9], s48, v8
	v_cndmask_b32_e64 v6, 0, v6, s[8:9]
	v_cmp_nlt_f32_e64 s[8:9], s44, v8
	v_sub_f32_e32 v2, v2, v26
	v_cndmask_b32_e64 v41, v22, v6, s[8:9]
	v_mov_b32_e32 v6, s45
	v_mul_f32_e32 v8, 0x3fb8aa3b, v2
	v_cndmask_b32_e64 v13, v6, v41, s[14:15]
	v_ldexp_f32 v6, v11, v12
	v_fma_f32 v11, v2, s46, -v8
	v_rndne_f32_e32 v12, v8
	v_fmac_f32_e32 v11, 0x32a5705f, v2
	v_sub_f32_e32 v8, v8, v12
	v_add_f32_e32 v8, v8, v11
	v_exp_f32_e32 v8, v8
	v_cvt_i32_f32_e32 v11, v12
	v_cmp_ngt_f32_e64 s[8:9], s48, v7
	v_cndmask_b32_e64 v6, 0, v6, s[8:9]
	v_cmp_nlt_f32_e64 s[8:9], s44, v7
	v_cndmask_b32_e64 v42, v22, v6, s[8:9]
	v_ldexp_f32 v6, v8, v11
	v_cmp_ngt_f32_e64 s[8:9], s48, v2
	v_cndmask_b32_e64 v3, v3, v3, s[6:7]
	v_cndmask_b32_e64 v6, 0, v6, s[8:9]
	v_cmp_nlt_f32_e64 s[8:9], s44, v2
	v_sub_f32_e32 v3, v3, v26
	v_mov_b32_e32 v7, s45
	v_cndmask_b32_e64 v36, v22, v6, s[8:9]
	v_mul_f32_e32 v6, 0x3fb8aa3b, v3
	v_cndmask_b32_e64 v29, v7, v42, s[10:11]
	v_fma_f32 v7, v3, s46, -v6
	v_rndne_f32_e32 v8, v6
	v_fmac_f32_e32 v7, 0x32a5705f, v3
	v_sub_f32_e32 v6, v6, v8
	v_add_f32_e32 v6, v6, v7
	v_exp_f32_e32 v11, v6
	v_lshl_add_u32 v6, s54, 5, v10
	v_ashrrev_i32_e32 v7, 31, v6
	v_lshlrev_b64 v[6:7], 2, v[6:7]
	v_mov_b32_e32 v10, s40
	v_add_co_u32_e64 v6, s[8:9], s33, v6
	v_addc_co_u32_e64 v7, s[8:9], v10, v7, s[8:9]
	v_add_co_u32_e64 v6, s[8:9], v6, v38
	v_addc_co_u32_e64 v7, s[8:9], 0, v7, s[8:9]
	s_waitcnt vmcnt(0) lgkmcnt(0)
	ds_write_b128 v39, v[44:47]
	v_cndmask_b32_e64 v7, v25, v7, s[34:35]
	v_cndmask_b32_e64 v6, v30, v6, s[34:35]
	flat_load_dwordx4 v[46:49], v[6:7]
	v_cvt_i32_f32_e32 v8, v8
	v_cndmask_b32_e64 v4, v4, v4, s[6:7]
	v_sub_f32_e32 v4, v4, v26
	v_mov_b32_e32 v2, s45
	v_mul_f32_e32 v6, 0x3fb8aa3b, v4
	v_cndmask_b32_e64 v30, v2, v36, s[6:7]
	v_ldexp_f32 v2, v11, v8
	v_fma_f32 v7, v4, s46, -v6
	v_rndne_f32_e32 v8, v6
	v_fmac_f32_e32 v7, 0x32a5705f, v4
	v_sub_f32_e32 v6, v6, v8
	v_add_f32_e32 v6, v6, v7
	v_exp_f32_e32 v6, v6
	v_cvt_i32_f32_e32 v8, v8
	v_cmp_ngt_f32_e64 s[8:9], s48, v3
	v_cndmask_b32_e64 v2, 0, v2, s[8:9]
	v_cmp_nlt_f32_e64 s[8:9], s44, v3
	v_cndmask_b32_e64 v39, v22, v2, s[8:9]
	v_ldexp_f32 v2, v6, v8
	v_cmp_ngt_f32_e64 s[8:9], s48, v4
	v_cndmask_b32_e64 v2, 0, v2, s[8:9]
	v_cmp_nlt_f32_e64 s[8:9], s44, v4
	v_cndmask_b32_e64 v5, v5, v5, s[6:7]
	v_cndmask_b32_e64 v38, v22, v2, s[8:9]
	v_mov_b32_e32 v2, s45
	v_mov_b32_e32 v3, s45
	v_cndmask_b32_e64 v8, v2, v38, s[4:5]
	v_sub_f32_e32 v2, v5, v26
	v_cndmask_b32_e64 v7, v3, v39, s[42:43]
	v_mul_f32_e32 v3, 0x3fb8aa3b, v2
	v_fma_f32 v4, v2, s46, -v3
	v_rndne_f32_e32 v5, v3
	v_fmac_f32_e32 v4, 0x32a5705f, v2
	v_sub_f32_e32 v3, v3, v5
	v_add_f32_e32 v3, v3, v4
	v_cvt_i32_f32_e32 v4, v5
	v_sub_f32_e32 v5, v37, v26
	v_mul_f32_e32 v6, 0x3fb8aa3b, v5
	v_fma_f32 v10, v5, s46, -v6
	v_rndne_f32_e32 v11, v6
	v_fmac_f32_e32 v10, 0x32a5705f, v5
	v_sub_f32_e32 v6, v6, v11
	v_exp_f32_e32 v3, v3
	v_add_f32_e32 v6, v6, v10
	v_exp_f32_e32 v6, v6
	v_cvt_i32_f32_e32 v10, v11
	v_ldexp_f32 v3, v3, v4
	v_cmp_ngt_f32_e64 s[8:9], s48, v2
	v_cndmask_b32_e64 v3, 0, v3, s[8:9]
	v_ldexp_f32 v4, v6, v10
	v_cmp_ngt_f32_e64 s[8:9], s48, v5
	v_cndmask_b32_e64 v4, 0, v4, s[8:9]
	v_cmp_nlt_f32_e64 s[8:9], s44, v5
	v_cndmask_b32_e64 v4, v22, v4, s[8:9]
	s_mov_b32 s8, 0xc1a00000
	v_cmp_le_f32_e64 s[8:9], s8, v5
	v_cndmask_b32_e64 v37, 0, v4, s[8:9]
	v_cmp_nlt_f32_e64 s[8:9], s44, v2
	v_cvt_f16_f32_e32 v2, v0
	v_cvt_f16_f32_e32 v4, v23
	;; [unrolled: 1-line block ×4, first 2 shown]
	v_cndmask_b32_e64 v44, v22, v3, s[8:9]
	v_cvt_f16_f32_e32 v12, v51
	v_cvt_f16_f32_e32 v22, v52
	;; [unrolled: 1-line block ×5, first 2 shown]
	v_pack_b32_f16 v24, v2, v4
	v_mul_u32_u24_e32 v2, 0x68, v40
	v_mul_u32_u24_e32 v4, 0xd0, v40
	v_pack_b32_f16 v25, v10, v11
	v_or_b32_e32 v2, v2, v86
	v_mul_u32_u24_e32 v11, 0xd0, v28
	v_add3_u32 v10, 0, v4, v103
	v_mov_b32_e32 v3, s45
	v_pack_b32_f16 v22, v12, v22
	v_pack_b32_f16 v23, v23, v50
	v_cvt_f16_f32_e32 v50, v55
	s_waitcnt vmcnt(0) lgkmcnt(0)
	ds_write_b128 v43, v[46:49]
	s_waitcnt lgkmcnt(0)
	s_barrier
	v_lshl_add_u32 v12, v2, 1, 0
	v_add3_u32 v11, 0, v11, v103
	s_mov_b32 s8, 0x5040100
	ds_read_u16 v28, v10 offset:416
	ds_read_u16 v40, v10 offset:448
	;; [unrolled: 1-line block ×8, first 2 shown]
	ds_read_u16 v47, v11
	ds_read_u16 v51, v11 offset:32
	ds_read_u16 v55, v11 offset:64
	;; [unrolled: 1-line block ×7, first 2 shown]
	v_cndmask_b32_e32 v31, v3, v44, vcc
	v_pk_mul_f16 v3, v45, v114 op_sel_hi:[0,1]
	v_pk_mul_f16 v5, v45, v113 op_sel_hi:[0,1]
	s_waitcnt lgkmcnt(7)
	v_perm_b32 v47, v47, v28, s8
	ds_read_u16 v60, v12 offset:3360
	ds_read_u16 v28, v12
	ds_read_u16 v61, v12 offset:32
	ds_read_u16 v62, v12 offset:64
	;; [unrolled: 1-line block ×6, first 2 shown]
	s_waitcnt lgkmcnt(6)
	v_perm_b32 v46, v46, v28, s8
	v_cvt_f32_f16_e32 v2, v3
	v_cvt_f32_f16_sdwa v3, v3 dst_sel:DWORD dst_unused:UNUSED_PAD src0_sel:WORD_1
	v_cvt_f32_f16_e32 v4, v5
	v_cvt_f32_f16_sdwa v5, v5 dst_sel:DWORD dst_unused:UNUSED_PAD src0_sel:WORD_1
	ds_read_u16 v28, v10 offset:3744
	ds_read_u16 v67, v10 offset:3776
	;; [unrolled: 1-line block ×7, first 2 shown]
	v_mfma_f32_16x16x16f16 v[2:5], v[46:47], v[24:25], v[2:5]
	s_waitcnt lgkmcnt(6)
	v_perm_b32 v47, v48, v28, s8
	ds_read_u16 v28, v10 offset:3536
	ds_read_u16 v73, v10 offset:3568
	;; [unrolled: 1-line block ×5, first 2 shown]
	s_waitcnt lgkmcnt(4)
	v_perm_b32 v46, v28, v65, s8
	v_cvt_f16_f32_e32 v9, v9
	v_cvt_f16_f32_e32 v13, v13
	;; [unrolled: 1-line block ×8, first 2 shown]
	v_cvt_f32_f16_e32 v2, v2
	v_cvt_f32_f16_e32 v3, v3
	;; [unrolled: 1-line block ×4, first 2 shown]
	v_pack_b32_f16 v28, v50, v9
	v_pack_b32_f16 v29, v13, v29
	v_mfma_f32_16x16x16f16 v[2:5], v[46:47], v[22:23], v[2:5]
	v_cvt_f16_f32_e32 v13, v30
	ds_read_u16 v9, v10 offset:7072
	ds_read_u16 v50, v10 offset:7104
	;; [unrolled: 1-line block ×13, first 2 shown]
	s_waitcnt lgkmcnt(10)
	v_perm_b32 v47, v30, v9, s8
	ds_read_u16 v9, v12 offset:6656
	ds_read_u16 v109, v12 offset:6688
	;; [unrolled: 1-line block ×5, first 2 shown]
	s_waitcnt lgkmcnt(4)
	v_perm_b32 v46, v46, v9, s8
	v_cvt_f16_f32_e32 v48, v8
	v_cvt_f16_f32_e32 v31, v31
	;; [unrolled: 1-line block ×6, first 2 shown]
	v_cvt_f32_f16_e32 v2, v2
	v_cvt_f32_f16_e32 v3, v3
	v_cvt_f32_f16_e32 v4, v4
	v_cvt_f32_f16_e32 v5, v5
	v_pk_mul_f16 v6, v45, v115 op_sel_hi:[0,1]
	ds_read_u16 v113, v11 offset:10016
	ds_read_u16 v114, v11 offset:10048
	;; [unrolled: 1-line block ×14, first 2 shown]
	v_mfma_f32_16x16x16f16 v[2:5], v[46:47], v[28:29], v[2:5]
	s_waitcnt lgkmcnt(6)
	v_perm_b32 v9, v8, v9, s8
	ds_read_u16 v8, v10 offset:10192
	ds_read_u16 v126, v10 offset:10224
	;; [unrolled: 1-line block ×12, first 2 shown]
	s_waitcnt lgkmcnt(7)
	v_perm_b32 v8, v8, v30, s8
	v_pk_mul_f16 v102, v45, v102 op_sel_hi:[0,1]
	v_pack_b32_f16 v30, v13, v7
	v_cvt_f32_f16_e32 v46, v6
	v_cvt_f32_f16_sdwa v47, v6 dst_sel:DWORD dst_unused:UNUSED_PAD src0_sel:WORD_1
	v_cvt_f16_f32_e32 v2, v2
	v_cvt_f16_f32_e32 v3, v3
	;; [unrolled: 1-line block ×4, first 2 shown]
	v_perm_b32 v7, v51, v40, s8
	v_perm_b32 v6, v49, v61, s8
	v_cvt_f32_f16_e32 v2, v2
	v_cvt_f32_f16_e32 v3, v3
	;; [unrolled: 1-line block ×4, first 2 shown]
	v_pack_b32_f16 v31, v48, v31
	v_cvt_f32_f16_e32 v48, v102
	v_cvt_f32_f16_sdwa v49, v102 dst_sel:DWORD dst_unused:UNUSED_PAD src0_sel:WORD_1
	v_mfma_f32_16x16x16f16 v[2:5], v[8:9], v[30:31], v[2:5]
	v_add_f32_e32 v14, v14, v0
	v_cndmask_b32_e64 v0, v0, v14, s[30:31]
	v_pk_mul_f16 v14, v45, v99 op_sel_hi:[0,1]
	v_mfma_f32_16x16x16f16 v[6:9], v[6:7], v[24:25], v[46:49]
	s_nop 6
	v_perm_b32 v47, v43, v67, s8
	s_nop 2
	v_cvt_f16_f32_e32 v6, v6
	v_cvt_f16_f32_e32 v7, v7
	;; [unrolled: 1-line block ×4, first 2 shown]
	v_perm_b32 v46, v73, v60, s8
	v_cvt_f32_f16_e32 v6, v6
	v_cvt_f32_f16_e32 v7, v7
	;; [unrolled: 1-line block ×4, first 2 shown]
	ds_read_u16 v13, v10 offset:480
	ds_read_u16 v40, v10 offset:512
	;; [unrolled: 1-line block ×3, first 2 shown]
	v_mfma_f32_16x16x16f16 v[6:9], v[46:47], v[22:23], v[6:9]
	v_perm_b32 v47, v65, v50, s8
	v_perm_b32 v46, v103, v109, s8
	v_pk_mul_f16 v48, v45, v101 op_sel_hi:[0,1]
	v_pk_mul_f16 v49, v45, v100 op_sel_hi:[0,1]
	s_waitcnt lgkmcnt(2)
	v_perm_b32 v51, v55, v13, s8
	v_perm_b32 v50, v52, v62, s8
	ds_read_u16 v43, v12 offset:3392
	ds_read_u16 v61, v12 offset:3424
	;; [unrolled: 1-line block ×3, first 2 shown]
	s_nop 0
	v_cvt_f16_f32_e32 v6, v6
	v_cvt_f16_f32_e32 v7, v7
	;; [unrolled: 1-line block ×4, first 2 shown]
	v_cvt_f32_f16_e32 v6, v6
	v_cvt_f32_f16_e32 v7, v7
	;; [unrolled: 1-line block ×4, first 2 shown]
	ds_read_u16 v67, v10 offset:3664
	ds_read_u16 v13, v11 offset:3392
	;; [unrolled: 1-line block ×5, first 2 shown]
	v_mfma_f32_16x16x16f16 v[6:9], v[46:47], v[28:29], v[6:9]
	v_perm_b32 v47, v113, v120, s8
	v_perm_b32 v46, v126, v129, s8
	s_waitcnt lgkmcnt(3)
	v_perm_b32 v13, v13, v68, s8
	s_nop 6
	v_cvt_f16_f32_e32 v6, v6
	v_cvt_f16_f32_e32 v7, v7
	;; [unrolled: 1-line block ×4, first 2 shown]
	v_cvt_f32_f16_e32 v6, v6
	v_cvt_f32_f16_e32 v7, v7
	;; [unrolled: 1-line block ×4, first 2 shown]
	s_nop 1
	v_mfma_f32_16x16x16f16 v[6:9], v[46:47], v[30:31], v[6:9]
	v_cvt_f32_f16_e32 v46, v48
	v_cvt_f32_f16_sdwa v47, v48 dst_sel:DWORD dst_unused:UNUSED_PAD src0_sel:WORD_1
	v_cvt_f32_f16_e32 v48, v49
	v_cvt_f32_f16_sdwa v49, v49 dst_sel:DWORD dst_unused:UNUSED_PAD src0_sel:WORD_1
	s_nop 1
	v_mfma_f32_16x16x16f16 v[46:49], v[50:51], v[24:25], v[46:49]
	v_perm_b32 v51, v57, v60, s8
	s_nop 7
	s_nop 1
	v_cvt_f16_f32_e32 v12, v46
	v_cvt_f16_f32_e32 v47, v47
	;; [unrolled: 1-line block ×4, first 2 shown]
	v_cvt_f32_f16_e32 v46, v12
	v_perm_b32 v12, v74, v43, s8
	v_cvt_f32_f16_e32 v47, v47
	v_cvt_f32_f16_e32 v48, v48
	;; [unrolled: 1-line block ×3, first 2 shown]
	ds_read_u16 v43, v10 offset:7136
	ds_read_u16 v50, v10 offset:7168
	;; [unrolled: 1-line block ×5, first 2 shown]
	v_mfma_f32_16x16x16f16 v[10:13], v[12:13], v[22:23], v[46:49]
	s_waitcnt lgkmcnt(0)
	s_barrier
	s_nop 4
	v_perm_b32 v47, v77, v43, s8
	v_perm_b32 v46, v104, v110, s8
	v_add_f32_e32 v43, v0, v15
	v_pk_mul_f16 v49, v45, v98 op_sel_hi:[0,1]
	v_cvt_f16_f32_e32 v10, v10
	v_cvt_f16_f32_e32 v11, v11
	;; [unrolled: 1-line block ×4, first 2 shown]
	v_cvt_f32_f16_e32 v10, v10
	v_cvt_f32_f16_e32 v11, v11
	;; [unrolled: 1-line block ×4, first 2 shown]
	v_perm_b32 v15, v56, v40, s8
	v_cvt_f32_f16_e32 v48, v49
	v_mfma_f32_16x16x16f16 v[10:13], v[46:47], v[28:29], v[10:13]
	v_perm_b32 v47, v114, v121, s8
	v_perm_b32 v46, v127, v130, s8
	v_cvt_f32_f16_sdwa v49, v49 dst_sel:DWORD dst_unused:UNUSED_PAD src0_sel:WORD_1
	v_cndmask_b32_e64 v0, v0, v43, s[26:27]
	v_add_f32_e32 v17, v0, v17
	v_cndmask_b32_e64 v17, v0, v17, s[28:29]
	v_pk_mul_f16 v43, v45, v94 op_sel_hi:[0,1]
	s_nop 3
	v_cvt_f16_f32_e32 v10, v10
	v_cvt_f16_f32_e32 v11, v11
	;; [unrolled: 1-line block ×4, first 2 shown]
	v_cvt_f32_f16_e32 v10, v10
	v_cvt_f32_f16_e32 v11, v11
	;; [unrolled: 1-line block ×4, first 2 shown]
	s_barrier
	s_nop 0
	v_mfma_f32_16x16x16f16 v[10:13], v[46:47], v[30:31], v[10:13]
	v_cvt_f32_f16_e32 v46, v14
	v_cvt_f32_f16_sdwa v47, v14 dst_sel:DWORD dst_unused:UNUSED_PAD src0_sel:WORD_1
	v_perm_b32 v14, v53, v63, s8
	s_nop 1
	v_mfma_f32_16x16x16f16 v[46:49], v[14:15], v[24:25], v[46:49]
	s_nop 7
	s_nop 2
	v_cvt_f16_f32_e32 v14, v47
	v_cvt_f16_f32_e32 v15, v48
	;; [unrolled: 1-line block ×4, first 2 shown]
	v_cvt_f32_f16_e32 v47, v14
	v_cvt_f32_f16_e32 v48, v15
	v_perm_b32 v15, v52, v69, s8
	v_perm_b32 v14, v75, v61, s8
	v_cvt_f32_f16_e32 v46, v0
	v_cvt_f32_f16_e32 v49, v40
	v_add_f32_e32 v0, v16, v17
	v_cndmask_b32_e64 v0, v17, v0, s[24:25]
	v_mfma_f32_16x16x16f16 v[14:17], v[14:15], v[22:23], v[46:49]
	v_add_f32_e32 v18, v18, v0
	v_cndmask_b32_e64 v0, v0, v18, s[22:23]
	v_add_f32_e32 v18, v21, v0
	v_cndmask_b32_e64 v0, v0, v18, s[20:21]
	s_nop 2
	v_perm_b32 v47, v89, v50, s8
	v_perm_b32 v46, v105, v111, s8
	v_pk_mul_f16 v18, v45, v97 op_sel_hi:[0,1]
	s_nop 0
	v_cvt_f16_f32_e32 v14, v14
	v_cvt_f16_f32_e32 v15, v15
	;; [unrolled: 1-line block ×4, first 2 shown]
	v_cvt_f32_f16_e32 v14, v14
	v_cvt_f32_f16_e32 v15, v15
	;; [unrolled: 1-line block ×4, first 2 shown]
	v_pk_mul_f16 v21, v45, v96 op_sel_hi:[0,1]
	v_perm_b32 v50, v54, v64, s8
	v_mfma_f32_16x16x16f16 v[14:17], v[46:47], v[28:29], v[14:17]
	v_perm_b32 v47, v115, v122, s8
	v_perm_b32 v46, v128, v131, s8
	v_cvt_f32_f16_e32 v48, v21
	v_cvt_f32_f16_sdwa v49, v21 dst_sel:DWORD dst_unused:UNUSED_PAD src0_sel:WORD_1
	s_nop 6
	v_cvt_f16_f32_e32 v14, v14
	v_cvt_f16_f32_e32 v15, v15
	;; [unrolled: 1-line block ×4, first 2 shown]
	v_cvt_f32_f16_e32 v14, v14
	v_cvt_f32_f16_e32 v15, v15
	;; [unrolled: 1-line block ×4, first 2 shown]
	s_nop 1
	v_mfma_f32_16x16x16f16 v[14:17], v[46:47], v[30:31], v[14:17]
	v_cvt_f32_f16_e32 v46, v18
	v_cvt_f32_f16_sdwa v47, v18 dst_sel:DWORD dst_unused:UNUSED_PAD src0_sel:WORD_1
	v_add_f32_e32 v18, v20, v0
	v_cndmask_b32_e64 v18, v0, v18, s[18:19]
	v_mfma_f32_16x16x16f16 v[46:49], v[50:51], v[24:25], v[46:49]
	s_nop 7
	s_nop 2
	v_cvt_f16_f32_e32 v20, v47
	v_cvt_f16_f32_e32 v21, v48
	;; [unrolled: 1-line block ×4, first 2 shown]
	v_cvt_f32_f16_e32 v47, v20
	v_cvt_f32_f16_e32 v48, v21
	v_perm_b32 v21, v55, v70, s8
	v_perm_b32 v20, v67, v65, s8
	v_cvt_f32_f16_e32 v46, v0
	v_cvt_f32_f16_e32 v49, v40
	v_add_f32_e32 v0, v19, v18
	v_cndmask_b32_e64 v0, v18, v0, s[16:17]
	v_mfma_f32_16x16x16f16 v[18:21], v[20:21], v[22:23], v[46:49]
	v_add_f32_e32 v33, v33, v0
	v_cndmask_b32_e64 v0, v0, v33, s[12:13]
	v_add_f32_e32 v33, v41, v0
	v_perm_b32 v41, v117, v123, s8
	s_nop 2
	v_perm_b32 v47, v73, v68, s8
	v_perm_b32 v46, v106, v62, s8
	;; [unrolled: 1-line block ×3, first 2 shown]
	s_nop 0
	v_cvt_f16_f32_e32 v18, v18
	v_cvt_f16_f32_e32 v19, v19
	;; [unrolled: 1-line block ×4, first 2 shown]
	v_cvt_f32_f16_e32 v18, v18
	v_cvt_f32_f16_e32 v19, v19
	v_cvt_f32_f16_e32 v20, v20
	v_cvt_f32_f16_e32 v21, v21
	v_cndmask_b32_e64 v0, v0, v33, s[14:15]
	v_add_f32_e32 v33, v42, v0
	v_mfma_f32_16x16x16f16 v[18:21], v[46:47], v[28:29], v[18:21]
	v_pk_mul_f16 v42, v45, v95 op_sel_hi:[0,1]
	v_perm_b32 v47, v59, v76, s8
	v_perm_b32 v46, v58, v66, s8
	v_cndmask_b32_e64 v33, v0, v33, s[10:11]
	v_add_f32_e32 v0, v36, v33
	v_cndmask_b32_e64 v0, v33, v0, s[6:7]
	v_add_f32_e32 v33, v39, v0
	s_nop 3
	v_cvt_f16_f32_e32 v18, v18
	v_cvt_f16_f32_e32 v19, v19
	;; [unrolled: 1-line block ×4, first 2 shown]
	v_cvt_f32_f16_e32 v18, v18
	v_cvt_f32_f16_e32 v19, v19
	;; [unrolled: 1-line block ×4, first 2 shown]
	v_cndmask_b32_e64 v0, v0, v33, s[42:43]
	v_add_f32_e32 v33, v38, v0
	v_mfma_f32_16x16x16f16 v[18:21], v[40:41], v[30:31], v[18:21]
	v_cvt_f32_f16_e32 v40, v42
	v_cvt_f32_f16_sdwa v41, v42 dst_sel:DWORD dst_unused:UNUSED_PAD src0_sel:WORD_1
	v_cvt_f32_f16_e32 v42, v43
	v_cvt_f32_f16_sdwa v43, v43 dst_sel:DWORD dst_unused:UNUSED_PAD src0_sel:WORD_1
	v_cndmask_b32_e64 v0, v0, v33, s[4:5]
	v_add_f32_e32 v33, v44, v0
	v_cndmask_b32_e32 v0, v0, v33, vcc
	v_mfma_f32_16x16x16f16 v[40:43], v[46:47], v[24:25], v[40:43]
	v_fmac_f32_e32 v0, v116, v37
	ds_bpermute_b32 v27, v27, v0
	v_cmp_gt_u32_e32 vcc, 16, v83
	s_waitcnt lgkmcnt(0)
	v_add_f32_e32 v0, v0, v27
	ds_bpermute_b32 v27, v32, v0
	s_nop 4
	v_cvt_f16_f32_e32 v24, v40
	v_cvt_f16_f32_e32 v25, v41
	;; [unrolled: 1-line block ×4, first 2 shown]
	v_cvt_f32_f16_e32 v40, v24
	v_cvt_f32_f16_e32 v41, v25
	v_perm_b32 v25, v107, v71, s8
	v_perm_b32 v24, v72, v112, s8
	v_cvt_f32_f16_e32 v42, v36
	v_cvt_f32_f16_e32 v43, v43
	s_nop 1
	v_mfma_f32_16x16x16f16 v[22:25], v[24:25], v[22:23], v[40:43]
	s_nop 6
	v_perm_b32 v41, v119, v135, s8
	s_nop 2
	v_cvt_f16_f32_e32 v22, v22
	v_cvt_f16_f32_e32 v23, v23
	;; [unrolled: 1-line block ×4, first 2 shown]
	v_perm_b32 v40, v108, v134, s8
	v_cvt_f32_f16_e32 v22, v22
	v_cvt_f32_f16_e32 v23, v23
	;; [unrolled: 1-line block ×4, first 2 shown]
	s_nop 1
	v_mfma_f32_16x16x16f16 v[22:25], v[40:41], v[28:29], v[22:25]
	v_perm_b32 v29, v118, v124, s8
	v_perm_b32 v28, v125, v133, s8
	s_nop 7
	s_nop 0
	v_cvt_f16_f32_e32 v22, v22
	v_cvt_f16_f32_e32 v23, v23
	;; [unrolled: 1-line block ×4, first 2 shown]
	v_cvt_f32_f16_e32 v22, v22
	v_cvt_f32_f16_e32 v23, v23
	;; [unrolled: 1-line block ×4, first 2 shown]
	s_nop 1
	v_mfma_f32_16x16x16f16 v[22:25], v[28:29], v[30:31], v[22:25]
	s_and_saveexec_b64 s[4:5], vcc
	v_readlane_b32 s8, v253, 12
	s_cbranch_execz .LBB14_439
; %bb.438:
	v_readlane_b32 s6, v253, 17
	s_add_i32 s6, s6, s8
	s_lshl_b32 s44, s6, 6
	s_lshl_b64 s[6:7], s[44:45], 3
	s_add_u32 s6, s86, s6
	v_or_b32_e32 v28, v164, v83
	s_addc_u32 s7, s87, s7
	v_lshlrev_b32_e32 v28, 3, v28
	s_waitcnt lgkmcnt(0)
	v_add_f32_e32 v27, v0, v27
	global_store_dwordx2 v28, v[26:27], s[6:7]
.LBB14_439:
	s_or_b64 exec, exec, s[4:5]
	v_readlane_b32 s10, v253, 8
	v_readlane_b32 s11, v253, 9
	s_load_dword s6, s[10:11], 0x0
	s_load_dword s4, s[10:11], 0x10
	v_cvt_f16_f32_e32 v0, v2
	v_cvt_f16_f32_e32 v2, v3
	;; [unrolled: 1-line block ×8, first 2 shown]
	s_waitcnt lgkmcnt(0)
	s_lshr_b32 s4, s4, 16
	v_pack_b32_f16 v3, v3, v4
	v_pack_b32_f16 v0, v0, v2
	v_pack_b32_f16 v2, v6, v8
	v_pack_b32_f16 v4, v5, v7
	v_cvt_f16_f32_e32 v5, v10
	v_cvt_f16_f32_e32 v6, v11
	;; [unrolled: 1-line block ×8, first 2 shown]
	s_cmp_lg_u32 s4, 0
	s_cselect_b64 s[4:5], -1, 0
	s_cmp_lg_u64 s[4:5], 0
	s_addc_u32 s4, s6, 0
	v_pack_b32_f16 v7, v7, v8
	v_pack_b32_f16 v5, v5, v6
	;; [unrolled: 1-line block ×4, first 2 shown]
	v_cvt_f16_f32_e32 v9, v18
	v_cvt_f16_f32_e32 v10, v19
	;; [unrolled: 1-line block ×8, first 2 shown]
	s_lshl_b32 s44, s4, 7
	s_lshl_b64 s[4:5], s[44:45], 3
	s_add_u32 s6, s86, s4
	s_mul_i32 s44, s8, 0xc00
	s_addc_u32 s7, s87, s5
	s_lshl_b64 s[4:5], s[44:45], 3
	v_pack_b32_f16 v11, v11, v12
	v_pack_b32_f16 v9, v9, v10
	;; [unrolled: 1-line block ×4, first 2 shown]
	s_add_u32 s4, s6, s4
	ds_write2_b32 v93, v0, v3 offset1:1
	ds_write2_b32 v93, v4, v2 offset0:8 offset1:9
	ds_write2_b32 v93, v5, v7 offset0:16 offset1:17
	;; [unrolled: 1-line block ×5, first 2 shown]
	v_and_b32_e32 v4, 15, v80
	s_movk_i32 s6, 0x1ff0
	v_and_or_b32 v5, v82, s6, v4
	v_and_or_b32 v7, v85, s6, v4
	;; [unrolled: 1-line block ×3, first 2 shown]
	v_and_b32_e32 v9, 15, v87
	s_movk_i32 s6, 0x3ff0
	v_and_or_b32 v11, v90, s6, v9
	v_and_or_b32 v12, v91, s6, v9
	v_mad_u32_u24 v5, v5, 52, v34
	v_mad_u32_u24 v4, v4, 52, v34
	;; [unrolled: 1-line block ×4, first 2 shown]
	v_and_or_b32 v9, v92, s6, v9
	v_lshl_add_u32 v6, v35, 2, 0
	v_lshl_add_u32 v5, v5, 2, 0
	v_mad_u32_u24 v7, v7, 52, v34
	v_lshl_add_u32 v4, v4, 2, 0
	v_lshl_add_u32 v11, v11, 2, 0
	;; [unrolled: 1-line block ×3, first 2 shown]
	v_mad_u32_u24 v9, v9, 52, v86
	s_waitcnt lgkmcnt(0)
	s_barrier
	v_lshlrev_b32_e32 v0, 2, v80
	v_lshl_add_u32 v7, v7, 2, 0
	v_lshl_add_u32 v8, v136, 2, 0
	;; [unrolled: 1-line block ×3, first 2 shown]
	ds_read_b32 v13, v6
	ds_read_b32 v14, v5
	;; [unrolled: 1-line block ×4, first 2 shown]
	ds_read_b32 v17, v8 offset:128
	ds_read_b32 v11, v11 offset:128
	;; [unrolled: 1-line block ×4, first 2 shown]
	s_waitcnt lgkmcnt(7)
	v_cvt_f32_f16_e32 v4, v13
	v_cvt_f32_f16_sdwa v5, v13 dst_sel:DWORD dst_unused:UNUSED_PAD src0_sel:WORD_1
	v_sub_u32_e32 v0, v35, v0
	s_addc_u32 s5, s7, s5
	v_lshlrev_b64 v[2:3], 3, v[0:1]
	v_mov_b32_e32 v0, s5
	v_add_co_u32_e32 v2, vcc, s4, v2
	v_addc_co_u32_e32 v3, vcc, v0, v3, vcc
	v_pk_add_f32 v[4:5], v[4:5], 0 op_sel_hi:[1,0]
	v_add_u32_e32 v19, 0x80, v6
	global_store_dwordx2 v[2:3], v[4:5], off
	ds_read2st64_b32 v[2:3], v19 offset0:6 offset1:19
	v_add_u32_e32 v13, 0x1a0, v35
	v_lshlrev_b32_e32 v0, 2, v78
	v_sub_u32_e32 v0, v13, v0
	s_waitcnt lgkmcnt(7)
	v_cvt_f32_f16_e32 v8, v14
	s_waitcnt lgkmcnt(0)
	v_cvt_f32_f16_e32 v6, v2
	v_cvt_f32_f16_sdwa v7, v2 dst_sel:DWORD dst_unused:UNUSED_PAD src0_sel:WORD_1
	v_cvt_f32_f16_sdwa v9, v14 dst_sel:DWORD dst_unused:UNUSED_PAD src0_sel:WORD_1
	v_lshlrev_b64 v[4:5], 3, v[0:1]
	v_mul_u32_u24_e32 v10, 48, v80
	v_mov_b32_e32 v0, s5
	v_add_co_u32_e32 v4, vcc, s4, v4
	v_addc_co_u32_e32 v5, vcc, v0, v5, vcc
	v_pk_add_f32 v[6:7], v[6:7], 0 op_sel_hi:[1,0]
	v_add_lshl_u32 v10, v10, v34, 3
	global_store_dwordx2 v[4:5], v[6:7], off
	v_add_u32_e32 v0, 0x1800, v10
	v_pk_add_f32 v[4:5], v[8:9], 0 op_sel_hi:[1,0]
	global_store_dwordx2 v0, v[4:5], s[4:5]
	v_lshlrev_b32_e32 v0, 2, v79
	v_sub_u32_e32 v0, v13, v0
	v_cvt_f32_f16_e32 v2, v3
	v_cvt_f32_f16_sdwa v3, v3 dst_sel:DWORD dst_unused:UNUSED_PAD src0_sel:WORD_1
	v_add_u32_e32 v0, 0x340, v0
	v_cvt_f32_f16_e32 v6, v15
	v_cvt_f32_f16_sdwa v7, v15 dst_sel:DWORD dst_unused:UNUSED_PAD src0_sel:WORD_1
	v_lshlrev_b64 v[4:5], 3, v[0:1]
	v_mov_b32_e32 v0, s5
	v_add_co_u32_e32 v4, vcc, s4, v4
	v_addc_co_u32_e32 v5, vcc, v0, v5, vcc
	v_pk_add_f32 v[2:3], v[2:3], 0 op_sel_hi:[1,0]
	global_store_dwordx2 v[4:5], v[2:3], off
	v_add_u32_e32 v0, 0x3000, v10
	v_pk_add_f32 v[2:3], v[6:7], 0 op_sel_hi:[1,0]
	global_store_dwordx2 v0, v[2:3], s[4:5]
	ds_read2st64_b32 v[2:3], v19 offset0:32 offset1:45
	v_add_u32_e32 v13, 0x820, v35
	v_lshlrev_b32_e32 v0, 2, v81
	v_sub_u32_e32 v0, v13, v0
	v_cvt_f32_f16_e32 v8, v16
	s_waitcnt lgkmcnt(0)
	v_cvt_f32_f16_e32 v6, v2
	v_cvt_f32_f16_sdwa v7, v2 dst_sel:DWORD dst_unused:UNUSED_PAD src0_sel:WORD_1
	v_cvt_f32_f16_sdwa v9, v16 dst_sel:DWORD dst_unused:UNUSED_PAD src0_sel:WORD_1
	v_lshlrev_b64 v[4:5], 3, v[0:1]
	v_mov_b32_e32 v0, s5
	v_add_co_u32_e32 v4, vcc, s4, v4
	v_addc_co_u32_e32 v5, vcc, v0, v5, vcc
	v_pk_add_f32 v[6:7], v[6:7], 0 op_sel_hi:[1,0]
	global_store_dwordx2 v[4:5], v[6:7], off
	v_add_u32_e32 v0, 0x4800, v10
	v_pk_add_f32 v[4:5], v[8:9], 0 op_sel_hi:[1,0]
	global_store_dwordx2 v0, v[4:5], s[4:5]
	v_lshlrev_b32_e32 v0, 2, v84
	v_sub_u32_e32 v0, v13, v0
	v_cvt_f32_f16_e32 v2, v3
	v_cvt_f32_f16_sdwa v3, v3 dst_sel:DWORD dst_unused:UNUSED_PAD src0_sel:WORD_1
	v_add_u32_e32 v0, 0x340, v0
	v_lshlrev_b64 v[0:1], 3, v[0:1]
	v_mov_b32_e32 v4, s5
	v_add_co_u32_e32 v0, vcc, s4, v0
	v_addc_co_u32_e32 v1, vcc, v4, v1, vcc
	v_pk_add_f32 v[2:3], v[2:3], 0 op_sel_hi:[1,0]
	global_store_dwordx2 v[0:1], v[2:3], off
	v_mul_u32_u24_e32 v0, 48, v87
	v_or_b32_e32 v2, v0, v86
	v_cvt_f32_f16_e32 v0, v17
	v_cvt_f32_f16_sdwa v1, v17 dst_sel:DWORD dst_unused:UNUSED_PAD src0_sel:WORD_1
	v_lshlrev_b32_e32 v4, 3, v2
	v_cvt_f32_f16_e32 v2, v11
	v_cvt_f32_f16_sdwa v3, v11 dst_sel:DWORD dst_unused:UNUSED_PAD src0_sel:WORD_1
	v_pk_add_f32 v[0:1], v[0:1], 0 op_sel_hi:[1,0]
	global_store_dwordx2 v4, v[0:1], s[4:5] offset:256
	v_add_u32_e32 v5, 0x1800, v4
	v_pk_add_f32 v[0:1], v[2:3], 0 op_sel_hi:[1,0]
	global_store_dwordx2 v5, v[0:1], s[4:5] offset:256
	v_cvt_f32_f16_e32 v0, v12
	v_cvt_f32_f16_sdwa v1, v12 dst_sel:DWORD dst_unused:UNUSED_PAD src0_sel:WORD_1
	v_cvt_f32_f16_e32 v2, v18
	v_cvt_f32_f16_sdwa v3, v18 dst_sel:DWORD dst_unused:UNUSED_PAD src0_sel:WORD_1
	v_add_u32_e32 v5, 0x3000, v4
	v_pk_add_f32 v[0:1], v[0:1], 0 op_sel_hi:[1,0]
	global_store_dwordx2 v5, v[0:1], s[4:5] offset:256
	v_add_u32_e32 v4, 0x4800, v4
	v_pk_add_f32 v[0:1], v[2:3], 0 op_sel_hi:[1,0]
	global_store_dwordx2 v4, v[0:1], s[4:5] offset:256
	s_endpgm
.LBB14_440:
                                        ; implicit-def: $vgpr14_vgpr15_vgpr16_vgpr17
                                        ; implicit-def: $vgpr10_vgpr11_vgpr12_vgpr13
                                        ; implicit-def: $vgpr6_vgpr7_vgpr8_vgpr9
                                        ; implicit-def: $vgpr2_vgpr3_vgpr4_vgpr5
                                        ; implicit-def: $vgpr45
                                        ; implicit-def: $vgpr52
                                        ; implicit-def: $vgpr47
                                        ; implicit-def: $vgpr53
                                        ; implicit-def: $vgpr50
                                        ; implicit-def: $vgpr51
	v_add_u32_e32 v36, 0x80, v43
	v_add_u32_e32 v43, 0x1a00, v39
	s_branch .LBB14_436
	.section	.rodata,"a",@progbits
	.p2align	6, 0x0
	.amdhsa_kernel _ZL18flash_attn_ext_f16ILi96ELi96ELi64ELi1ELb0ELb0EEvPKcS1_S1_S1_S1_PKiPfP15HIP_vector_typeIfLj2EEffffjfiS5_IjLj3EEiiiiiiiiiiiliiliiiiil
		.amdhsa_group_segment_fixed_size 0
		.amdhsa_private_segment_fixed_size 112
		.amdhsa_kernarg_size 464
		.amdhsa_user_sgpr_count 8
		.amdhsa_user_sgpr_private_segment_buffer 1
		.amdhsa_user_sgpr_dispatch_ptr 0
		.amdhsa_user_sgpr_queue_ptr 0
		.amdhsa_user_sgpr_kernarg_segment_ptr 1
		.amdhsa_user_sgpr_dispatch_id 0
		.amdhsa_user_sgpr_flat_scratch_init 1
		.amdhsa_user_sgpr_kernarg_preload_length 0
		.amdhsa_user_sgpr_kernarg_preload_offset 0
		.amdhsa_user_sgpr_private_segment_size 0
		.amdhsa_uses_dynamic_stack 0
		.amdhsa_system_sgpr_private_segment_wavefront_offset 1
		.amdhsa_system_sgpr_workgroup_id_x 1
		.amdhsa_system_sgpr_workgroup_id_y 0
		.amdhsa_system_sgpr_workgroup_id_z 0
		.amdhsa_system_sgpr_workgroup_info 0
		.amdhsa_system_vgpr_workitem_id 1
		.amdhsa_next_free_vgpr 256
		.amdhsa_next_free_sgpr 100
		.amdhsa_accum_offset 256
		.amdhsa_reserve_vcc 1
		.amdhsa_reserve_flat_scratch 1
		.amdhsa_float_round_mode_32 0
		.amdhsa_float_round_mode_16_64 0
		.amdhsa_float_denorm_mode_32 3
		.amdhsa_float_denorm_mode_16_64 3
		.amdhsa_dx10_clamp 1
		.amdhsa_ieee_mode 1
		.amdhsa_fp16_overflow 0
		.amdhsa_tg_split 0
		.amdhsa_exception_fp_ieee_invalid_op 0
		.amdhsa_exception_fp_denorm_src 0
		.amdhsa_exception_fp_ieee_div_zero 0
		.amdhsa_exception_fp_ieee_overflow 0
		.amdhsa_exception_fp_ieee_underflow 0
		.amdhsa_exception_fp_ieee_inexact 0
		.amdhsa_exception_int_div_zero 0
	.end_amdhsa_kernel
	.section	.text._ZL18flash_attn_ext_f16ILi96ELi96ELi64ELi1ELb0ELb0EEvPKcS1_S1_S1_S1_PKiPfP15HIP_vector_typeIfLj2EEffffjfiS5_IjLj3EEiiiiiiiiiiiliiliiiiil,"axG",@progbits,_ZL18flash_attn_ext_f16ILi96ELi96ELi64ELi1ELb0ELb0EEvPKcS1_S1_S1_S1_PKiPfP15HIP_vector_typeIfLj2EEffffjfiS5_IjLj3EEiiiiiiiiiiiliiliiiiil,comdat
.Lfunc_end14:
	.size	_ZL18flash_attn_ext_f16ILi96ELi96ELi64ELi1ELb0ELb0EEvPKcS1_S1_S1_S1_PKiPfP15HIP_vector_typeIfLj2EEffffjfiS5_IjLj3EEiiiiiiiiiiiliiliiiiil, .Lfunc_end14-_ZL18flash_attn_ext_f16ILi96ELi96ELi64ELi1ELb0ELb0EEvPKcS1_S1_S1_S1_PKiPfP15HIP_vector_typeIfLj2EEffffjfiS5_IjLj3EEiiiiiiiiiiiliiliiiiil
                                        ; -- End function
	.section	.AMDGPU.csdata,"",@progbits
; Kernel info:
; codeLenInByte = 72424
; NumSgprs: 106
; NumVgprs: 256
; NumAgprs: 0
; TotalNumVgprs: 256
; ScratchSize: 112
; MemoryBound: 0
; FloatMode: 240
; IeeeMode: 1
; LDSByteSize: 0 bytes/workgroup (compile time only)
; SGPRBlocks: 13
; VGPRBlocks: 31
; NumSGPRsForWavesPerEU: 106
; NumVGPRsForWavesPerEU: 256
; AccumOffset: 256
; Occupancy: 2
; WaveLimiterHint : 0
; COMPUTE_PGM_RSRC2:SCRATCH_EN: 1
; COMPUTE_PGM_RSRC2:USER_SGPR: 8
; COMPUTE_PGM_RSRC2:TRAP_HANDLER: 0
; COMPUTE_PGM_RSRC2:TGID_X_EN: 1
; COMPUTE_PGM_RSRC2:TGID_Y_EN: 0
; COMPUTE_PGM_RSRC2:TGID_Z_EN: 0
; COMPUTE_PGM_RSRC2:TIDIG_COMP_CNT: 1
; COMPUTE_PGM_RSRC3_GFX90A:ACCUM_OFFSET: 63
; COMPUTE_PGM_RSRC3_GFX90A:TG_SPLIT: 0
	.section	.text._ZL18flash_attn_ext_f16ILi96ELi96ELi64ELi1ELb1ELb0EEvPKcS1_S1_S1_S1_PKiPfP15HIP_vector_typeIfLj2EEffffjfiS5_IjLj3EEiiiiiiiiiiiliiliiiiil,"axG",@progbits,_ZL18flash_attn_ext_f16ILi96ELi96ELi64ELi1ELb1ELb0EEvPKcS1_S1_S1_S1_PKiPfP15HIP_vector_typeIfLj2EEffffjfiS5_IjLj3EEiiiiiiiiiiiliiliiiiil,comdat
	.globl	_ZL18flash_attn_ext_f16ILi96ELi96ELi64ELi1ELb1ELb0EEvPKcS1_S1_S1_S1_PKiPfP15HIP_vector_typeIfLj2EEffffjfiS5_IjLj3EEiiiiiiiiiiiliiliiiiil ; -- Begin function _ZL18flash_attn_ext_f16ILi96ELi96ELi64ELi1ELb1ELb0EEvPKcS1_S1_S1_S1_PKiPfP15HIP_vector_typeIfLj2EEffffjfiS5_IjLj3EEiiiiiiiiiiiliiliiiiil
	.p2align	8
	.type	_ZL18flash_attn_ext_f16ILi96ELi96ELi64ELi1ELb1ELb0EEvPKcS1_S1_S1_S1_PKiPfP15HIP_vector_typeIfLj2EEffffjfiS5_IjLj3EEiiiiiiiiiiiliiliiiiil,@function
_ZL18flash_attn_ext_f16ILi96ELi96ELi64ELi1ELb1ELb0EEvPKcS1_S1_S1_S1_PKiPfP15HIP_vector_typeIfLj2EEffffjfiS5_IjLj3EEiiiiiiiiiiiliiliiiiil: ; @_ZL18flash_attn_ext_f16ILi96ELi96ELi64ELi1ELb1ELb0EEvPKcS1_S1_S1_S1_PKiPfP15HIP_vector_typeIfLj2EEffffjfiS5_IjLj3EEiiiiiiiiiiiliiliiiiil
; %bb.0:
	s_add_u32 flat_scratch_lo, s6, s9
	s_addc_u32 flat_scratch_hi, s7, 0
	s_add_u32 s0, s0, s9
	s_addc_u32 s1, s1, 0
	s_add_u32 s8, s4, 0xd0
	s_addc_u32 s9, s5, 0
	s_mov_b32 s32, 0
	s_getpc_b64 s[4:5]
	s_add_u32 s4, s4, _ZL14no_device_codePKciS0_iS0_@rel32@lo+4
	s_addc_u32 s5, s5, _ZL14no_device_codePKciS0_iS0_@rel32@hi+12
	s_swappc_b64 s[30:31], s[4:5]
	.section	.rodata,"a",@progbits
	.p2align	6, 0x0
	.amdhsa_kernel _ZL18flash_attn_ext_f16ILi96ELi96ELi64ELi1ELb1ELb0EEvPKcS1_S1_S1_S1_PKiPfP15HIP_vector_typeIfLj2EEffffjfiS5_IjLj3EEiiiiiiiiiiiliiliiiiil
		.amdhsa_group_segment_fixed_size 0
		.amdhsa_private_segment_fixed_size 16
		.amdhsa_kernarg_size 464
		.amdhsa_user_sgpr_count 8
		.amdhsa_user_sgpr_private_segment_buffer 1
		.amdhsa_user_sgpr_dispatch_ptr 0
		.amdhsa_user_sgpr_queue_ptr 0
		.amdhsa_user_sgpr_kernarg_segment_ptr 1
		.amdhsa_user_sgpr_dispatch_id 0
		.amdhsa_user_sgpr_flat_scratch_init 1
		.amdhsa_user_sgpr_kernarg_preload_length 0
		.amdhsa_user_sgpr_kernarg_preload_offset 0
		.amdhsa_user_sgpr_private_segment_size 0
		.amdhsa_uses_dynamic_stack 0
		.amdhsa_system_sgpr_private_segment_wavefront_offset 1
		.amdhsa_system_sgpr_workgroup_id_x 1
		.amdhsa_system_sgpr_workgroup_id_y 0
		.amdhsa_system_sgpr_workgroup_id_z 0
		.amdhsa_system_sgpr_workgroup_info 0
		.amdhsa_system_vgpr_workitem_id 0
		.amdhsa_next_free_vgpr 39
		.amdhsa_next_free_sgpr 34
		.amdhsa_accum_offset 40
		.amdhsa_reserve_vcc 1
		.amdhsa_reserve_flat_scratch 1
		.amdhsa_float_round_mode_32 0
		.amdhsa_float_round_mode_16_64 0
		.amdhsa_float_denorm_mode_32 3
		.amdhsa_float_denorm_mode_16_64 3
		.amdhsa_dx10_clamp 1
		.amdhsa_ieee_mode 1
		.amdhsa_fp16_overflow 0
		.amdhsa_tg_split 0
		.amdhsa_exception_fp_ieee_invalid_op 0
		.amdhsa_exception_fp_denorm_src 0
		.amdhsa_exception_fp_ieee_div_zero 0
		.amdhsa_exception_fp_ieee_overflow 0
		.amdhsa_exception_fp_ieee_underflow 0
		.amdhsa_exception_fp_ieee_inexact 0
		.amdhsa_exception_int_div_zero 0
	.end_amdhsa_kernel
	.section	.text._ZL18flash_attn_ext_f16ILi96ELi96ELi64ELi1ELb1ELb0EEvPKcS1_S1_S1_S1_PKiPfP15HIP_vector_typeIfLj2EEffffjfiS5_IjLj3EEiiiiiiiiiiiliiliiiiil,"axG",@progbits,_ZL18flash_attn_ext_f16ILi96ELi96ELi64ELi1ELb1ELb0EEvPKcS1_S1_S1_S1_PKiPfP15HIP_vector_typeIfLj2EEffffjfiS5_IjLj3EEiiiiiiiiiiiliiliiiiil,comdat
.Lfunc_end15:
	.size	_ZL18flash_attn_ext_f16ILi96ELi96ELi64ELi1ELb1ELb0EEvPKcS1_S1_S1_S1_PKiPfP15HIP_vector_typeIfLj2EEffffjfiS5_IjLj3EEiiiiiiiiiiiliiliiiiil, .Lfunc_end15-_ZL18flash_attn_ext_f16ILi96ELi96ELi64ELi1ELb1ELb0EEvPKcS1_S1_S1_S1_PKiPfP15HIP_vector_typeIfLj2EEffffjfiS5_IjLj3EEiiiiiiiiiiiliiliiiiil
                                        ; -- End function
	.section	.AMDGPU.csdata,"",@progbits
; Kernel info:
; codeLenInByte = 56
; NumSgprs: 40
; NumVgprs: 39
; NumAgprs: 0
; TotalNumVgprs: 39
; ScratchSize: 16
; MemoryBound: 0
; FloatMode: 240
; IeeeMode: 1
; LDSByteSize: 0 bytes/workgroup (compile time only)
; SGPRBlocks: 4
; VGPRBlocks: 4
; NumSGPRsForWavesPerEU: 40
; NumVGPRsForWavesPerEU: 39
; AccumOffset: 40
; Occupancy: 8
; WaveLimiterHint : 1
; COMPUTE_PGM_RSRC2:SCRATCH_EN: 1
; COMPUTE_PGM_RSRC2:USER_SGPR: 8
; COMPUTE_PGM_RSRC2:TRAP_HANDLER: 0
; COMPUTE_PGM_RSRC2:TGID_X_EN: 1
; COMPUTE_PGM_RSRC2:TGID_Y_EN: 0
; COMPUTE_PGM_RSRC2:TGID_Z_EN: 0
; COMPUTE_PGM_RSRC2:TIDIG_COMP_CNT: 0
; COMPUTE_PGM_RSRC3_GFX90A:ACCUM_OFFSET: 9
; COMPUTE_PGM_RSRC3_GFX90A:TG_SPLIT: 0
	.section	.text._ZL33flash_attn_stream_k_fixup_uniformILi96ELi64ELi1EEvPfPK15HIP_vector_typeIfLj2EEiiiiiiS1_IjLj3EES5_S5_,"axG",@progbits,_ZL33flash_attn_stream_k_fixup_uniformILi96ELi64ELi1EEvPfPK15HIP_vector_typeIfLj2EEiiiiiiS1_IjLj3EES5_S5_,comdat
	.globl	_ZL33flash_attn_stream_k_fixup_uniformILi96ELi64ELi1EEvPfPK15HIP_vector_typeIfLj2EEiiiiiiS1_IjLj3EES5_S5_ ; -- Begin function _ZL33flash_attn_stream_k_fixup_uniformILi96ELi64ELi1EEvPfPK15HIP_vector_typeIfLj2EEiiiiiiS1_IjLj3EES5_S5_
	.p2align	8
	.type	_ZL33flash_attn_stream_k_fixup_uniformILi96ELi64ELi1EEvPfPK15HIP_vector_typeIfLj2EEiiiiiiS1_IjLj3EES5_S5_,@function
_ZL33flash_attn_stream_k_fixup_uniformILi96ELi64ELi1EEvPfPK15HIP_vector_typeIfLj2EEiiiiiiS1_IjLj3EES5_S5_: ; @_ZL33flash_attn_stream_k_fixup_uniformILi96ELi64ELi1EEvPfPK15HIP_vector_typeIfLj2EEiiiiiiS1_IjLj3EES5_S5_
; %bb.0:
	s_load_dwordx8 s[12:19], s[4:5], 0x1c
	s_load_dwordx2 s[10:11], s[4:5], 0x10
	s_load_dwordx4 s[0:3], s[4:5], 0x3c
	s_waitcnt lgkmcnt(0)
	s_mul_hi_u32 s9, s15, s6
	s_add_i32 s9, s6, s9
	s_lshr_b32 s9, s9, s16
	s_mul_i32 s15, s9, s17
	s_sub_i32 s16, s6, s15
	s_mul_hi_u32 s15, s16, s18
	s_add_i32 s15, s16, s15
	s_lshr_b32 s15, s15, s19
	s_mul_i32 s0, s15, s0
	s_sub_i32 s0, s16, s0
	;; [unrolled: 5-line block ×3, first 2 shown]
	s_lshl_b32 s0, s16, 6
	s_add_i32 s0, s0, s7
	s_cmp_lt_i32 s0, s10
	s_cselect_b64 s[0:1], -1, 0
	s_add_i32 s17, s17, s8
	s_cmp_lt_i32 s17, s13
	s_cselect_b64 s[2:3], -1, 0
	s_and_b64 s[0:1], s[0:1], s[2:3]
	s_andn2_b64 vcc, exec, s[0:1]
	s_cbranch_vccnz .LBB16_6
; %bb.1:
	s_load_dwordx4 s[0:3], s[4:5], 0x0
	s_mul_i32 s4, s9, s10
	s_mul_i32 s15, s15, s13
	s_add_i32 s4, s4, s7
	s_mul_i32 s5, s11, s16
	s_mul_i32 s4, s4, s11
	s_add_i32 s9, s17, s15
	s_mulk_i32 s5, 0x1800
	s_add_i32 s4, s9, s4
	s_mulk_i32 s4, 0x60
	v_or_b32_e32 v1, s5, v0
	v_add_u32_e32 v2, s4, v1
	v_ashrrev_i32_e32 v3, 31, v2
	v_lshlrev_b64 v[2:3], 2, v[2:3]
	s_waitcnt lgkmcnt(0)
	v_mov_b32_e32 v1, s1
	v_add_co_u32_e32 v2, vcc, s0, v2
	v_addc_co_u32_e32 v3, vcc, v1, v3, vcc
	global_load_dword v8, v[2:3], off
	s_add_i32 s4, s7, s8
	s_mul_i32 s7, s6, s14
	s_add_i32 s5, s7, s14
	s_lshl_b32 s0, s5, 6
	s_add_i32 s0, s4, s0
	s_sub_i32 s0, s0, 64
	s_ashr_i32 s1, s0, 31
	s_lshl_b64 s[0:1], s[0:1], 3
	s_add_u32 s0, s2, s0
	s_addc_u32 s1, s3, s1
	s_load_dword s10, s[0:1], 0x4
	s_add_i32 s8, s5, -2
	s_cmp_lt_i32 s8, s7
	s_cbranch_scc1 .LBB16_4
; %bb.2:
	s_lshl_b32 s8, s12, 8
	s_ashr_i32 s9, s8, 31
	s_lshl_b64 s[8:9], s[8:9], 2
	s_add_u32 s8, s2, s8
	s_addc_u32 s11, s3, s9
	s_load_dword s0, s[0:1], 0x0
	s_add_i32 s6, s6, 1
	s_add_i32 s9, s5, -1
	s_mul_i32 s5, s14, s6
	s_mul_i32 s1, s4, 0x60
	s_lshl_b32 s6, s5, 6
	s_mulk_i32 s5, 0x1800
	s_add_i32 s4, s4, s6
	s_lshl_b32 s6, s12, 6
	s_add_i32 s1, s1, s5
	s_add_i32 s4, s4, s6
	v_add_u32_e32 v0, s1, v0
	s_addk_i32 s4, 0xff80
	v_add_u32_e32 v0, 0xffffd000, v0
	s_waitcnt lgkmcnt(0)
	v_mov_b32_e32 v7, s10
	v_mov_b32_e32 v6, s0
	;; [unrolled: 1-line block ×3, first 2 shown]
	s_mov_b32 s6, 0x3fb8aa3b
	s_mov_b32 s10, 0xc2ce8ed0
	;; [unrolled: 1-line block ×3, first 2 shown]
	v_mov_b32_e32 v5, 0x7f800000
	s_mov_b32 s12, 0xc1a00000
.LBB16_3:                               ; =>This Inner Loop Header: Depth=1
	v_ashrrev_i32_e32 v1, 31, v0
	v_lshlrev_b64 v[10:11], 2, v[0:1]
	v_add_co_u32_e32 v10, vcc, s8, v10
	v_addc_co_u32_e32 v11, vcc, v4, v11, vcc
	global_load_dword v1, v[10:11], off
	s_ashr_i32 s5, s4, 31
	s_lshl_b64 s[0:1], s[4:5], 3
	s_add_u32 s0, s2, s0
	s_addc_u32 s1, s3, s1
	s_load_dwordx2 s[14:15], s[0:1], 0x0
	s_waitcnt vmcnt(1)
	v_mov_b32_e32 v9, v8
	v_max_f32_e32 v8, v6, v6
	v_mov_b32_e32 v10, v7
	s_add_i32 s9, s9, -1
	s_waitcnt lgkmcnt(0)
	v_max_f32_e64 v7, s14, s14
	v_max_f32_e32 v7, v8, v7
	v_sub_f32_e32 v11, s14, v7
	v_sub_f32_e32 v8, v6, v7
	v_mul_f32_e32 v12, 0x3fb8aa3b, v11
	v_mov_b32_e32 v6, v7
	v_mul_f32_e32 v7, 0x3fb8aa3b, v8
	v_fma_f32 v15, v11, s6, -v12
	v_rndne_f32_e32 v16, v12
	v_fma_f32 v13, v8, s6, -v7
	v_rndne_f32_e32 v14, v7
	v_fmac_f32_e32 v15, 0x32a5705f, v11
	v_sub_f32_e32 v12, v12, v16
	v_fmac_f32_e32 v13, 0x32a5705f, v8
	v_sub_f32_e32 v7, v7, v14
	v_add_f32_e32 v12, v12, v15
	v_cvt_i32_f32_e32 v16, v16
	v_add_f32_e32 v7, v7, v13
	v_exp_f32_e32 v12, v12
	v_cvt_i32_f32_e32 v14, v14
	v_exp_f32_e32 v7, v7
	v_cmp_ngt_f32_e32 vcc, s10, v11
	v_ldexp_f32 v12, v12, v16
	v_cmp_ngt_f32_e64 s[0:1], s10, v8
	v_ldexp_f32 v7, v7, v14
	v_cndmask_b32_e32 v12, 0, v12, vcc
	v_cmp_nlt_f32_e32 vcc, s11, v11
	v_cndmask_b32_e64 v7, 0, v7, s[0:1]
	v_cmp_nlt_f32_e64 s[0:1], s11, v8
	v_cndmask_b32_e32 v12, v5, v12, vcc
	v_cmp_le_f32_e32 vcc, s12, v11
	v_cndmask_b32_e64 v7, v5, v7, s[0:1]
	v_cmp_le_f32_e64 s[0:1], s12, v8
	v_cndmask_b32_e32 v8, 0, v12, vcc
	s_sub_i32 s4, s4, 64
	v_cndmask_b32_e64 v11, 0, v7, s[0:1]
	v_mul_f32_e32 v7, s15, v8
	v_add_u32_e32 v0, 0xffffe800, v0
	s_cmp_le_i32 s9, s7
	v_fmac_f32_e32 v7, v10, v11
	s_waitcnt vmcnt(0)
	v_mul_f32_e32 v8, v1, v8
	v_fmac_f32_e32 v8, v9, v11
	s_cbranch_scc0 .LBB16_3
	s_branch .LBB16_5
.LBB16_4:
	s_waitcnt lgkmcnt(0)
	v_mov_b32_e32 v7, s10
.LBB16_5:
	s_waitcnt vmcnt(0)
	v_div_scale_f32 v0, s[0:1], v7, v7, v8
	v_rcp_f32_e32 v1, v0
	v_div_scale_f32 v4, vcc, v8, v7, v8
	v_fma_f32 v5, -v0, v1, 1.0
	v_fmac_f32_e32 v1, v5, v1
	v_mul_f32_e32 v5, v4, v1
	v_fma_f32 v6, -v0, v5, v4
	v_fmac_f32_e32 v5, v6, v1
	v_fma_f32 v0, -v0, v5, v4
	v_div_fmas_f32 v0, v0, v1, v5
	v_div_fixup_f32 v0, v0, v7, v8
	global_store_dword v[2:3], v0, off
.LBB16_6:
	s_endpgm
	.section	.rodata,"a",@progbits
	.p2align	6, 0x0
	.amdhsa_kernel _ZL33flash_attn_stream_k_fixup_uniformILi96ELi64ELi1EEvPfPK15HIP_vector_typeIfLj2EEiiiiiiS1_IjLj3EES5_S5_
		.amdhsa_group_segment_fixed_size 0
		.amdhsa_private_segment_fixed_size 0
		.amdhsa_kernarg_size 76
		.amdhsa_user_sgpr_count 6
		.amdhsa_user_sgpr_private_segment_buffer 1
		.amdhsa_user_sgpr_dispatch_ptr 0
		.amdhsa_user_sgpr_queue_ptr 0
		.amdhsa_user_sgpr_kernarg_segment_ptr 1
		.amdhsa_user_sgpr_dispatch_id 0
		.amdhsa_user_sgpr_flat_scratch_init 0
		.amdhsa_user_sgpr_kernarg_preload_length 0
		.amdhsa_user_sgpr_kernarg_preload_offset 0
		.amdhsa_user_sgpr_private_segment_size 0
		.amdhsa_uses_dynamic_stack 0
		.amdhsa_system_sgpr_private_segment_wavefront_offset 0
		.amdhsa_system_sgpr_workgroup_id_x 1
		.amdhsa_system_sgpr_workgroup_id_y 1
		.amdhsa_system_sgpr_workgroup_id_z 1
		.amdhsa_system_sgpr_workgroup_info 0
		.amdhsa_system_vgpr_workitem_id 0
		.amdhsa_next_free_vgpr 17
		.amdhsa_next_free_sgpr 20
		.amdhsa_accum_offset 20
		.amdhsa_reserve_vcc 1
		.amdhsa_reserve_flat_scratch 0
		.amdhsa_float_round_mode_32 0
		.amdhsa_float_round_mode_16_64 0
		.amdhsa_float_denorm_mode_32 3
		.amdhsa_float_denorm_mode_16_64 3
		.amdhsa_dx10_clamp 1
		.amdhsa_ieee_mode 1
		.amdhsa_fp16_overflow 0
		.amdhsa_tg_split 0
		.amdhsa_exception_fp_ieee_invalid_op 0
		.amdhsa_exception_fp_denorm_src 0
		.amdhsa_exception_fp_ieee_div_zero 0
		.amdhsa_exception_fp_ieee_overflow 0
		.amdhsa_exception_fp_ieee_underflow 0
		.amdhsa_exception_fp_ieee_inexact 0
		.amdhsa_exception_int_div_zero 0
	.end_amdhsa_kernel
	.section	.text._ZL33flash_attn_stream_k_fixup_uniformILi96ELi64ELi1EEvPfPK15HIP_vector_typeIfLj2EEiiiiiiS1_IjLj3EES5_S5_,"axG",@progbits,_ZL33flash_attn_stream_k_fixup_uniformILi96ELi64ELi1EEvPfPK15HIP_vector_typeIfLj2EEiiiiiiS1_IjLj3EES5_S5_,comdat
.Lfunc_end16:
	.size	_ZL33flash_attn_stream_k_fixup_uniformILi96ELi64ELi1EEvPfPK15HIP_vector_typeIfLj2EEiiiiiiS1_IjLj3EES5_S5_, .Lfunc_end16-_ZL33flash_attn_stream_k_fixup_uniformILi96ELi64ELi1EEvPfPK15HIP_vector_typeIfLj2EEiiiiiiS1_IjLj3EES5_S5_
                                        ; -- End function
	.section	.AMDGPU.csdata,"",@progbits
; Kernel info:
; codeLenInByte = 836
; NumSgprs: 24
; NumVgprs: 17
; NumAgprs: 0
; TotalNumVgprs: 17
; ScratchSize: 0
; MemoryBound: 0
; FloatMode: 240
; IeeeMode: 1
; LDSByteSize: 0 bytes/workgroup (compile time only)
; SGPRBlocks: 2
; VGPRBlocks: 2
; NumSGPRsForWavesPerEU: 24
; NumVGPRsForWavesPerEU: 17
; AccumOffset: 20
; Occupancy: 8
; WaveLimiterHint : 0
; COMPUTE_PGM_RSRC2:SCRATCH_EN: 0
; COMPUTE_PGM_RSRC2:USER_SGPR: 6
; COMPUTE_PGM_RSRC2:TRAP_HANDLER: 0
; COMPUTE_PGM_RSRC2:TGID_X_EN: 1
; COMPUTE_PGM_RSRC2:TGID_Y_EN: 1
; COMPUTE_PGM_RSRC2:TGID_Z_EN: 1
; COMPUTE_PGM_RSRC2:TIDIG_COMP_CNT: 0
; COMPUTE_PGM_RSRC3_GFX90A:ACCUM_OFFSET: 4
; COMPUTE_PGM_RSRC3_GFX90A:TG_SPLIT: 0
	.section	.text._ZL33flash_attn_stream_k_fixup_generalILi96ELi64ELi1EEvPfPK15HIP_vector_typeIfLj2EEiiiiS1_IjLj3EES5_S5_S5_,"axG",@progbits,_ZL33flash_attn_stream_k_fixup_generalILi96ELi64ELi1EEvPfPK15HIP_vector_typeIfLj2EEiiiiS1_IjLj3EES5_S5_S5_,comdat
	.globl	_ZL33flash_attn_stream_k_fixup_generalILi96ELi64ELi1EEvPfPK15HIP_vector_typeIfLj2EEiiiiS1_IjLj3EES5_S5_S5_ ; -- Begin function _ZL33flash_attn_stream_k_fixup_generalILi96ELi64ELi1EEvPfPK15HIP_vector_typeIfLj2EEiiiiS1_IjLj3EES5_S5_S5_
	.p2align	8
	.type	_ZL33flash_attn_stream_k_fixup_generalILi96ELi64ELi1EEvPfPK15HIP_vector_typeIfLj2EEiiiiS1_IjLj3EES5_S5_S5_,@function
_ZL33flash_attn_stream_k_fixup_generalILi96ELi64ELi1EEvPfPK15HIP_vector_typeIfLj2EEiiiiS1_IjLj3EES5_S5_S5_: ; @_ZL33flash_attn_stream_k_fixup_generalILi96ELi64ELi1EEvPfPK15HIP_vector_typeIfLj2EEiiiiS1_IjLj3EES5_S5_S5_
; %bb.0:
	s_load_dwordx4 s[12:15], s[4:5], 0x10
	s_load_dword s9, s[4:5], 0x50
	s_mov_b32 s2, 0
	s_waitcnt lgkmcnt(0)
	s_mul_hi_i32 s3, s15, s6
	s_cmp_lg_u64 s[2:3], 0
	s_mul_i32 s2, s15, s6
	s_cbranch_scc0 .LBB17_21
; %bb.1:
	v_cvt_f32_u32_e32 v1, s9
	v_cvt_f32_ubyte0_e32 v2, 0
	s_sub_u32 s10, 0, s9
	s_subb_u32 s11, 0, 0
	v_madmk_f32 v1, v2, 0x4f800000, v1
	v_rcp_f32_e32 v1, v1
	v_mul_f32_e32 v1, 0x5f7ffffc, v1
	v_mul_f32_e32 v2, 0x2f800000, v1
	v_trunc_f32_e32 v2, v2
	v_madmk_f32 v1, v2, 0xcf800000, v1
	v_cvt_u32_f32_e32 v2, v2
	v_cvt_u32_f32_e32 v1, v1
	v_readfirstlane_b32 s16, v2
	v_readfirstlane_b32 s17, v1
	s_mul_i32 s18, s10, s16
	s_mul_hi_u32 s20, s10, s17
	s_mul_i32 s19, s11, s17
	s_add_i32 s18, s20, s18
	s_add_i32 s18, s18, s19
	s_mul_i32 s21, s10, s17
	s_mul_hi_u32 s19, s17, s18
	s_mul_i32 s20, s17, s18
	s_mul_hi_u32 s17, s17, s21
	s_add_u32 s17, s17, s20
	s_addc_u32 s19, 0, s19
	s_mul_hi_u32 s22, s16, s21
	s_mul_i32 s21, s16, s21
	s_add_u32 s17, s17, s21
	s_mul_hi_u32 s20, s16, s18
	s_addc_u32 s17, s19, s22
	s_addc_u32 s19, s20, 0
	s_mul_i32 s18, s16, s18
	s_add_u32 s17, s17, s18
	s_addc_u32 s18, 0, s19
	v_add_co_u32_e32 v1, vcc, s17, v1
	s_cmp_lg_u64 vcc, 0
	s_addc_u32 s16, s16, s18
	v_readfirstlane_b32 s18, v1
	s_mul_i32 s17, s10, s16
	s_mul_hi_u32 s19, s10, s18
	s_add_i32 s17, s19, s17
	s_mul_i32 s11, s11, s18
	s_add_i32 s17, s17, s11
	s_mul_i32 s10, s10, s18
	s_mul_hi_u32 s19, s16, s10
	s_mul_i32 s20, s16, s10
	s_mul_i32 s22, s18, s17
	s_mul_hi_u32 s10, s18, s10
	s_mul_hi_u32 s21, s18, s17
	s_add_u32 s10, s10, s22
	s_addc_u32 s18, 0, s21
	s_add_u32 s10, s10, s20
	s_mul_hi_u32 s11, s16, s17
	s_addc_u32 s10, s18, s19
	s_addc_u32 s11, s11, 0
	s_mul_i32 s17, s16, s17
	s_add_u32 s10, s10, s17
	s_addc_u32 s11, 0, s11
	v_add_co_u32_e32 v1, vcc, s10, v1
	s_cmp_lg_u64 vcc, 0
	s_addc_u32 s18, s16, s11
	s_ashr_i32 s10, s3, 31
	s_add_u32 s16, s2, s10
	s_mov_b32 s11, s10
	s_addc_u32 s17, s3, s10
	s_xor_b64 s[16:17], s[16:17], s[10:11]
	v_readfirstlane_b32 s20, v1
	s_mul_i32 s19, s16, s18
	s_mul_hi_u32 s21, s16, s20
	s_mul_hi_u32 s3, s16, s18
	s_add_u32 s19, s21, s19
	s_addc_u32 s3, 0, s3
	s_mul_hi_u32 s22, s17, s20
	s_mul_i32 s20, s17, s20
	s_add_u32 s19, s19, s20
	s_mul_hi_u32 s21, s17, s18
	s_addc_u32 s3, s3, s22
	s_addc_u32 s19, s21, 0
	s_mul_i32 s18, s17, s18
	s_add_u32 s3, s3, s18
	s_addc_u32 s18, 0, s19
	s_add_u32 s19, s3, 1
	s_addc_u32 s20, s18, 0
	s_add_u32 s21, s3, 2
	s_mul_i32 s23, s9, s18
	s_mul_hi_u32 s24, s9, s3
	s_addc_u32 s22, s18, 0
	s_add_i32 s24, s24, s23
	s_mul_i32 s23, s9, s3
	v_mov_b32_e32 v1, s23
	v_sub_co_u32_e32 v1, vcc, s16, v1
	s_cmp_lg_u64 vcc, 0
	s_subb_u32 s16, s17, s24
	v_subrev_co_u32_e32 v2, vcc, s9, v1
	s_cmp_lg_u64 vcc, 0
	s_subb_u32 s17, s16, 0
	v_readfirstlane_b32 s23, v2
	s_cmp_ge_u32 s23, s9
	s_cselect_b32 s23, -1, 0
	s_cmp_eq_u32 s17, 0
	s_cselect_b32 s17, s23, -1
	s_cmp_lg_u32 s17, 0
	s_cselect_b32 s17, s22, s20
	v_readfirstlane_b32 s20, v1
	s_cselect_b32 s19, s21, s19
	s_cmp_ge_u32 s20, s9
	s_cselect_b32 s20, -1, 0
	s_cmp_eq_u32 s16, 0
	s_cselect_b32 s16, s20, -1
	s_cmp_lg_u32 s16, 0
	s_cselect_b32 s17, s17, s18
	s_cselect_b32 s16, s19, s3
	s_xor_b64 s[16:17], s[16:17], s[10:11]
	s_sub_u32 s20, s16, s10
	s_load_dwordx4 s[16:19], s[4:5], 0x44
	s_cbranch_execnz .LBB17_3
.LBB17_2:
	v_cvt_f32_u32_e32 v1, s9
	s_sub_i32 s0, 0, s9
	v_rcp_iflag_f32_e32 v1, v1
	v_mul_f32_e32 v1, 0x4f7ffffe, v1
	v_cvt_u32_f32_e32 v1, v1
	v_readfirstlane_b32 s1, v1
	s_mul_i32 s0, s0, s1
	s_mul_hi_u32 s0, s1, s0
	s_add_i32 s1, s1, s0
	s_mul_hi_u32 s0, s2, s1
	s_mul_i32 s3, s0, s9
	s_sub_i32 s2, s2, s3
	s_add_i32 s1, s0, 1
	s_sub_i32 s3, s2, s9
	s_cmp_ge_u32 s2, s9
	s_cselect_b32 s0, s1, s0
	s_cselect_b32 s2, s3, s2
	s_add_i32 s1, s0, 1
	s_cmp_ge_u32 s2, s9
	s_cselect_b32 s20, s1, s0
.LBB17_3:
	s_add_i32 s0, s6, 1
	s_mul_hi_i32 s3, s15, s0
	s_mov_b32 s2, 0
	s_cmp_lg_u64 s[2:3], 0
	s_mul_i32 s2, s15, s0
	s_cbranch_scc0 .LBB17_22
; %bb.4:
	v_cvt_f32_u32_e32 v1, s9
	v_cvt_f32_ubyte0_e32 v2, 0
	s_sub_u32 s10, 0, s9
	s_subb_u32 s11, 0, 0
	v_madmk_f32 v1, v2, 0x4f800000, v1
	v_rcp_f32_e32 v1, v1
	v_mul_f32_e32 v1, 0x5f7ffffc, v1
	v_mul_f32_e32 v2, 0x2f800000, v1
	v_trunc_f32_e32 v2, v2
	v_madmk_f32 v1, v2, 0xcf800000, v1
	v_cvt_u32_f32_e32 v2, v2
	v_cvt_u32_f32_e32 v1, v1
	s_waitcnt lgkmcnt(0)
	v_readfirstlane_b32 s19, v2
	v_readfirstlane_b32 s21, v1
	s_mul_i32 s22, s10, s19
	s_mul_hi_u32 s24, s10, s21
	s_mul_i32 s23, s11, s21
	s_add_i32 s22, s24, s22
	s_add_i32 s22, s22, s23
	s_mul_i32 s25, s10, s21
	s_mul_hi_u32 s23, s21, s22
	s_mul_i32 s24, s21, s22
	s_mul_hi_u32 s21, s21, s25
	s_add_u32 s21, s21, s24
	s_addc_u32 s23, 0, s23
	s_mul_hi_u32 s26, s19, s25
	s_mul_i32 s25, s19, s25
	s_add_u32 s21, s21, s25
	s_mul_hi_u32 s24, s19, s22
	s_addc_u32 s21, s23, s26
	s_addc_u32 s23, s24, 0
	s_mul_i32 s22, s19, s22
	s_add_u32 s21, s21, s22
	s_addc_u32 s22, 0, s23
	v_add_co_u32_e32 v1, vcc, s21, v1
	s_cmp_lg_u64 vcc, 0
	s_addc_u32 s19, s19, s22
	v_readfirstlane_b32 s22, v1
	s_mul_i32 s21, s10, s19
	s_mul_hi_u32 s23, s10, s22
	s_add_i32 s21, s23, s21
	s_mul_i32 s11, s11, s22
	s_add_i32 s21, s21, s11
	s_mul_i32 s10, s10, s22
	s_mul_hi_u32 s23, s19, s10
	s_mul_i32 s24, s19, s10
	s_mul_i32 s26, s22, s21
	s_mul_hi_u32 s10, s22, s10
	s_mul_hi_u32 s25, s22, s21
	s_add_u32 s10, s10, s26
	s_addc_u32 s22, 0, s25
	s_add_u32 s10, s10, s24
	s_mul_hi_u32 s11, s19, s21
	s_addc_u32 s10, s22, s23
	s_addc_u32 s11, s11, 0
	s_mul_i32 s21, s19, s21
	s_add_u32 s10, s10, s21
	s_addc_u32 s11, 0, s11
	v_add_co_u32_e32 v1, vcc, s10, v1
	s_cmp_lg_u64 vcc, 0
	s_addc_u32 s19, s19, s11
	s_ashr_i32 s10, s3, 31
	s_add_u32 s22, s2, s10
	s_mov_b32 s11, s10
	s_addc_u32 s23, s3, s10
	s_xor_b64 s[22:23], s[22:23], s[10:11]
	v_readfirstlane_b32 s21, v1
	s_mul_i32 s11, s22, s19
	s_mul_hi_u32 s24, s22, s21
	s_mul_hi_u32 s3, s22, s19
	s_add_u32 s11, s24, s11
	s_addc_u32 s3, 0, s3
	s_mul_hi_u32 s25, s23, s21
	s_mul_i32 s21, s23, s21
	s_add_u32 s11, s11, s21
	s_mul_hi_u32 s24, s23, s19
	s_addc_u32 s3, s3, s25
	s_addc_u32 s11, s24, 0
	s_mul_i32 s19, s23, s19
	s_add_u32 s3, s3, s19
	s_addc_u32 s11, 0, s11
	s_mul_i32 s11, s9, s11
	s_mul_hi_u32 s24, s9, s3
	s_add_i32 s24, s24, s11
	s_mul_i32 s11, s9, s3
	v_mov_b32_e32 v1, s11
	s_add_u32 s19, s3, 1
	s_add_u32 s21, s3, 2
	v_sub_co_u32_e32 v1, vcc, s22, v1
	s_cmp_lg_u64 vcc, 0
	s_subb_u32 s11, s23, s24
	v_subrev_co_u32_e32 v2, vcc, s9, v1
	s_cmp_lg_u64 vcc, 0
	s_subb_u32 s22, s11, 0
	v_cmp_le_u32_e32 vcc, s9, v2
	s_cmp_eq_u32 s22, 0
	v_cndmask_b32_e64 v2, 0, -1, vcc
	s_cselect_b64 vcc, -1, 0
	v_cndmask_b32_e32 v2, -1, v2, vcc
	v_mov_b32_e32 v3, s19
	v_mov_b32_e32 v4, s21
	v_cmp_ne_u32_e32 vcc, 0, v2
	v_cndmask_b32_e32 v2, v3, v4, vcc
	v_cmp_le_u32_e32 vcc, s9, v1
	s_cmp_eq_u32 s11, 0
	v_cndmask_b32_e64 v1, 0, -1, vcc
	s_cselect_b64 vcc, -1, 0
	v_cndmask_b32_e32 v1, -1, v1, vcc
	v_mov_b32_e32 v3, s3
	v_cmp_ne_u32_e32 vcc, 0, v1
	v_cndmask_b32_e32 v1, v3, v2, vcc
	v_xor_b32_e32 v1, s10, v1
	v_subrev_co_u32_e32 v2, vcc, s10, v1
	s_cbranch_execnz .LBB17_6
.LBB17_5:
	v_cvt_f32_u32_e32 v1, s9
	s_sub_i32 s0, 0, s9
	s_mov_b32 s1, 0
	v_rcp_iflag_f32_e32 v1, v1
	v_mul_f32_e32 v1, 0x4f7ffffe, v1
	v_cvt_u32_f32_e32 v1, v1
	v_readfirstlane_b32 s3, v1
	s_mul_i32 s0, s0, s3
	s_mul_hi_u32 s0, s3, s0
	s_add_i32 s3, s3, s0
	s_mul_hi_u32 s0, s2, s3
	s_mul_i32 s10, s0, s9
	s_sub_i32 s2, s2, s10
	s_add_i32 s3, s0, 1
	s_sub_i32 s10, s2, s9
	s_cmp_ge_u32 s2, s9
	s_cselect_b32 s0, s3, s0
	s_cselect_b32 s2, s10, s2
	s_add_i32 s3, s0, 1
	s_cmp_ge_u32 s2, s9
	s_cselect_b32 s0, s3, s0
	v_pk_mov_b32 v[2:3], s[0:1], s[0:1] op_sel:[0,1]
.LBB17_6:
	s_waitcnt lgkmcnt(0)
	s_mul_hi_u32 s0, s20, s16
	s_add_i32 s0, s0, s20
	v_mul_hi_u32 v1, v2, s16
	s_lshr_b32 s19, s0, s17
	v_add_u32_e32 v1, v1, v2
	s_mul_i32 s0, s19, s18
	v_lshrrev_b32_e32 v1, s17, v1
	s_cmp_eq_u32 s0, s20
	v_cmp_eq_u32_e64 s[0:1], s19, v1
	v_mul_lo_u32 v1, v1, s18
	v_cmp_eq_u32_e32 vcc, s20, v2
	s_cselect_b64 s[10:11], -1, 0
	v_cmp_ne_u32_e64 s[2:3], v1, v2
	s_and_b64 s[0:1], s[0:1], s[2:3]
	s_or_b64 s[2:3], vcc, s[10:11]
	s_or_b64 s[0:1], s[2:3], s[0:1]
	s_and_b64 vcc, exec, s[0:1]
	s_cbranch_vccnz .LBB17_24
; %bb.7:
	s_load_dwordx8 s[24:31], s[4:5], 0x20
	s_load_dword s0, s[4:5], 0x40
	s_mov_b32 s10, 0
	s_waitcnt lgkmcnt(0)
	s_mul_hi_u32 s1, s20, s24
	s_add_i32 s1, s1, s20
	s_lshr_b32 s11, s1, s25
	s_mul_i32 s1, s11, s26
	s_sub_i32 s1, s20, s1
	s_mul_hi_u32 s2, s1, s27
	s_add_i32 s2, s1, s2
	s_lshr_b32 s23, s2, s28
	s_mul_i32 s2, s23, s29
	s_sub_i32 s1, s1, s2
	;; [unrolled: 5-line block ×3, first 2 shown]
	s_mul_hi_u32 s1, s0, s16
	s_add_i32 s0, s0, s1
	s_lshr_b32 s24, s0, s17
	s_lshl_b32 s0, s24, 6
	s_add_i32 s0, s0, s7
	s_cmp_lt_i32 s0, s12
	s_cselect_b64 s[0:1], -1, 0
	s_add_i32 s25, s25, s8
	s_cmp_lt_i32 s25, s14
	s_cselect_b64 s[2:3], -1, 0
	s_and_b64 s[0:1], s[0:1], s[2:3]
	s_andn2_b64 vcc, exec, s[0:1]
	s_cbranch_vccnz .LBB17_24
; %bb.8:
	s_load_dwordx4 s[0:3], s[4:5], 0x0
	s_lshl_b32 s4, s9, 8
	s_mov_b32 s5, s10
	s_add_i32 s8, s7, s8
	s_lshl_b64 s[4:5], s[4:5], 2
	s_waitcnt lgkmcnt(0)
	s_add_u32 s21, s2, s4
	s_mul_i32 s4, s11, s12
	s_addc_u32 s22, s3, s5
	s_mul_i32 s23, s23, s14
	s_add_i32 s4, s4, s7
	s_mul_i32 s4, s4, s13
	s_add_i32 s7, s25, s23
	;; [unrolled: 2-line block ×3, first 2 shown]
	s_mulk_i32 s5, 0x1800
	s_mulk_i32 s4, 0x60
	s_add_i32 s5, s5, s4
	v_add_u32_e32 v2, s5, v0
	v_ashrrev_i32_e32 v3, 31, v2
	v_lshlrev_b64 v[2:3], 2, v[2:3]
	v_mov_b32_e32 v1, s1
	v_add_co_u32_e32 v2, vcc, s0, v2
	v_addc_co_u32_e32 v3, vcc, v1, v3, vcc
	global_load_dword v5, v[2:3], off
	s_mul_i32 s4, s8, 0x60
	v_add_u32_e32 v4, s4, v0
	v_cvt_f32_u32_e32 v0, s9
	v_cvt_f32_ubyte0_e32 v1, 0
	s_lshl_b32 s0, s6, 6
	s_add_i32 s0, s0, s8
	v_mac_f32_e32 v0, 0x4f800000, v1
	v_rcp_f32_e32 v0, v0
	v_cvt_f32_u32_e32 v1, s9
	s_ashr_i32 s1, s0, 31
	s_lshl_b64 s[0:1], s[0:1], 3
	v_mul_f32_e32 v0, 0x5f7ffffc, v0
	v_rcp_iflag_f32_e32 v1, v1
	s_add_u32 s0, s2, s0
	v_mul_f32_e32 v9, 0x2f800000, v0
	s_addc_u32 s1, s3, s1
	v_trunc_f32_e32 v10, v9
	s_load_dwordx2 s[0:1], s[0:1], 0x0
	v_mac_f32_e32 v0, 0xcf800000, v10
	v_cvt_u32_f32_e32 v9, v0
	v_mul_f32_e32 v0, 0x4f7ffffe, v1
	v_cvt_u32_f32_e32 v10, v10
	v_cvt_u32_f32_e32 v11, v0
	s_add_i32 s12, s6, -1
	s_waitcnt lgkmcnt(0)
	v_mov_b32_e32 v6, s1
	v_mov_b32_e32 v7, s0
	;; [unrolled: 1-line block ×3, first 2 shown]
	s_mov_b32 s6, 0x3fb8aa3b
	s_mov_b32 s7, 0xc2ce8ed0
	;; [unrolled: 1-line block ×4, first 2 shown]
	v_mov_b32_e32 v12, 0x7f800000
	s_mul_hi_i32 s11, s12, s15
	s_cmp_lg_u64 s[10:11], 0
	s_mul_i32 s4, s12, s15
	s_cbranch_scc0 .LBB17_15
.LBB17_9:
	s_sub_u32 s0, 0, s9
	v_readfirstlane_b32 s5, v9
	v_readfirstlane_b32 s24, v10
	s_subb_u32 s1, 0, 0
	s_mul_hi_u32 s23, s0, s5
	s_mul_i32 s25, s0, s24
	s_mul_i32 s20, s1, s5
	s_add_i32 s23, s23, s25
	s_add_i32 s23, s23, s20
	s_mul_i32 s26, s0, s5
	s_mul_hi_u32 s20, s5, s23
	s_mul_i32 s25, s5, s23
	s_mul_hi_u32 s5, s5, s26
	s_add_u32 s5, s5, s25
	s_addc_u32 s20, 0, s20
	s_mul_hi_u32 s27, s24, s26
	s_mul_i32 s26, s24, s26
	s_add_u32 s5, s5, s26
	s_mul_hi_u32 s25, s24, s23
	s_addc_u32 s5, s20, s27
	s_addc_u32 s20, s25, 0
	s_mul_i32 s23, s24, s23
	s_add_u32 s5, s5, s23
	s_addc_u32 s20, 0, s20
	v_add_co_u32_e32 v0, vcc, s5, v9
	s_cmp_lg_u64 vcc, 0
	s_addc_u32 s5, s24, s20
	v_readfirstlane_b32 s23, v0
	s_mul_i32 s20, s0, s5
	s_mul_hi_u32 s24, s0, s23
	s_add_i32 s20, s24, s20
	s_mul_i32 s1, s1, s23
	s_add_i32 s20, s20, s1
	s_mul_i32 s0, s0, s23
	s_mul_hi_u32 s24, s5, s0
	s_mul_i32 s25, s5, s0
	s_mul_i32 s27, s23, s20
	s_mul_hi_u32 s0, s23, s0
	s_mul_hi_u32 s26, s23, s20
	s_add_u32 s0, s0, s27
	s_addc_u32 s23, 0, s26
	s_add_u32 s0, s0, s25
	s_mul_hi_u32 s1, s5, s20
	s_addc_u32 s0, s23, s24
	s_addc_u32 s1, s1, 0
	s_mul_i32 s20, s5, s20
	s_add_u32 s0, s0, s20
	s_addc_u32 s1, 0, s1
	v_add_co_u32_e32 v0, vcc, s0, v0
	s_cmp_lg_u64 vcc, 0
	s_addc_u32 s5, s5, s1
	s_ashr_i32 s0, s11, 31
	s_add_u32 s24, s4, s0
	s_mov_b32 s1, s0
	s_addc_u32 s25, s11, s0
	s_xor_b64 s[24:25], s[24:25], s[0:1]
	v_readfirstlane_b32 s20, v0
	s_mul_i32 s11, s24, s5
	s_mul_hi_u32 s23, s24, s20
	s_mul_hi_u32 s1, s24, s5
	s_add_u32 s11, s23, s11
	s_addc_u32 s1, 0, s1
	s_mul_hi_u32 s26, s25, s20
	s_mul_i32 s20, s25, s20
	s_add_u32 s11, s11, s20
	s_mul_hi_u32 s23, s25, s5
	s_addc_u32 s1, s1, s26
	s_addc_u32 s11, s23, 0
	s_mul_i32 s5, s25, s5
	s_add_u32 s1, s1, s5
	s_addc_u32 s5, 0, s11
	s_mul_i32 s5, s9, s5
	s_mul_hi_u32 s23, s9, s1
	s_add_i32 s23, s23, s5
	s_mul_i32 s5, s9, s1
	v_mov_b32_e32 v0, s5
	s_add_u32 s11, s1, 1
	s_add_u32 s20, s1, 2
	v_sub_co_u32_e32 v0, vcc, s24, v0
	s_cmp_lg_u64 vcc, 0
	s_subb_u32 s5, s25, s23
	v_subrev_co_u32_e32 v1, vcc, s9, v0
	s_cmp_lg_u64 vcc, 0
	s_subb_u32 s23, s5, 0
	v_cmp_le_u32_e32 vcc, s9, v1
	s_cmp_eq_u32 s23, 0
	v_cndmask_b32_e64 v1, 0, -1, vcc
	s_cselect_b64 vcc, -1, 0
	v_cndmask_b32_e32 v1, -1, v1, vcc
	v_mov_b32_e32 v13, s11
	v_mov_b32_e32 v14, s20
	v_cmp_ne_u32_e32 vcc, 0, v1
	v_cndmask_b32_e32 v1, v13, v14, vcc
	v_cmp_le_u32_e32 vcc, s9, v0
	s_cmp_eq_u32 s5, 0
	v_cndmask_b32_e64 v0, 0, -1, vcc
	s_cselect_b64 vcc, -1, 0
	v_cndmask_b32_e32 v0, -1, v0, vcc
	v_mov_b32_e32 v13, s1
	v_cmp_ne_u32_e32 vcc, 0, v0
	v_cndmask_b32_e32 v0, v13, v1, vcc
	v_xor_b32_e32 v0, s0, v0
	v_subrev_co_u32_e32 v0, vcc, s0, v0
	s_cbranch_execnz .LBB17_11
.LBB17_10:
	s_sub_i32 s0, 0, s9
	v_mul_lo_u32 v0, s0, v11
	v_mul_hi_u32 v0, v11, v0
	v_add_u32_e32 v0, v11, v0
	v_mul_hi_u32 v0, s4, v0
	v_mul_lo_u32 v13, v0, s9
	v_sub_u32_e32 v13, s4, v13
	v_add_u32_e32 v1, 1, v0
	v_subrev_u32_e32 v14, s9, v13
	v_cmp_le_u32_e32 vcc, s9, v13
	v_cndmask_b32_e32 v13, v13, v14, vcc
	v_cndmask_b32_e32 v0, v0, v1, vcc
	v_add_u32_e32 v1, 1, v0
	v_cmp_le_u32_e32 vcc, s9, v13
	v_cndmask_b32_e32 v0, v0, v1, vcc
.LBB17_11:
	v_cmp_ne_u32_e32 vcc, v8, v0
	s_cbranch_vccz .LBB17_14
; %bb.12:
	s_add_i32 s0, s12, s9
	s_lshl_b32 s0, s0, 6
	v_mul_hi_u32 v1, v0, s16
	s_add_i32 s0, s0, s8
	s_mov_b32 s1, s10
	v_add_u32_e32 v1, v1, v0
	s_lshl_b64 s[0:1], s[0:1], 3
	v_lshrrev_b32_e32 v1, s17, v1
	s_add_u32 s4, s2, s0
	v_mul_lo_u32 v13, v1, s18
	s_addc_u32 s5, s3, s1
	v_cmp_eq_u32_e32 vcc, v13, v0
	v_cmp_gt_u32_e64 s[0:1], s19, v1
	s_or_b64 s[0:1], s[0:1], vcc
	s_and_b64 vcc, exec, s[0:1]
	s_cbranch_vccnz .LBB17_16
; %bb.13:
	s_add_i32 s11, s12, -1
	s_mov_b64 s[0:1], 0
	s_branch .LBB17_17
.LBB17_14:
                                        ; implicit-def: $sgpr0_sgpr1
                                        ; implicit-def: $vgpr14
                                        ; implicit-def: $vgpr1
                                        ; implicit-def: $vgpr13
                                        ; implicit-def: $sgpr11
                                        ; implicit-def: $vgpr0
	s_branch .LBB17_18
.LBB17_15:
                                        ; implicit-def: $vgpr0_vgpr1
	s_branch .LBB17_10
.LBB17_16:
	s_mov_b64 s[0:1], -1
	s_mov_b32 s11, s12
	v_mov_b32_e32 v0, v8
.LBB17_17:
	s_mul_i32 s20, s12, 0x1800
	v_add_u32_e32 v14, s20, v4
	v_ashrrev_i32_e32 v15, 31, v14
	v_lshlrev_b64 v[14:15], 2, v[14:15]
	v_mov_b32_e32 v1, s22
	v_add_co_u32_e32 v14, vcc, s21, v14
	v_addc_co_u32_e32 v15, vcc, v1, v15, vcc
	global_load_dword v14, v[14:15], off
	s_load_dwordx2 s[4:5], s[4:5], 0x0
	v_max_f32_e32 v1, v7, v7
	s_waitcnt lgkmcnt(0)
	v_max_f32_e64 v13, s4, s4
	v_max_f32_e32 v1, v1, v13
	v_sub_f32_e32 v13, v7, v1
	v_sub_f32_e32 v15, s4, v1
	v_mul_f32_e32 v16, 0x3fb8aa3b, v13
	v_mul_f32_e32 v17, 0x3fb8aa3b, v15
	v_fma_f32 v18, v13, s6, -v16
	v_rndne_f32_e32 v19, v16
	v_fma_f32 v20, v15, s6, -v17
	v_rndne_f32_e32 v21, v17
	v_fmac_f32_e32 v18, 0x32a5705f, v13
	v_sub_f32_e32 v16, v16, v19
	v_fmac_f32_e32 v20, 0x32a5705f, v15
	v_sub_f32_e32 v17, v17, v21
	v_add_f32_e32 v16, v16, v18
	v_cvt_i32_f32_e32 v19, v19
	v_add_f32_e32 v17, v17, v20
	v_exp_f32_e32 v16, v16
	v_cvt_i32_f32_e32 v21, v21
	v_exp_f32_e32 v17, v17
	v_cmp_ngt_f32_e32 vcc, s7, v13
	v_ldexp_f32 v16, v16, v19
	v_cndmask_b32_e32 v16, 0, v16, vcc
	v_ldexp_f32 v17, v17, v21
	v_cmp_ngt_f32_e32 vcc, s7, v15
	v_cndmask_b32_e32 v17, 0, v17, vcc
	v_cmp_nlt_f32_e32 vcc, s13, v13
	v_cndmask_b32_e32 v16, v12, v16, vcc
	v_cmp_nlt_f32_e32 vcc, s13, v15
	v_cndmask_b32_e32 v17, v12, v17, vcc
	v_cmp_le_f32_e32 vcc, s14, v13
	v_cndmask_b32_e32 v16, 0, v16, vcc
	v_cmp_le_f32_e32 vcc, s14, v15
	v_cndmask_b32_e32 v15, 0, v17, vcc
	v_mul_f32_e32 v13, s5, v15
	v_fmac_f32_e32 v13, v6, v16
	s_waitcnt vmcnt(0)
	v_mul_f32_e32 v14, v14, v15
	v_fmac_f32_e32 v14, v5, v16
	s_cbranch_execnz .LBB17_19
.LBB17_18:
	s_add_i32 s11, s12, -1
	s_mov_b64 s[0:1], 0
	v_mov_b32_e32 v0, v8
	v_mov_b32_e32 v13, v6
	;; [unrolled: 1-line block ×3, first 2 shown]
	s_waitcnt vmcnt(0)
	v_mov_b32_e32 v14, v5
.LBB17_19:
	s_andn2_b64 vcc, exec, s[0:1]
	s_cbranch_vccz .LBB17_23
; %bb.20:
	v_mov_b32_e32 v8, v0
	s_mov_b32 s12, s11
	v_mov_b32_e32 v6, v13
	v_mov_b32_e32 v7, v1
	s_waitcnt vmcnt(0)
	v_mov_b32_e32 v5, v14
	s_mul_hi_i32 s11, s12, s15
	s_cmp_lg_u64 s[10:11], 0
	s_mul_i32 s4, s12, s15
	s_cbranch_scc1 .LBB17_9
	s_branch .LBB17_15
.LBB17_21:
                                        ; implicit-def: $sgpr20_sgpr21
	s_load_dwordx4 s[16:19], s[4:5], 0x44
	s_branch .LBB17_2
.LBB17_22:
                                        ; implicit-def: $vgpr2_vgpr3
	s_branch .LBB17_5
.LBB17_23:
	v_div_scale_f32 v0, s[0:1], v13, v13, v14
	v_rcp_f32_e32 v1, v0
	v_div_scale_f32 v4, vcc, v14, v13, v14
	s_waitcnt vmcnt(0)
	v_fma_f32 v5, -v0, v1, 1.0
	v_fmac_f32_e32 v1, v5, v1
	v_mul_f32_e32 v5, v4, v1
	v_fma_f32 v6, -v0, v5, v4
	v_fmac_f32_e32 v5, v6, v1
	v_fma_f32 v0, -v0, v5, v4
	v_div_fmas_f32 v0, v0, v1, v5
	v_div_fixup_f32 v0, v0, v13, v14
	global_store_dword v[2:3], v0, off
.LBB17_24:
	s_endpgm
	.section	.rodata,"a",@progbits
	.p2align	6, 0x0
	.amdhsa_kernel _ZL33flash_attn_stream_k_fixup_generalILi96ELi64ELi1EEvPfPK15HIP_vector_typeIfLj2EEiiiiS1_IjLj3EES5_S5_S5_
		.amdhsa_group_segment_fixed_size 0
		.amdhsa_private_segment_fixed_size 0
		.amdhsa_kernarg_size 336
		.amdhsa_user_sgpr_count 6
		.amdhsa_user_sgpr_private_segment_buffer 1
		.amdhsa_user_sgpr_dispatch_ptr 0
		.amdhsa_user_sgpr_queue_ptr 0
		.amdhsa_user_sgpr_kernarg_segment_ptr 1
		.amdhsa_user_sgpr_dispatch_id 0
		.amdhsa_user_sgpr_flat_scratch_init 0
		.amdhsa_user_sgpr_kernarg_preload_length 0
		.amdhsa_user_sgpr_kernarg_preload_offset 0
		.amdhsa_user_sgpr_private_segment_size 0
		.amdhsa_uses_dynamic_stack 0
		.amdhsa_system_sgpr_private_segment_wavefront_offset 0
		.amdhsa_system_sgpr_workgroup_id_x 1
		.amdhsa_system_sgpr_workgroup_id_y 1
		.amdhsa_system_sgpr_workgroup_id_z 1
		.amdhsa_system_sgpr_workgroup_info 0
		.amdhsa_system_vgpr_workitem_id 0
		.amdhsa_next_free_vgpr 22
		.amdhsa_next_free_sgpr 32
		.amdhsa_accum_offset 24
		.amdhsa_reserve_vcc 1
		.amdhsa_reserve_flat_scratch 0
		.amdhsa_float_round_mode_32 0
		.amdhsa_float_round_mode_16_64 0
		.amdhsa_float_denorm_mode_32 3
		.amdhsa_float_denorm_mode_16_64 3
		.amdhsa_dx10_clamp 1
		.amdhsa_ieee_mode 1
		.amdhsa_fp16_overflow 0
		.amdhsa_tg_split 0
		.amdhsa_exception_fp_ieee_invalid_op 0
		.amdhsa_exception_fp_denorm_src 0
		.amdhsa_exception_fp_ieee_div_zero 0
		.amdhsa_exception_fp_ieee_overflow 0
		.amdhsa_exception_fp_ieee_underflow 0
		.amdhsa_exception_fp_ieee_inexact 0
		.amdhsa_exception_int_div_zero 0
	.end_amdhsa_kernel
	.section	.text._ZL33flash_attn_stream_k_fixup_generalILi96ELi64ELi1EEvPfPK15HIP_vector_typeIfLj2EEiiiiS1_IjLj3EES5_S5_S5_,"axG",@progbits,_ZL33flash_attn_stream_k_fixup_generalILi96ELi64ELi1EEvPfPK15HIP_vector_typeIfLj2EEiiiiS1_IjLj3EES5_S5_S5_,comdat
.Lfunc_end17:
	.size	_ZL33flash_attn_stream_k_fixup_generalILi96ELi64ELi1EEvPfPK15HIP_vector_typeIfLj2EEiiiiS1_IjLj3EES5_S5_S5_, .Lfunc_end17-_ZL33flash_attn_stream_k_fixup_generalILi96ELi64ELi1EEvPfPK15HIP_vector_typeIfLj2EEiiiiS1_IjLj3EES5_S5_S5_
                                        ; -- End function
	.section	.AMDGPU.csdata,"",@progbits
; Kernel info:
; codeLenInByte = 2820
; NumSgprs: 36
; NumVgprs: 22
; NumAgprs: 0
; TotalNumVgprs: 22
; ScratchSize: 0
; MemoryBound: 0
; FloatMode: 240
; IeeeMode: 1
; LDSByteSize: 0 bytes/workgroup (compile time only)
; SGPRBlocks: 4
; VGPRBlocks: 2
; NumSGPRsForWavesPerEU: 36
; NumVGPRsForWavesPerEU: 22
; AccumOffset: 24
; Occupancy: 8
; WaveLimiterHint : 0
; COMPUTE_PGM_RSRC2:SCRATCH_EN: 0
; COMPUTE_PGM_RSRC2:USER_SGPR: 6
; COMPUTE_PGM_RSRC2:TRAP_HANDLER: 0
; COMPUTE_PGM_RSRC2:TGID_X_EN: 1
; COMPUTE_PGM_RSRC2:TGID_Y_EN: 1
; COMPUTE_PGM_RSRC2:TGID_Z_EN: 1
; COMPUTE_PGM_RSRC2:TIDIG_COMP_CNT: 0
; COMPUTE_PGM_RSRC3_GFX90A:ACCUM_OFFSET: 5
; COMPUTE_PGM_RSRC3_GFX90A:TG_SPLIT: 0
	.section	.text._ZL26flash_attn_combine_resultsILi96EEvPKfPK15HIP_vector_typeIfLj2EEPfi,"axG",@progbits,_ZL26flash_attn_combine_resultsILi96EEvPKfPK15HIP_vector_typeIfLj2EEPfi,comdat
	.globl	_ZL26flash_attn_combine_resultsILi96EEvPKfPK15HIP_vector_typeIfLj2EEPfi ; -- Begin function _ZL26flash_attn_combine_resultsILi96EEvPKfPK15HIP_vector_typeIfLj2EEPfi
	.p2align	8
	.type	_ZL26flash_attn_combine_resultsILi96EEvPKfPK15HIP_vector_typeIfLj2EEPfi,@function
_ZL26flash_attn_combine_resultsILi96EEvPKfPK15HIP_vector_typeIfLj2EEPfi: ; @_ZL26flash_attn_combine_resultsILi96EEvPKfPK15HIP_vector_typeIfLj2EEPfi
; %bb.0:
	s_load_dwordx2 s[0:1], s[4:5], 0x20
	s_load_dword s21, s[4:5], 0x18
	s_load_dwordx4 s[16:19], s[4:5], 0x0
	s_load_dwordx2 s[14:15], s[4:5], 0x10
	s_waitcnt lgkmcnt(0)
	s_mul_i32 s0, s0, s8
	s_add_i32 s0, s0, s6
	s_mul_i32 s20, s0, s1
	s_add_i32 s20, s20, s7
	s_lshl_b32 s10, s21, 1
	s_mul_i32 s0, s20, s21
	v_cmp_gt_i32_e32 vcc, s10, v0
	s_and_saveexec_b64 s[2:3], vcc
	s_cbranch_execz .LBB18_13
; %bb.1:
	v_xad_u32 v1, v0, -1, s10
	s_movk_i32 s4, 0x5f
	s_ashr_i32 s1, s0, 31
	v_cmp_lt_u32_e32 vcc, s4, v1
	s_mov_b64 s[6:7], -1
	v_mov_b32_e32 v2, v0
	s_and_saveexec_b64 s[4:5], vcc
	s_cbranch_execz .LBB18_10
; %bb.2:
	s_mov_b32 s6, 0xaaaaaaab
	v_mul_hi_u32 v1, v1, s6
	v_lshrrev_b32_e32 v6, 6, v1
	s_lshl_b64 s[6:7], s[0:1], 3
	v_add_u32_e32 v2, -1, v6
	s_add_u32 s11, s18, s6
	v_add_u32_e32 v1, 0x60, v0
	v_lshrrev_b32_e32 v3, 1, v2
	s_addc_u32 s12, s19, s7
	v_add_u32_e32 v7, 1, v3
	v_cmp_lt_u32_e32 vcc, 13, v2
	v_mov_b32_e32 v4, 0
	v_pk_mov_b32 v[2:3], v[0:1], v[0:1] op_sel:[0,1]
	s_and_saveexec_b64 s[6:7], vcc
	s_cbranch_execz .LBB18_6
; %bb.3:
	v_and_b32_e32 v8, -8, v7
	s_mov_b32 s13, 0
	v_lshl_add_u32 v9, v0, 2, 0
	s_mov_b64 s[8:9], 0
	v_mov_b32_e32 v10, s12
	v_mov_b32_e32 v5, 0
	v_pk_mov_b32 v[2:3], v[0:1], v[0:1] op_sel:[0,1]
.LBB18_4:                               ; =>This Inner Loop Header: Depth=1
	v_mov_b32_e32 v4, v2
	v_lshlrev_b64 v[26:27], 2, v[4:5]
	v_add_u32_e32 v12, 0xc0, v3
	v_mov_b32_e32 v13, v5
	v_add_co_u32_e32 v26, vcc, s11, v26
	v_lshlrev_b64 v[12:13], 2, v[12:13]
	v_addc_co_u32_e32 v27, vcc, v10, v27, vcc
	v_add_u32_e32 v14, 0x180, v3
	v_mov_b32_e32 v15, v5
	v_add_co_u32_e32 v12, vcc, s11, v12
	v_lshlrev_b64 v[14:15], 2, v[14:15]
	v_addc_co_u32_e32 v13, vcc, v10, v13, vcc
	;; [unrolled: 5-line block ×7, first 2 shown]
	v_mov_b32_e32 v4, v3
	v_add_co_u32_e32 v24, vcc, s11, v24
	v_lshlrev_b64 v[28:29], 2, v[4:5]
	v_addc_co_u32_e32 v25, vcc, v10, v25, vcc
	v_add_u32_e32 v4, 0xc0, v2
	v_add_co_u32_e32 v28, vcc, s11, v28
	v_addc_co_u32_e32 v29, vcc, v10, v29, vcc
	global_load_dword v1, v[26:27], off
	v_lshlrev_b64 v[26:27], 2, v[4:5]
	v_add_u32_e32 v4, 0x180, v2
	v_add_co_u32_e32 v26, vcc, s11, v26
	v_addc_co_u32_e32 v27, vcc, v10, v27, vcc
	v_lshlrev_b64 v[30:31], 2, v[4:5]
	v_add_u32_e32 v4, 0x240, v2
	global_load_dword v11, v[28:29], off
	global_load_dword v32, v[26:27], off
	;; [unrolled: 1-line block ×3, first 2 shown]
	v_add_co_u32_e32 v12, vcc, s11, v30
	v_addc_co_u32_e32 v13, vcc, v10, v31, vcc
	v_lshlrev_b64 v[26:27], 2, v[4:5]
	v_add_u32_e32 v4, 0x300, v2
	v_add_co_u32_e32 v26, vcc, s11, v26
	v_addc_co_u32_e32 v27, vcc, v10, v27, vcc
	v_lshlrev_b64 v[28:29], 2, v[4:5]
	v_add_u32_e32 v4, 0x3c0, v2
	global_load_dword v30, v[12:13], off
	global_load_dword v31, v[14:15], off
	;; [unrolled: 1-line block ×4, first 2 shown]
	v_add_co_u32_e32 v12, vcc, s11, v28
	v_addc_co_u32_e32 v13, vcc, v10, v29, vcc
	v_lshlrev_b64 v[14:15], 2, v[4:5]
	v_add_u32_e32 v4, 0x480, v2
	v_add_co_u32_e32 v14, vcc, s11, v14
	v_addc_co_u32_e32 v15, vcc, v10, v15, vcc
	v_lshlrev_b64 v[16:17], 2, v[4:5]
	v_add_u32_e32 v4, 0x540, v2
	global_load_dword v26, v[12:13], off
	global_load_dword v27, v[18:19], off
	;; [unrolled: 1-line block ×4, first 2 shown]
	v_add_co_u32_e32 v12, vcc, s11, v16
	v_addc_co_u32_e32 v13, vcc, v10, v17, vcc
	v_lshlrev_b64 v[14:15], 2, v[4:5]
	v_add_co_u32_e32 v14, vcc, s11, v14
	v_addc_co_u32_e32 v15, vcc, v10, v15, vcc
	global_load_dword v16, v[12:13], off
	global_load_dword v17, v[22:23], off
	;; [unrolled: 1-line block ×4, first 2 shown]
	v_add_u32_e32 v8, -8, v8
	s_add_i32 s13, s13, 16
	v_cmp_eq_u32_e32 vcc, 0, v8
	v_add_u32_e32 v12, 0x200, v9
	v_add_u32_e32 v13, 0x400, v9
	;; [unrolled: 1-line block ×8, first 2 shown]
	v_mov_b32_e32 v4, s13
	s_or_b64 s[8:9], vcc, s[8:9]
	v_add_u32_e32 v2, 0x600, v2
	s_waitcnt vmcnt(14)
	ds_write2_b32 v9, v1, v11 offset1:96
	v_add_u32_e32 v9, 0x1800, v9
	s_waitcnt vmcnt(12)
	ds_write2_b32 v12, v32, v33 offset0:64 offset1:160
	s_waitcnt vmcnt(10)
	ds_write2_b32 v13, v30, v31 offset0:128 offset1:224
	s_waitcnt vmcnt(8)
	ds_write2_b32 v14, v34, v35 offset0:64 offset1:160
	s_waitcnt vmcnt(6)
	ds_write2_b32 v15, v26, v27 offset1:96
	s_waitcnt vmcnt(4)
	ds_write2_b32 v20, v28, v29 offset0:64 offset1:160
	s_waitcnt vmcnt(2)
	ds_write2_b32 v21, v16, v17 offset0:128 offset1:224
	;; [unrolled: 2-line block ×3, first 2 shown]
	s_andn2_b64 exec, exec, s[8:9]
	s_cbranch_execnz .LBB18_4
; %bb.5:
	s_or_b64 exec, exec, s[8:9]
.LBB18_6:
	s_or_b64 exec, exec, s[6:7]
	v_and_b32_e32 v1, 7, v7
	v_cmp_ne_u32_e32 vcc, 0, v1
	s_and_saveexec_b64 s[6:7], vcc
	s_cbranch_execz .LBB18_9
; %bb.7:
	s_movk_i32 s8, 0x180
	v_mul_lo_u32 v4, v4, s8
	v_lshlrev_b32_e32 v5, 2, v0
	v_add3_u32 v7, v4, v5, 0
	s_mov_b64 s[8:9], 0
	v_mov_b32_e32 v8, s12
	v_mov_b32_e32 v5, 0
.LBB18_8:                               ; =>This Inner Loop Header: Depth=1
	v_mov_b32_e32 v4, v2
	v_lshlrev_b64 v[10:11], 2, v[4:5]
	v_mov_b32_e32 v4, v3
	v_add_co_u32_e32 v10, vcc, s11, v10
	v_addc_co_u32_e32 v11, vcc, v8, v11, vcc
	v_lshlrev_b64 v[12:13], 2, v[4:5]
	v_add_co_u32_e32 v12, vcc, s11, v12
	v_addc_co_u32_e32 v13, vcc, v8, v13, vcc
	global_load_dword v4, v[10:11], off
	global_load_dword v9, v[12:13], off
	v_add_u32_e32 v1, -1, v1
	v_cmp_eq_u32_e32 vcc, 0, v1
	v_add_u32_e32 v2, 0xc0, v2
	v_add_u32_e32 v3, 0xc0, v3
	s_or_b64 s[8:9], vcc, s[8:9]
	s_waitcnt vmcnt(0)
	ds_write2_b32 v7, v4, v9 offset1:96
	v_add_u32_e32 v7, 0x300, v7
	s_andn2_b64 exec, exec, s[8:9]
	s_cbranch_execnz .LBB18_8
.LBB18_9:
	s_or_b64 exec, exec, s[6:7]
	v_add_u32_e32 v1, 1, v6
	v_and_b32_e32 v4, 0x7fffffe, v1
	s_movk_i32 s6, 0x60
	v_mad_u64_u32 v[2:3], s[6:7], v4, s6, v[0:1]
	v_cmp_ne_u32_e32 vcc, v1, v4
	s_orn2_b64 s[6:7], vcc, exec
.LBB18_10:
	s_or_b64 exec, exec, s[4:5]
	s_and_b64 exec, exec, s[6:7]
	s_cbranch_execz .LBB18_13
; %bb.11:
	s_lshl_b64 s[4:5], s[0:1], 3
	v_mov_b32_e32 v3, 0
	s_add_u32 s1, s18, s4
	v_lshlrev_b64 v[4:5], 2, v[2:3]
	s_addc_u32 s4, s19, s5
	v_mov_b32_e32 v1, s4
	v_add_co_u32_e32 v4, vcc, s1, v4
	v_addc_co_u32_e32 v5, vcc, v1, v5, vcc
	v_lshl_add_u32 v1, v2, 2, 0
	s_mov_b64 s[4:5], 0
.LBB18_12:                              ; =>This Inner Loop Header: Depth=1
	global_load_dword v3, v[4:5], off
	v_add_co_u32_e32 v4, vcc, 0x180, v4
	v_add_u32_e32 v2, 0x60, v2
	v_addc_co_u32_e32 v5, vcc, 0, v5, vcc
	v_cmp_le_i32_e32 vcc, s10, v2
	s_or_b64 s[4:5], vcc, s[4:5]
	s_waitcnt vmcnt(0)
	ds_write_b32 v1, v3
	v_add_u32_e32 v1, 0x180, v1
	s_andn2_b64 exec, exec, s[4:5]
	s_cbranch_execnz .LBB18_12
.LBB18_13:
	s_or_b64 exec, exec, s[2:3]
	v_mov_b32_e32 v1, 0
	s_waitcnt lgkmcnt(0)
	s_barrier
	ds_read_b32 v1, v1
	s_cmp_lt_i32 s21, 2
	s_cbranch_scc1 .LBB18_21
; %bb.14:
	s_add_i32 s1, s21, -1
	s_add_i32 s2, s21, -2
	s_cmp_lt_u32 s2, 7
	s_cbranch_scc1 .LBB18_18
; %bb.15:
	s_mov_b32 s4, 0
	s_add_i32 s2, 0, 8
	s_and_b32 s3, s1, -8
.LBB18_16:                              ; =>This Inner Loop Header: Depth=1
	v_mov_b32_e32 v8, s2
	ds_read2_b32 v[2:3], v8 offset1:2
	ds_read2_b32 v[4:5], v8 offset0:4 offset1:6
	ds_read2_b32 v[6:7], v8 offset0:8 offset1:10
	;; [unrolled: 1-line block ×3, first 2 shown]
	s_mov_b32 s5, s4
	s_waitcnt lgkmcnt(3)
	v_max3_f32 v1, v1, v2, v3
	s_waitcnt lgkmcnt(2)
	v_max3_f32 v1, v1, v4, v5
	s_add_i32 s2, s2, 64
	s_add_i32 s4, s4, 8
	s_waitcnt lgkmcnt(1)
	v_max3_f32 v1, v1, v6, v7
	s_cmp_eq_u32 s3, s4
	s_waitcnt lgkmcnt(0)
	v_max3_f32 v1, v1, v8, v9
	s_cbranch_scc0 .LBB18_16
; %bb.17:
	s_add_i32 s2, s5, 9
	s_and_b32 s1, s1, 7
	s_cmp_eq_u32 s1, 0
	s_cbranch_scc0 .LBB18_19
	s_branch .LBB18_21
.LBB18_18:
	s_mov_b32 s2, 1
	s_and_b32 s1, s1, 7
	s_cmp_eq_u32 s1, 0
	s_cbranch_scc1 .LBB18_21
.LBB18_19:
	s_lshl_b32 s2, s2, 3
	s_add_i32 s2, s2, 0
.LBB18_20:                              ; =>This Inner Loop Header: Depth=1
	v_mov_b32_e32 v2, s2
	ds_read_b32 v2, v2
	s_waitcnt lgkmcnt(1)
	v_max_f32_e32 v1, v1, v1
	s_add_i32 s2, s2, 8
	s_add_i32 s1, s1, -1
	s_cmp_lg_u32 s1, 0
	s_waitcnt lgkmcnt(0)
	v_max_f32_e32 v2, v2, v2
	v_max_f32_e32 v1, v1, v2
	s_cbranch_scc1 .LBB18_20
.LBB18_21:
	s_cmp_lt_i32 s21, 1
	s_cbranch_scc1 .LBB18_26
; %bb.22:
	s_mul_i32 s18, s0, 0x60
	s_ashr_i32 s19, s18, 31
	s_cmp_lt_u32 s21, 8
	v_mov_b32_e32 v8, 0
	s_cbranch_scc1 .LBB18_27
; %bb.23:
	s_lshl_b64 s[0:1], s[18:19], 2
	s_add_u32 s23, s16, s0
	s_addc_u32 s0, s17, s1
	v_lshlrev_b32_e32 v2, 2, v0
	v_mov_b32_e32 v10, s0
	v_add_co_u32_e32 v2, vcc, s23, v2
	v_addc_co_u32_e32 v3, vcc, 0, v10, vcc
	v_add_co_u32_e32 v2, vcc, 0x180, v2
	s_and_b32 s22, s21, 0x7ffffff8
	v_addc_co_u32_e32 v3, vcc, 0, v3, vcc
	v_or_b32_e32 v4, 0x180, v0
	s_mov_b32 s24, 0
	v_mov_b32_e32 v7, 0
	s_mov_b32 s25, 0x3fb8aa3b
	s_mov_b32 s26, 0xc2ce8ed0
	;; [unrolled: 1-line block ×3, first 2 shown]
	v_mov_b32_e32 v11, 0x7f800000
	s_mov_b32 s28, 0
	v_mov_b32_e32 v9, 0
	v_mov_b32_e32 v8, 0
.LBB18_24:                              ; =>This Inner Loop Header: Depth=1
	v_add_u32_e32 v6, 0xfffffe80, v4
	global_load_dword v36, v[2:3], off
	v_add_co_u32_e32 v2, vcc, 0xc00, v2
	v_lshlrev_b64 v[28:29], 2, v[6:7]
	v_addc_co_u32_e32 v3, vcc, 0, v3, vcc
	v_mov_b32_e32 v5, v7
	v_add_co_u32_e32 v28, vcc, s23, v28
	v_lshlrev_b64 v[30:31], 2, v[4:5]
	v_addc_co_u32_e32 v29, vcc, v10, v29, vcc
	v_add_u32_e32 v6, 0xffffff40, v4
	v_add_co_u32_e32 v30, vcc, s23, v30
	v_lshlrev_b64 v[32:33], 2, v[6:7]
	v_addc_co_u32_e32 v31, vcc, v10, v31, vcc
	v_add_u32_e32 v6, 0xffffffa0, v4
	v_add_co_u32_e32 v32, vcc, s23, v32
	v_mov_b32_e32 v24, s24
	v_addc_co_u32_e32 v33, vcc, v10, v33, vcc
	v_lshlrev_b64 v[34:35], 2, v[6:7]
	ds_read2_b64 v[12:15], v24 offset1:1
	ds_read2_b64 v[16:19], v24 offset0:2 offset1:3
	ds_read2_b64 v[20:23], v24 offset0:4 offset1:5
	;; [unrolled: 1-line block ×3, first 2 shown]
	v_add_u32_e32 v6, 0x60, v4
	global_load_dword v5, v[28:29], off
	global_load_dword v37, v[32:33], off
	v_add_co_u32_e32 v28, vcc, s23, v34
	v_addc_co_u32_e32 v29, vcc, v10, v35, vcc
	v_lshlrev_b64 v[32:33], 2, v[6:7]
	v_add_u32_e32 v6, 0xc0, v4
	v_add_co_u32_e32 v32, vcc, s23, v32
	v_addc_co_u32_e32 v33, vcc, v10, v33, vcc
	v_lshlrev_b64 v[34:35], 2, v[6:7]
	v_add_u32_e32 v6, 0x120, v4
	global_load_dword v38, v[28:29], off
	global_load_dword v39, v[30:31], off
	v_add_co_u32_e32 v28, vcc, s23, v34
	v_addc_co_u32_e32 v29, vcc, v10, v35, vcc
	v_lshlrev_b64 v[30:31], 2, v[6:7]
	global_load_dword v32, v[32:33], off
	v_add_co_u32_e32 v30, vcc, s23, v30
	v_addc_co_u32_e32 v31, vcc, v10, v31, vcc
	global_load_dword v30, v[30:31], off
	s_waitcnt lgkmcnt(3)
	v_sub_f32_e32 v12, v12, v1
	global_load_dword v28, v[28:29], off
	v_sub_f32_e32 v14, v14, v1
	v_mul_f32_e32 v6, 0x3fb8aa3b, v12
	s_waitcnt lgkmcnt(2)
	v_sub_f32_e32 v16, v16, v1
	v_mul_f32_e32 v33, 0x3fb8aa3b, v14
	v_fma_f32 v29, v12, s25, -v6
	v_rndne_f32_e32 v44, v6
	v_sub_f32_e32 v18, v18, v1
	s_waitcnt lgkmcnt(1)
	v_sub_f32_e32 v20, v20, v1
	v_mul_f32_e32 v34, 0x3fb8aa3b, v16
	v_fma_f32 v45, v14, s25, -v33
	v_rndne_f32_e32 v46, v33
	v_fmac_f32_e32 v29, 0x32a5705f, v12
	v_sub_f32_e32 v6, v6, v44
	v_mul_f32_e32 v35, 0x3fb8aa3b, v18
	v_mul_f32_e32 v40, 0x3fb8aa3b, v20
	v_fma_f32 v47, v16, s25, -v34
	v_rndne_f32_e32 v48, v34
	v_add_f32_e32 v6, v6, v29
	v_fmac_f32_e32 v45, 0x32a5705f, v14
	v_sub_f32_e32 v33, v33, v46
	v_sub_f32_e32 v22, v22, v1
	s_waitcnt lgkmcnt(0)
	v_sub_f32_e32 v24, v24, v1
	v_fma_f32 v49, v18, s25, -v35
	v_rndne_f32_e32 v50, v35
	v_fma_f32 v31, v20, s25, -v40
	v_rndne_f32_e32 v29, v40
	v_add_f32_e32 v33, v33, v45
	v_fmac_f32_e32 v47, 0x32a5705f, v16
	v_sub_f32_e32 v34, v34, v48
	v_cvt_i32_f32_e32 v44, v44
	v_exp_f32_e32 v6, v6
	v_mul_f32_e32 v41, 0x3fb8aa3b, v22
	v_mul_f32_e32 v42, 0x3fb8aa3b, v24
	v_add_f32_e32 v34, v34, v47
	v_fmac_f32_e32 v49, 0x32a5705f, v18
	v_sub_f32_e32 v35, v35, v50
	v_fmac_f32_e32 v31, 0x32a5705f, v20
	v_sub_f32_e32 v40, v40, v29
	v_cvt_i32_f32_e32 v46, v46
	v_exp_f32_e32 v33, v33
	v_sub_f32_e32 v26, v26, v1
	v_fma_f32 v45, v22, s25, -v41
	v_rndne_f32_e32 v47, v41
	v_add_f32_e32 v35, v35, v49
	v_fma_f32 v49, v24, s25, -v42
	v_add_f32_e32 v31, v40, v31
	v_rndne_f32_e32 v40, v42
	v_cvt_i32_f32_e32 v48, v48
	v_exp_f32_e32 v34, v34
	v_mul_f32_e32 v43, 0x3fb8aa3b, v26
	v_fmac_f32_e32 v45, 0x32a5705f, v22
	v_sub_f32_e32 v41, v41, v47
	v_fmac_f32_e32 v49, 0x32a5705f, v24
	v_sub_f32_e32 v42, v42, v40
	v_cvt_i32_f32_e32 v50, v50
	v_exp_f32_e32 v35, v35
	v_add_f32_e32 v41, v41, v45
	v_fma_f32 v45, v26, s25, -v43
	v_add_f32_e32 v42, v42, v49
	v_rndne_f32_e32 v49, v43
	v_cvt_i32_f32_e32 v29, v29
	v_exp_f32_e32 v31, v31
	v_ldexp_f32 v6, v6, v44
	v_cmp_ngt_f32_e64 s[12:13], s26, v12
	v_cvt_i32_f32_e32 v47, v47
	v_fmac_f32_e32 v45, 0x32a5705f, v26
	v_sub_f32_e32 v43, v43, v49
	v_exp_f32_e32 v41, v41
	v_ldexp_f32 v33, v33, v46
	v_cmp_ngt_f32_e32 vcc, s26, v14
	v_cndmask_b32_e64 v6, 0, v6, s[12:13]
	v_cmp_nlt_f32_e64 s[12:13], s27, v12
	v_cvt_i32_f32_e32 v40, v40
	v_add_f32_e32 v43, v43, v45
	v_exp_f32_e32 v42, v42
	v_ldexp_f32 v34, v34, v48
	v_cmp_ngt_f32_e64 s[0:1], s26, v16
	v_cndmask_b32_e32 v33, 0, v33, vcc
	v_cmp_nlt_f32_e32 vcc, s27, v14
	v_cndmask_b32_e64 v6, v11, v6, s[12:13]
	v_cvt_i32_f32_e32 v49, v49
	v_exp_f32_e32 v43, v43
	v_ldexp_f32 v35, v35, v50
	v_cmp_ngt_f32_e64 s[2:3], s26, v18
	v_cndmask_b32_e64 v14, 0, v34, s[0:1]
	v_cmp_nlt_f32_e64 s[0:1], s27, v16
	v_cndmask_b32_e32 v12, v11, v33, vcc
	v_fmac_f32_e32 v9, v6, v13
	s_waitcnt vmcnt(6)
	v_fmac_f32_e32 v8, v5, v6
	v_ldexp_f32 v29, v31, v29
	v_cmp_ngt_f32_e64 s[4:5], s26, v20
	v_cndmask_b32_e64 v16, 0, v35, s[2:3]
	v_cmp_nlt_f32_e64 s[2:3], s27, v18
	v_cndmask_b32_e64 v14, v11, v14, s[0:1]
	v_fmac_f32_e32 v9, v12, v15
	v_fmac_f32_e32 v8, v36, v12
	v_ldexp_f32 v31, v41, v47
	v_cmp_ngt_f32_e64 s[6:7], s26, v22
	v_cndmask_b32_e64 v18, 0, v29, s[4:5]
	v_cmp_nlt_f32_e64 s[4:5], s27, v20
	v_cndmask_b32_e64 v16, v11, v16, s[2:3]
	v_fmac_f32_e32 v9, v14, v17
	s_waitcnt vmcnt(5)
	v_fmac_f32_e32 v8, v37, v14
	v_ldexp_f32 v40, v42, v40
	v_cmp_ngt_f32_e64 s[8:9], s26, v24
	v_cndmask_b32_e64 v20, 0, v31, s[6:7]
	v_cmp_nlt_f32_e64 s[6:7], s27, v22
	v_cndmask_b32_e64 v18, v11, v18, s[4:5]
	v_fmac_f32_e32 v9, v16, v19
	s_waitcnt vmcnt(4)
	;; [unrolled: 8-line block ×3, first 2 shown]
	v_fmac_f32_e32 v8, v39, v18
	v_cndmask_b32_e64 v24, 0, v41, s[10:11]
	v_cmp_nlt_f32_e64 s[10:11], s27, v26
	v_cndmask_b32_e64 v22, v11, v22, s[8:9]
	v_fmac_f32_e32 v9, v20, v23
	s_waitcnt vmcnt(2)
	v_fmac_f32_e32 v8, v32, v20
	s_add_i32 s28, s28, 8
	s_add_i32 s24, s24, 64
	v_cndmask_b32_e64 v24, v11, v24, s[10:11]
	v_fmac_f32_e32 v9, v22, v25
	s_waitcnt vmcnt(0)
	v_fmac_f32_e32 v8, v28, v22
	s_cmp_eq_u32 s22, s28
	v_add_u32_e32 v4, 0x300, v4
	v_fmac_f32_e32 v9, v24, v27
	v_fmac_f32_e32 v8, v30, v24
	s_cbranch_scc0 .LBB18_24
; %bb.25:
	s_and_b32 s0, s21, 7
	s_cmp_eq_u32 s0, 0
	s_cbranch_scc0 .LBB18_28
	s_branch .LBB18_30
.LBB18_26:
	s_waitcnt lgkmcnt(0)
	v_mov_b32_e32 v1, 0x7fc00000
	s_branch .LBB18_31
.LBB18_27:
	s_mov_b32 s22, 0
	v_mov_b32_e32 v9, 0
	s_and_b32 s0, s21, 7
	s_cmp_eq_u32 s0, 0
	s_cbranch_scc1 .LBB18_30
.LBB18_28:
	s_lshl_b64 s[2:3], s[18:19], 2
	s_mul_i32 s1, s22, 0x60
	v_add_u32_e32 v2, s1, v0
	v_mov_b32_e32 v3, 0
	s_add_u32 s1, s16, s2
	v_lshlrev_b64 v[2:3], 2, v[2:3]
	s_addc_u32 s2, s17, s3
	v_mov_b32_e32 v4, s2
	v_add_co_u32_e32 v2, vcc, s1, v2
	s_lshl_b32 s1, s22, 3
	v_addc_co_u32_e32 v3, vcc, v4, v3, vcc
	s_add_i32 s1, s1, 0
	s_mov_b32 s2, 0x3fb8aa3b
	s_mov_b32 s3, 0xc2ce8ed0
	;; [unrolled: 1-line block ×3, first 2 shown]
	v_mov_b32_e32 v4, 0x7f800000
.LBB18_29:                              ; =>This Inner Loop Header: Depth=1
	global_load_dword v5, v[2:3], off
	v_mov_b32_e32 v6, s1
	ds_read_b64 v[6:7], v6
	v_add_co_u32_e32 v2, vcc, 0x180, v2
	v_addc_co_u32_e32 v3, vcc, 0, v3, vcc
	s_waitcnt lgkmcnt(0)
	v_sub_f32_e32 v6, v6, v1
	v_mul_f32_e32 v10, 0x3fb8aa3b, v6
	v_fma_f32 v11, v6, s2, -v10
	v_rndne_f32_e32 v12, v10
	v_fmac_f32_e32 v11, 0x32a5705f, v6
	v_sub_f32_e32 v10, v10, v12
	v_add_f32_e32 v10, v10, v11
	v_cvt_i32_f32_e32 v12, v12
	v_exp_f32_e32 v10, v10
	v_cmp_ngt_f32_e32 vcc, s3, v6
	s_add_i32 s1, s1, 8
	s_add_i32 s0, s0, -1
	v_ldexp_f32 v10, v10, v12
	v_cndmask_b32_e32 v10, 0, v10, vcc
	v_cmp_nlt_f32_e32 vcc, s4, v6
	v_cndmask_b32_e32 v6, v4, v10, vcc
	s_cmp_lg_u32 s0, 0
	v_fmac_f32_e32 v9, v6, v7
	s_waitcnt vmcnt(0)
	v_fmac_f32_e32 v8, v5, v6
	s_cbranch_scc1 .LBB18_29
.LBB18_30:
	s_waitcnt lgkmcnt(0)
	v_div_scale_f32 v1, s[0:1], v9, v9, v8
	v_rcp_f32_e32 v2, v1
	v_div_scale_f32 v3, vcc, v8, v9, v8
	v_fma_f32 v4, -v1, v2, 1.0
	v_fmac_f32_e32 v2, v4, v2
	v_mul_f32_e32 v4, v3, v2
	v_fma_f32 v5, -v1, v4, v3
	v_fmac_f32_e32 v4, v5, v2
	v_fma_f32 v1, -v1, v4, v3
	v_div_fmas_f32 v1, v1, v2, v4
	v_div_fixup_f32 v1, v1, v9, v8
.LBB18_31:
	s_mul_i32 s0, s20, 0x60
	s_ashr_i32 s1, s0, 31
	s_lshl_b64 s[0:1], s[0:1], 2
	s_add_u32 s0, s14, s0
	s_addc_u32 s1, s15, s1
	v_lshlrev_b32_e32 v0, 2, v0
	global_store_dword v0, v1, s[0:1]
	s_endpgm
	.section	.rodata,"a",@progbits
	.p2align	6, 0x0
	.amdhsa_kernel _ZL26flash_attn_combine_resultsILi96EEvPKfPK15HIP_vector_typeIfLj2EEPfi
		.amdhsa_group_segment_fixed_size 0
		.amdhsa_private_segment_fixed_size 0
		.amdhsa_kernarg_size 288
		.amdhsa_user_sgpr_count 6
		.amdhsa_user_sgpr_private_segment_buffer 1
		.amdhsa_user_sgpr_dispatch_ptr 0
		.amdhsa_user_sgpr_queue_ptr 0
		.amdhsa_user_sgpr_kernarg_segment_ptr 1
		.amdhsa_user_sgpr_dispatch_id 0
		.amdhsa_user_sgpr_flat_scratch_init 0
		.amdhsa_user_sgpr_kernarg_preload_length 0
		.amdhsa_user_sgpr_kernarg_preload_offset 0
		.amdhsa_user_sgpr_private_segment_size 0
		.amdhsa_uses_dynamic_stack 0
		.amdhsa_system_sgpr_private_segment_wavefront_offset 0
		.amdhsa_system_sgpr_workgroup_id_x 1
		.amdhsa_system_sgpr_workgroup_id_y 1
		.amdhsa_system_sgpr_workgroup_id_z 1
		.amdhsa_system_sgpr_workgroup_info 0
		.amdhsa_system_vgpr_workitem_id 0
		.amdhsa_next_free_vgpr 51
		.amdhsa_next_free_sgpr 29
		.amdhsa_accum_offset 52
		.amdhsa_reserve_vcc 1
		.amdhsa_reserve_flat_scratch 0
		.amdhsa_float_round_mode_32 0
		.amdhsa_float_round_mode_16_64 0
		.amdhsa_float_denorm_mode_32 3
		.amdhsa_float_denorm_mode_16_64 3
		.amdhsa_dx10_clamp 1
		.amdhsa_ieee_mode 1
		.amdhsa_fp16_overflow 0
		.amdhsa_tg_split 0
		.amdhsa_exception_fp_ieee_invalid_op 0
		.amdhsa_exception_fp_denorm_src 0
		.amdhsa_exception_fp_ieee_div_zero 0
		.amdhsa_exception_fp_ieee_overflow 0
		.amdhsa_exception_fp_ieee_underflow 0
		.amdhsa_exception_fp_ieee_inexact 0
		.amdhsa_exception_int_div_zero 0
	.end_amdhsa_kernel
	.section	.text._ZL26flash_attn_combine_resultsILi96EEvPKfPK15HIP_vector_typeIfLj2EEPfi,"axG",@progbits,_ZL26flash_attn_combine_resultsILi96EEvPKfPK15HIP_vector_typeIfLj2EEPfi,comdat
.Lfunc_end18:
	.size	_ZL26flash_attn_combine_resultsILi96EEvPKfPK15HIP_vector_typeIfLj2EEPfi, .Lfunc_end18-_ZL26flash_attn_combine_resultsILi96EEvPKfPK15HIP_vector_typeIfLj2EEPfi
                                        ; -- End function
	.section	.AMDGPU.csdata,"",@progbits
; Kernel info:
; codeLenInByte = 3168
; NumSgprs: 33
; NumVgprs: 51
; NumAgprs: 0
; TotalNumVgprs: 51
; ScratchSize: 0
; MemoryBound: 0
; FloatMode: 240
; IeeeMode: 1
; LDSByteSize: 0 bytes/workgroup (compile time only)
; SGPRBlocks: 4
; VGPRBlocks: 6
; NumSGPRsForWavesPerEU: 33
; NumVGPRsForWavesPerEU: 51
; AccumOffset: 52
; Occupancy: 8
; WaveLimiterHint : 0
; COMPUTE_PGM_RSRC2:SCRATCH_EN: 0
; COMPUTE_PGM_RSRC2:USER_SGPR: 6
; COMPUTE_PGM_RSRC2:TRAP_HANDLER: 0
; COMPUTE_PGM_RSRC2:TGID_X_EN: 1
; COMPUTE_PGM_RSRC2:TGID_Y_EN: 1
; COMPUTE_PGM_RSRC2:TGID_Z_EN: 1
; COMPUTE_PGM_RSRC2:TIDIG_COMP_CNT: 0
; COMPUTE_PGM_RSRC3_GFX90A:ACCUM_OFFSET: 12
; COMPUTE_PGM_RSRC3_GFX90A:TG_SPLIT: 0
	.section	.text._ZL18flash_attn_ext_f16ILi112ELi112ELi64ELi1ELb0ELb0EEvPKcS1_S1_S1_S1_PKiPfP15HIP_vector_typeIfLj2EEffffjfiS5_IjLj3EEiiiiiiiiiiiliiliiiiil,"axG",@progbits,_ZL18flash_attn_ext_f16ILi112ELi112ELi64ELi1ELb0ELb0EEvPKcS1_S1_S1_S1_PKiPfP15HIP_vector_typeIfLj2EEffffjfiS5_IjLj3EEiiiiiiiiiiiliiliiiiil,comdat
	.globl	_ZL18flash_attn_ext_f16ILi112ELi112ELi64ELi1ELb0ELb0EEvPKcS1_S1_S1_S1_PKiPfP15HIP_vector_typeIfLj2EEffffjfiS5_IjLj3EEiiiiiiiiiiiliiliiiiil ; -- Begin function _ZL18flash_attn_ext_f16ILi112ELi112ELi64ELi1ELb0ELb0EEvPKcS1_S1_S1_S1_PKiPfP15HIP_vector_typeIfLj2EEffffjfiS5_IjLj3EEiiiiiiiiiiiliiliiiiil
	.p2align	8
	.type	_ZL18flash_attn_ext_f16ILi112ELi112ELi64ELi1ELb0ELb0EEvPKcS1_S1_S1_S1_PKiPfP15HIP_vector_typeIfLj2EEffffjfiS5_IjLj3EEiiiiiiiiiiiliiliiiiil,@function
_ZL18flash_attn_ext_f16ILi112ELi112ELi64ELi1ELb0ELb0EEvPKcS1_S1_S1_S1_PKiPfP15HIP_vector_typeIfLj2EEffffjfiS5_IjLj3EEiiiiiiiiiiiliiliiiiil: ; @_ZL18flash_attn_ext_f16ILi112ELi112ELi64ELi1ELb0ELb0EEvPKcS1_S1_S1_S1_PKiPfP15HIP_vector_typeIfLj2EEffffjfiS5_IjLj3EEiiiiiiiiiiiliiliiiiil
; %bb.0:
	s_load_dwordx2 s[14:15], s[4:5], 0x80
	s_load_dwordx4 s[16:19], s[4:5], 0x64
	s_add_u32 flat_scratch_lo, s6, s9
	s_addc_u32 flat_scratch_hi, s7, 0
	s_add_u32 s0, s0, s9
	s_addc_u32 s1, s1, 0
	s_waitcnt lgkmcnt(0)
	s_abs_i32 s7, s15
	v_mov_b32_e32 v4, v0
	v_cvt_f32_u32_e32 v0, s7
	s_sub_i32 s10, 0, s7
	s_abs_i32 s9, s17
	s_mov_b32 s23, s8
	v_rcp_iflag_f32_e32 v0, v0
	s_xor_b32 s8, s17, s15
	s_ashr_i32 s8, s8, 31
                                        ; implicit-def: $vgpr253 : SGPR spill to VGPR lane
	s_load_dword s24, s[4:5], 0xd0
	v_mul_f32_e32 v0, 0x4f7ffffe, v0
	v_cvt_u32_f32_e32 v0, v0
	s_mov_b32 s6, 0
	v_cvt_f32_ubyte0_e32 v2, 0
	s_waitcnt lgkmcnt(0)
	v_cvt_f32_u32_e32 v1, s24
	v_readfirstlane_b32 s11, v0
	s_mul_i32 s10, s10, s11
	s_mul_hi_u32 s10, s11, s10
	s_add_i32 s11, s11, s10
	s_mul_hi_u32 s10, s9, s11
	s_mul_i32 s11, s10, s7
	s_sub_i32 s9, s9, s11
	s_add_i32 s12, s10, 1
	s_sub_i32 s11, s9, s7
	s_cmp_ge_u32 s9, s7
	s_cselect_b32 s10, s12, s10
	s_cselect_b32 s9, s11, s9
	s_add_i32 s11, s10, 1
	s_cmp_ge_u32 s9, s7
	s_cselect_b32 s7, s11, s10
	s_add_i32 s9, s14, 63
	s_xor_b32 s7, s7, s8
	s_ashr_i32 s10, s9, 31
	s_sub_i32 s8, s7, s8
	s_lshr_b32 s7, s10, 26
	s_add_i32 s9, s9, s7
	s_add_i32 s7, s16, 63
	s_lshr_b32 s7, s7, 6
	s_ashr_i32 s9, s9, 6
	v_writelane_b32 v253, s7, 0
	v_writelane_b32 v253, s9, 1
	s_mul_i32 s7, s7, s9
	v_writelane_b32 v253, s8, 2
	v_writelane_b32 v253, s7, 3
	s_mul_i32 s7, s7, s8
	s_mov_b32 s8, s14
	v_writelane_b32 v253, s8, 4
	v_writelane_b32 v253, s9, 5
	;; [unrolled: 1-line block ×3, first 2 shown]
	s_mov_b64 s[8:9], s[16:17]
	s_mov_b32 s11, s19
	v_writelane_b32 v253, s8, 7
	v_writelane_b32 v253, s9, 8
	s_mul_i32 s7, s7, s15
	v_writelane_b32 v253, s10, 9
	v_writelane_b32 v253, s11, 10
	s_mul_i32 s10, s7, s18
	s_ashr_i32 s11, s10, 31
	v_writelane_b32 v253, s7, 11
	s_mul_i32 s7, s11, s23
	s_mul_hi_u32 s8, s10, s23
	s_add_i32 s7, s8, s7
	s_add_u32 s8, s4, 0xd0
	s_addc_u32 s9, s5, 0
	v_writelane_b32 v253, s8, 12
	s_mul_i32 s12, s10, s23
	v_writelane_b32 v253, s9, 13
	s_cmp_lg_u64 s[6:7], 0
	s_cbranch_scc0 .LBB19_2
; %bb.1:
	v_madmk_f32 v0, v2, 0x4f800000, v1
	v_rcp_f32_e32 v0, v0
	s_sub_u32 s6, 0, s24
	s_subb_u32 s13, 0, 0
	s_mov_b64 s[8:9], 0
	v_mul_f32_e32 v0, 0x5f7ffffc, v0
	v_mul_f32_e32 v3, 0x2f800000, v0
	v_trunc_f32_e32 v3, v3
	v_madmk_f32 v0, v3, 0xcf800000, v0
	v_cvt_u32_f32_e32 v3, v3
	v_cvt_u32_f32_e32 v0, v0
	v_readfirstlane_b32 s14, v3
	v_readfirstlane_b32 s15, v0
	s_mul_hi_u32 s17, s6, s15
	s_mul_i32 s18, s6, s14
	s_mul_i32 s16, s13, s15
	s_add_i32 s17, s17, s18
	s_add_i32 s17, s17, s16
	s_mul_i32 s19, s6, s15
	s_mul_hi_u32 s16, s15, s17
	s_mul_i32 s18, s15, s17
	s_mul_hi_u32 s15, s15, s19
	s_add_u32 s15, s15, s18
	s_addc_u32 s16, 0, s16
	s_mul_hi_u32 s20, s14, s19
	s_mul_i32 s19, s14, s19
	s_add_u32 s15, s15, s19
	s_mul_hi_u32 s18, s14, s17
	s_addc_u32 s15, s16, s20
	s_addc_u32 s16, s18, 0
	s_mul_i32 s17, s14, s17
	s_add_u32 s15, s15, s17
	s_addc_u32 s16, 0, s16
	v_add_co_u32_e32 v0, vcc, s15, v0
	s_cmp_lg_u64 vcc, 0
	s_addc_u32 s14, s14, s16
	v_readfirstlane_b32 s16, v0
	s_mul_i32 s15, s6, s14
	s_mul_hi_u32 s17, s6, s16
	s_add_i32 s15, s17, s15
	s_mul_i32 s13, s13, s16
	s_add_i32 s15, s15, s13
	s_mul_i32 s6, s6, s16
	s_mul_hi_u32 s17, s14, s6
	s_mul_i32 s18, s14, s6
	s_mul_i32 s20, s16, s15
	s_mul_hi_u32 s6, s16, s6
	s_mul_hi_u32 s19, s16, s15
	s_add_u32 s6, s6, s20
	s_addc_u32 s16, 0, s19
	s_add_u32 s6, s6, s18
	s_mul_hi_u32 s13, s14, s15
	s_addc_u32 s6, s16, s17
	s_addc_u32 s13, s13, 0
	s_mul_i32 s15, s14, s15
	s_add_u32 s6, s6, s15
	s_addc_u32 s13, 0, s13
	v_add_co_u32_e32 v0, vcc, s6, v0
	s_cmp_lg_u64 vcc, 0
	s_addc_u32 s13, s14, s13
	s_ashr_i32 s14, s7, 31
	s_add_u32 s6, s12, s14
	s_mov_b32 s15, s14
	s_addc_u32 s7, s7, s14
	s_xor_b64 s[6:7], s[6:7], s[14:15]
	v_readfirstlane_b32 s18, v0
	s_mul_i32 s17, s6, s13
	s_mul_hi_u32 s19, s6, s18
	s_mul_hi_u32 s16, s6, s13
	s_add_u32 s17, s19, s17
	s_addc_u32 s16, 0, s16
	s_mul_hi_u32 s20, s7, s18
	s_mul_i32 s18, s7, s18
	s_add_u32 s17, s17, s18
	s_mul_hi_u32 s19, s7, s13
	s_addc_u32 s16, s16, s20
	s_addc_u32 s17, s19, 0
	s_mul_i32 s13, s7, s13
	s_add_u32 s13, s16, s13
	s_addc_u32 s16, 0, s17
	s_add_u32 s17, s13, 1
	s_addc_u32 s18, s16, 0
	s_add_u32 s19, s13, 2
	s_mul_i32 s21, s24, s16
	s_mul_hi_u32 s22, s24, s13
	s_addc_u32 s20, s16, 0
	s_add_i32 s22, s22, s21
	s_mul_i32 s21, s24, s13
	v_mov_b32_e32 v0, s21
	v_sub_co_u32_e32 v0, vcc, s6, v0
	s_cmp_lg_u64 vcc, 0
	s_subb_u32 s6, s7, s22
	v_subrev_co_u32_e32 v3, vcc, s24, v0
	s_cmp_lg_u64 vcc, 0
	s_subb_u32 s7, s6, 0
	v_readfirstlane_b32 s21, v3
	s_cmp_ge_u32 s21, s24
	s_cselect_b32 s21, -1, 0
	s_cmp_eq_u32 s7, 0
	s_cselect_b32 s7, s21, -1
	s_cmp_lg_u32 s7, 0
	s_cselect_b32 s7, s20, s18
	v_readfirstlane_b32 s18, v0
	s_cselect_b32 s17, s19, s17
	s_cmp_ge_u32 s18, s24
	s_cselect_b32 s18, -1, 0
	s_cmp_eq_u32 s6, 0
	s_cselect_b32 s6, s18, -1
	s_cmp_lg_u32 s6, 0
	s_cselect_b32 s7, s7, s16
	s_cselect_b32 s6, s17, s13
	s_xor_b64 s[6:7], s[6:7], s[14:15]
	s_sub_u32 s54, s6, s14
	s_branch .LBB19_3
.LBB19_2:
	s_mov_b64 s[8:9], -1
                                        ; implicit-def: $sgpr54_sgpr55
.LBB19_3:
	s_load_dwordx2 s[6:7], s[4:5], 0x74
	v_cvt_f32_u32_e32 v0, s24
	s_andn2_b64 vcc, exec, s[8:9]
	s_waitcnt lgkmcnt(0)
	v_writelane_b32 v253, s6, 14
	v_writelane_b32 v253, s7, 15
	s_cbranch_vccnz .LBB19_5
; %bb.4:
	v_rcp_iflag_f32_e32 v3, v0
	s_sub_i32 s6, 0, s24
	v_mul_f32_e32 v3, 0x4f7ffffe, v3
	v_cvt_u32_f32_e32 v3, v3
	v_readfirstlane_b32 s7, v3
	s_mul_i32 s6, s6, s7
	s_mul_hi_u32 s6, s7, s6
	s_add_i32 s7, s7, s6
	s_mul_hi_u32 s6, s12, s7
	s_mul_i32 s8, s6, s24
	s_sub_i32 s8, s12, s8
	s_add_i32 s7, s6, 1
	s_sub_i32 s9, s8, s24
	s_cmp_ge_u32 s8, s24
	s_cselect_b32 s6, s7, s6
	s_cselect_b32 s8, s9, s8
	s_add_i32 s7, s6, 1
	s_cmp_ge_u32 s8, s24
	s_cselect_b32 s54, s7, s6
.LBB19_5:
	s_add_i32 s6, s23, 1
	s_mul_i32 s7, s11, s6
	s_mul_hi_u32 s8, s10, s6
	s_add_i32 s9, s8, s7
	s_mov_b32 s8, 0
	s_cmp_lg_u64 s[8:9], 0
	s_mul_i32 s8, s10, s6
	s_cbranch_scc0 .LBB19_7
; %bb.6:
	v_madmk_f32 v1, v2, 0x4f800000, v1
	v_rcp_f32_e32 v1, v1
	s_sub_u32 s10, 0, s24
	s_subb_u32 s11, 0, 0
	s_mov_b64 s[6:7], 0
	v_mul_f32_e32 v1, 0x5f7ffffc, v1
	v_mul_f32_e32 v2, 0x2f800000, v1
	v_trunc_f32_e32 v2, v2
	v_madmk_f32 v1, v2, 0xcf800000, v1
	v_cvt_u32_f32_e32 v2, v2
	v_cvt_u32_f32_e32 v1, v1
	v_readfirstlane_b32 s12, v2
	v_readfirstlane_b32 s13, v1
	s_mul_hi_u32 s15, s10, s13
	s_mul_i32 s16, s10, s12
	s_mul_i32 s14, s11, s13
	s_add_i32 s15, s15, s16
	s_add_i32 s15, s15, s14
	s_mul_i32 s17, s10, s13
	s_mul_hi_u32 s14, s13, s15
	s_mul_i32 s16, s13, s15
	s_mul_hi_u32 s13, s13, s17
	s_add_u32 s13, s13, s16
	s_addc_u32 s14, 0, s14
	s_mul_hi_u32 s18, s12, s17
	s_mul_i32 s17, s12, s17
	s_add_u32 s13, s13, s17
	s_mul_hi_u32 s16, s12, s15
	s_addc_u32 s13, s14, s18
	s_addc_u32 s14, s16, 0
	s_mul_i32 s15, s12, s15
	s_add_u32 s13, s13, s15
	s_addc_u32 s14, 0, s14
	v_add_co_u32_e32 v1, vcc, s13, v1
	s_cmp_lg_u64 vcc, 0
	s_addc_u32 s12, s12, s14
	v_readfirstlane_b32 s14, v1
	s_mul_i32 s13, s10, s12
	s_mul_hi_u32 s15, s10, s14
	s_add_i32 s13, s15, s13
	s_mul_i32 s11, s11, s14
	s_add_i32 s13, s13, s11
	s_mul_i32 s10, s10, s14
	s_mul_hi_u32 s15, s12, s10
	s_mul_i32 s16, s12, s10
	s_mul_i32 s18, s14, s13
	s_mul_hi_u32 s10, s14, s10
	s_mul_hi_u32 s17, s14, s13
	s_add_u32 s10, s10, s18
	s_addc_u32 s14, 0, s17
	s_add_u32 s10, s10, s16
	s_mul_hi_u32 s11, s12, s13
	s_addc_u32 s10, s14, s15
	s_addc_u32 s11, s11, 0
	s_mul_i32 s13, s12, s13
	s_add_u32 s10, s10, s13
	s_addc_u32 s11, 0, s11
	v_add_co_u32_e32 v1, vcc, s10, v1
	s_cmp_lg_u64 vcc, 0
	s_addc_u32 s14, s12, s11
	s_ashr_i32 s10, s9, 31
	s_add_u32 s12, s8, s10
	s_mov_b32 s11, s10
	s_addc_u32 s13, s9, s10
	s_xor_b64 s[12:13], s[12:13], s[10:11]
	v_readfirstlane_b32 s16, v1
	s_mul_i32 s15, s12, s14
	s_mul_hi_u32 s17, s12, s16
	s_mul_hi_u32 s9, s12, s14
	s_add_u32 s15, s17, s15
	s_addc_u32 s9, 0, s9
	s_mul_hi_u32 s18, s13, s16
	s_mul_i32 s16, s13, s16
	s_add_u32 s15, s15, s16
	s_mul_hi_u32 s17, s13, s14
	s_addc_u32 s9, s9, s18
	s_addc_u32 s15, s17, 0
	s_mul_i32 s14, s13, s14
	s_add_u32 s9, s9, s14
	s_addc_u32 s14, 0, s15
	s_add_u32 s15, s9, 1
	s_addc_u32 s16, s14, 0
	s_add_u32 s17, s9, 2
	s_mul_i32 s19, s24, s14
	s_mul_hi_u32 s20, s24, s9
	s_addc_u32 s18, s14, 0
	s_add_i32 s20, s20, s19
	s_mul_i32 s19, s24, s9
	v_mov_b32_e32 v1, s19
	v_sub_co_u32_e32 v1, vcc, s12, v1
	s_cmp_lg_u64 vcc, 0
	s_subb_u32 s12, s13, s20
	v_subrev_co_u32_e32 v2, vcc, s24, v1
	s_cmp_lg_u64 vcc, 0
	s_subb_u32 s13, s12, 0
	v_readfirstlane_b32 s19, v2
	s_cmp_ge_u32 s19, s24
	s_cselect_b32 s19, -1, 0
	s_cmp_eq_u32 s13, 0
	s_cselect_b32 s13, s19, -1
	s_cmp_lg_u32 s13, 0
	s_cselect_b32 s13, s18, s16
	v_readfirstlane_b32 s16, v1
	s_cselect_b32 s15, s17, s15
	s_cmp_ge_u32 s16, s24
	s_cselect_b32 s16, -1, 0
	s_cmp_eq_u32 s12, 0
	s_cselect_b32 s12, s16, -1
	s_cmp_lg_u32 s12, 0
	s_cselect_b32 s13, s13, s14
	s_cselect_b32 s12, s15, s9
	s_xor_b64 s[12:13], s[12:13], s[10:11]
	s_sub_u32 s10, s12, s10
	v_writelane_b32 v253, s10, 19
	v_writelane_b32 v253, s11, 20
	s_branch .LBB19_8
.LBB19_7:
	s_mov_b64 s[6:7], -1
                                        ; implicit-def: $sgpr10_sgpr11
                                        ; kill: killed $sgpr10_sgpr11
.LBB19_8:
	s_load_dwordx2 s[10:11], s[4:5], 0x5c
	v_writelane_b32 v253, s23, 16
	s_andn2_b64 vcc, exec, s[6:7]
	s_waitcnt lgkmcnt(0)
	v_writelane_b32 v253, s10, 17
	v_writelane_b32 v253, s11, 18
	s_cbranch_vccnz .LBB19_10
; %bb.9:
	v_rcp_iflag_f32_e32 v0, v0
	s_sub_i32 s6, 0, s24
	v_mul_f32_e32 v0, 0x4f7ffffe, v0
	v_cvt_u32_f32_e32 v0, v0
	v_readfirstlane_b32 s7, v0
	s_mul_i32 s6, s6, s7
	s_mul_hi_u32 s6, s7, s6
	s_add_i32 s7, s7, s6
	s_mul_hi_u32 s6, s8, s7
	s_mul_i32 s9, s6, s24
	s_sub_i32 s8, s8, s9
	s_add_i32 s7, s6, 1
	s_sub_i32 s9, s8, s24
	s_cmp_ge_u32 s8, s24
	s_cselect_b32 s6, s7, s6
	s_cselect_b32 s8, s9, s8
	s_add_i32 s7, s6, 1
	s_cmp_ge_u32 s8, s24
	s_cselect_b32 s6, s7, s6
	v_writelane_b32 v253, s6, 19
	v_writelane_b32 v253, s7, 20
.LBB19_10:
	s_load_dwordx16 s[72:87], s[4:5], 0x0
	s_load_dwordx4 s[16:19], s[4:5], 0x40
	s_load_dword s6, s[4:5], 0x50
	v_writelane_b32 v253, s24, 21
	v_bfe_u32 v120, v4, 10, 10
	s_mov_b32 s71, 0
	v_lshlrev_b32_e32 v24, 4, v120
	s_waitcnt lgkmcnt(0)
	v_writelane_b32 v253, s6, 22
	s_load_dwordx2 s[6:7], s[4:5], 0x8c
	s_load_dwordx4 s[8:11], s[4:5], 0x98
	s_load_dwordx2 s[12:13], s[4:5], 0xa8
	s_load_dwordx2 s[52:53], s[4:5], 0xb8
	s_nop 0
	s_load_dwordx2 s[4:5], s[4:5], 0xc8
	buffer_store_dword v24, off, s[0:3], 0 offset:124 ; 4-byte Folded Spill
	buffer_store_dword v4, off, s[0:3], 0 offset:132 ; 4-byte Folded Spill
	s_waitcnt lgkmcnt(0)
	s_ashr_i32 s46, s6, 2
	s_ashr_i32 s44, s10, 2
	v_writelane_b32 v253, s12, 23
	v_writelane_b32 v253, s13, 24
	;; [unrolled: 1-line block ×4, first 2 shown]
	v_readlane_b32 s12, v253, 1
	s_abs_i32 s61, s12
	v_cvt_f32_u32_e32 v0, s61
	v_readlane_b32 s48, v253, 7
	s_mov_b32 s5, s7
	v_readlane_b32 s49, v253, 8
	v_rcp_iflag_f32_e32 v0, v0
	v_readlane_b32 s50, v253, 9
	v_readlane_b32 s51, v253, 10
	v_writelane_b32 v253, s4, 27
	v_mul_f32_e32 v0, 0x4f7ffffe, v0
	v_writelane_b32 v253, s5, 28
	s_mov_b64 s[4:5], s[8:9]
	s_mov_b32 s7, s11
	v_cvt_u32_f32_e32 v0, v0
	v_writelane_b32 v253, s4, 29
	v_writelane_b32 v253, s5, 30
	;; [unrolled: 1-line block ×4, first 2 shown]
	s_sub_i32 s6, 0, s61
	v_readfirstlane_b32 s7, v0
	s_mul_i32 s6, s6, s7
	s_ashr_i32 s5, s12, 31
	s_mul_hi_u32 s6, s7, s6
	v_writelane_b32 v253, s5, 33
	s_abs_i32 s5, s54
	s_add_i32 s62, s7, s6
	s_mul_hi_u32 s6, s5, s62
	s_mul_i32 s6, s6, s61
	s_sub_i32 s5, s5, s6
	s_ashr_i32 s67, s51, 3
	s_ashr_i32 s50, s53, 1
	;; [unrolled: 1-line block ×3, first 2 shown]
	s_sub_i32 s6, s5, s61
	s_cmp_ge_u32 s5, s61
	s_cselect_b32 s5, s6, s5
	s_sub_i32 s6, s5, s61
	s_cmp_ge_u32 s5, s61
	s_cselect_b32 s5, s6, s5
	s_xor_b32 s5, s5, s4
	s_sub_i32 s58, s5, s4
	v_readlane_b32 s4, v253, 19
	v_readlane_b32 s5, v253, 20
	v_writelane_b32 v253, s72, 34
	v_writelane_b32 v253, s73, 35
	;; [unrolled: 1-line block ×7, first 2 shown]
	s_mov_b32 s8, s4
	s_sub_i32 s4, s4, s54
	v_writelane_b32 v253, s79, 41
	s_add_i32 s6, s4, s58
	v_writelane_b32 v253, s80, 42
	s_min_i32 s24, s12, s6
	v_writelane_b32 v253, s81, 43
	s_cmp_gt_i32 s8, s54
	v_writelane_b32 v253, s82, 44
	s_cselect_b64 s[42:43], -1, 0
	s_cmp_le_i32 s8, s54
	v_writelane_b32 v253, s83, 45
	s_cselect_b64 s[4:5], -1, 0
	s_cmp_gt_i32 s12, s6
	v_writelane_b32 v253, s84, 46
	s_cselect_b64 s[6:7], -1, 0
	v_writelane_b32 v253, s85, 47
	s_or_b64 s[4:5], s[6:7], s[4:5]
	v_writelane_b32 v253, s86, 48
	s_and_b64 vcc, exec, s[4:5]
	v_writelane_b32 v253, s87, 49
	s_mov_b64 s[6:7], s[18:19]
	s_mov_b32 s5, s17
	v_writelane_b32 v253, s4, 50
	v_cvt_f16_f32_e32 v0, s16
	v_writelane_b32 v253, s5, 51
	v_writelane_b32 v253, s6, 52
	v_writelane_b32 v253, s7, 53
	v_writelane_b32 v253, s52, 54
	v_pack_b32_f16 v121, v0, v0
	v_writelane_b32 v253, s53, 55
	s_cbranch_vccnz .LBB19_366
; %bb.11:
	s_cmp_lg_u64 s[78:79], 0
	v_writelane_b32 v253, s24, 62
	s_cselect_b64 s[4:5], -1, 0
                                        ; implicit-def: $vgpr254 : SGPR spill to VGPR lane
	v_writelane_b32 v253, s4, 63
	v_writelane_b32 v254, s5, 0
	s_mul_i32 s4, s48, s49
	s_cmp_eq_u64 s[80:81], 0
	v_writelane_b32 v254, s4, 1
	s_cselect_b64 s[4:5], -1, 0
	v_writelane_b32 v254, s4, 2
	v_writelane_b32 v254, s5, 3
	v_cmp_nle_f32_e64 s[4:5], s17, 0
	v_and_b32_e32 v30, 0x3ff, v4
	v_writelane_b32 v254, s4, 4
	s_cmp_lg_u64 s[82:83], 0
	v_lshrrev_b32_e32 v0, 5, v30
	v_writelane_b32 v254, s5, 5
	s_cselect_b64 s[4:5], -1, 0
	v_lshl_add_u32 v123, v120, 1, v0
	v_lshrrev_b32_e32 v0, 4, v30
	v_writelane_b32 v254, s4, 6
	v_lshl_add_u32 v124, v120, 2, v0
	v_lshrrev_b32_e32 v0, 3, v30
	v_writelane_b32 v254, s5, 7
	v_and_b32_e32 v34, 15, v30
	v_lshl_add_u32 v125, v120, 3, v0
	s_movk_i32 s4, 0xf00
	v_lshlrev_b32_e32 v0, 2, v0
	v_mad_u32_u24 v1, v120, s4, 0
	v_mul_u32_u24_e32 v10, 0xf0, v34
	v_and_b32_e32 v11, 0x78, v0
	v_mul_i32_i24_e32 v2, 0xfffff190, v120
	v_lshlrev_b32_e32 v38, 1, v30
	v_add3_u32 v126, v1, v10, v11
	v_add3_u32 v127, v1, v2, v38
	v_lshrrev_b32_e32 v1, 1, v30
	v_lshlrev_b32_e32 v18, 2, v30
	s_movk_i32 s8, 0xf0
	v_lshl_add_u32 v158, v120, 5, v1
	v_and_b32_e32 v40, 4, v18
	v_mad_u32_u24 v1, v158, s8, 0
	v_lshlrev_b32_e32 v2, 2, v40
	s_movk_i32 s42, 0xc0
	v_add3_u32 v159, v1, v2, s42
	v_lshrrev_b32_e32 v1, 2, v30
	v_add_u32_e32 v160, v24, v1
	v_and_b32_e32 v163, 60, v1
	v_mad_u32_u24 v19, v160, s8, 0
	v_mad_u32_u24 v20, v125, s8, 0
	v_add3_u32 v162, 0, v10, v11
	v_or_b32_e32 v10, v24, v34
	s_movk_i32 s8, 0x90
	v_or_b32_e32 v175, 3, v1
	v_mul_u32_u24_e32 v1, 0x78, v163
	v_mad_u32_u24 v10, v10, s8, 0
	s_movk_i32 s8, 0x100
	v_or_b32_e32 v1, v1, v34
	v_cmp_gt_u32_e64 s[16:17], s8, v30
	v_lshlrev_b32_e32 v1, 1, v1
	s_add_i32 s8, 0, 0xf00
	v_add_u32_e32 v179, s8, v1
	s_add_i32 s8, 0, 0x1e00
	v_add_u32_e32 v180, s8, v1
	;; [unrolled: 2-line block ×24, first 2 shown]
	s_add_i32 s8, 0, 0x2dc0
	v_or_b32_e32 v0, 4, v0
	v_add_u32_e32 v205, s8, v1
	v_cmp_gt_u32_e64 s[8:9], 16, v30
	v_add_u32_e32 v165, v10, v0
	v_mul_u32_u24_e32 v0, 0xf0, v175
	v_lshlrev_b32_e32 v23, 1, v34
	v_and_b32_e32 v42, 12, v18
	v_writelane_b32 v254, s8, 8
	s_movk_i32 s33, 0x80
	v_add3_u32 v178, 0, v0, v23
	v_lshlrev_b32_e32 v0, 2, v42
	v_and_b32_e32 v44, 28, v18
	v_writelane_b32 v254, s9, 9
	v_readlane_b32 s8, v253, 16
	v_add_u32_e32 v21, 0x1e00, v20
	v_add3_u32 v206, v19, v0, s33
	v_lshlrev_b32_e32 v0, 2, v44
	s_lshl_b32 s70, s8, 6
	s_ashr_i32 s51, s50, 31
	s_ashr_i32 s47, s46, 31
	s_ashr_i32 s45, s44, 31
	v_add_u32_e32 v207, v20, v0
	v_add_u32_e32 v208, v21, v0
	s_lshl_b64 s[8:9], s[70:71], 3
	v_or_b32_e32 v0, v24, v30
	v_and_b32_e32 v36, 7, v30
	v_mul_u32_u24_e32 v22, 0xf0, v163
	s_add_u32 s8, s86, s8
	v_lshlrev_b32_e32 v0, 3, v0
	v_add3_u32 v177, 0, v22, v23
	v_add_co_u32_e32 v18, vcc, s8, v0
	s_mul_i32 s8, s49, 56
	v_lshlrev_b32_e32 v22, 2, v36
	v_writelane_b32 v254, s8, 10
	v_add_u32_e32 v219, 16, v123
	v_add_u32_e32 v229, v20, v22
	v_and_b32_e32 v20, 15, v123
	s_movk_i32 s8, 0x7f0
	v_and_b32_e32 v32, 31, v30
	s_addc_u32 s9, s87, s9
	v_add_u32_e32 v230, v21, v22
	v_and_or_b32 v21, v219, s8, v20
	v_mov_b32_e32 v0, s9
	v_mul_u32_u24_e32 v22, 60, v21
	v_mad_u32_u24 v21, v21, 60, v32
	v_addc_co_u32_e32 v19, vcc, 0, v0, vcc
	v_add_u32_e32 v221, 32, v123
	v_lshl_add_u32 v21, v21, 2, 0
	buffer_store_dword v18, off, s[0:3], 0 offset:28 ; 4-byte Folded Spill
	s_nop 0
	buffer_store_dword v19, off, s[0:3], 0 offset:32 ; 4-byte Folded Spill
	buffer_store_dword v21, off, s[0:3], 0 offset:112 ; 4-byte Folded Spill
	v_and_or_b32 v21, v221, s8, v20
	v_add_u32_e32 v223, 48, v123
	v_mul_u32_u24_e32 v23, 60, v21
	v_mad_u32_u24 v21, v21, 60, v32
	v_lshl_add_u32 v21, v21, 2, 0
	v_and_or_b32 v20, v223, s8, v20
	buffer_store_dword v21, off, s[0:3], 0 offset:144 ; 4-byte Folded Spill
	v_mul_u32_u24_e32 v21, 60, v20
	v_mad_u32_u24 v20, v20, 60, v32
	v_lshl_add_u32 v20, v20, 2, 0
	v_add_u32_e32 v176, 0, v1
	v_add3_u32 v182, 0, 32, v1
	v_add3_u32 v186, 0, 64, v1
	v_mul_u32_u24_e32 v1, 60, v123
	v_add_u32_e32 v226, 16, v124
	buffer_store_dword v20, off, s[0:3], 0 offset:156 ; 4-byte Folded Spill
	v_and_b32_e32 v20, 15, v124
	s_movk_i32 s8, 0xff0
	v_add_u32_e32 v0, v24, v30
	v_and_or_b32 v24, v226, s8, v20
	v_lshl_add_u32 v1, v1, 2, 0
	v_mul_u32_u24_e32 v25, 60, v24
	v_mad_u32_u24 v24, v24, 60, v34
	buffer_store_dword v1, off, s[0:3], 0 offset:20 ; 4-byte Folded Spill
	v_lshl_add_u32 v1, v22, 2, 0
	v_mad_u32_u24 v18, v123, 60, v32
	v_add_u32_e32 v227, 32, v124
	v_lshl_add_u32 v24, v24, 2, 0
	buffer_store_dword v1, off, s[0:3], 0 offset:136 ; 4-byte Folded Spill
	v_lshl_add_u32 v1, v23, 2, 0
	v_lshl_add_u32 v217, v18, 2, 0
	v_mul_u32_u24_e32 v18, 60, v124
	buffer_store_dword v24, off, s[0:3], 0 offset:36 ; 4-byte Folded Spill
	v_and_or_b32 v24, v227, s8, v20
	buffer_store_dword v1, off, s[0:3], 0 offset:152 ; 4-byte Folded Spill
	v_lshl_add_u32 v1, v21, 2, 0
	v_add_u32_e32 v228, 48, v124
	v_mul_u32_u24_e32 v26, 60, v24
	v_mad_u32_u24 v24, v24, 60, v34
	buffer_store_dword v1, off, s[0:3], 0 offset:160 ; 4-byte Folded Spill
	v_lshl_add_u32 v1, v18, 2, 0
	v_lshl_add_u32 v24, v24, 2, 0
	v_and_or_b32 v20, v228, s8, v20
	buffer_store_dword v1, off, s[0:3], 0 offset:40 ; 4-byte Folded Spill
	v_lshl_add_u32 v1, v25, 2, 0
	v_mad_u32_u24 v19, v124, 60, v34
	buffer_store_dword v24, off, s[0:3], 0 offset:116 ; 4-byte Folded Spill
	v_mul_u32_u24_e32 v24, 60, v20
	buffer_store_dword v1, off, s[0:3], 0 offset:120 ; 4-byte Folded Spill
	v_lshl_add_u32 v1, v26, 2, 0
	v_lshl_add_u32 v225, v19, 2, 0
	v_mul_u32_u24_e32 v19, 60, v125
	buffer_store_dword v1, off, s[0:3], 0 offset:140 ; 4-byte Folded Spill
	v_lshl_add_u32 v1, v24, 2, 0
	v_readlane_b32 s8, v253, 11
	buffer_store_dword v1, off, s[0:3], 0 offset:148 ; 4-byte Folded Spill
	v_lshl_add_u32 v1, v19, 2, 0
	s_ashr_i32 s9, s8, 31
	s_abs_i32 s8, s8
	buffer_store_dword v1, off, s[0:3], 0 offset:24 ; 4-byte Folded Spill
	v_cvt_f32_u32_e32 v1, s8
	v_writelane_b32 v254, s9, 11
	v_writelane_b32 v254, s8, 12
	s_sub_i32 s8, 0, s8
	v_rcp_iflag_f32_e32 v1, v1
	v_mul_lo_u32 v16, s44, v158
	v_ashrrev_i32_e32 v17, 31, v16
	v_lshlrev_b64 v[48:49], 2, v[16:17]
	v_mul_f32_e32 v1, 0x4f7ffffe, v1
	v_cvt_u32_f32_e32 v1, v1
	v_mul_lo_u32 v14, s44, v160
	v_ashrrev_i32_e32 v15, 31, v14
	v_lshlrev_b64 v[50:51], 2, v[14:15]
	v_readfirstlane_b32 s9, v1
	s_mul_i32 s8, s8, s9
	s_mul_hi_u32 s8, s9, s8
	s_add_i32 s8, s9, s8
	v_writelane_b32 v254, s8, 13
	v_readlane_b32 s8, v253, 6
	s_ashr_i32 s9, s8, 31
	s_abs_i32 s8, s8
	v_cvt_f32_u32_e32 v1, s8
	v_writelane_b32 v254, s9, 14
	v_writelane_b32 v254, s8, 15
	s_sub_i32 s8, 0, s8
	v_rcp_iflag_f32_e32 v1, v1
	v_mul_lo_u32 v12, s44, v125
	v_ashrrev_i32_e32 v13, 31, v12
	v_lshlrev_b64 v[52:53], 2, v[12:13]
	v_mul_f32_e32 v1, 0x4f7ffffe, v1
	v_cvt_u32_f32_e32 v1, v1
	v_add_u32_e32 v161, 32, v125
	v_add_u32_e32 v166, 16, v163
	;; [unrolled: 1-line block ×3, first 2 shown]
	v_readfirstlane_b32 s9, v1
	s_mul_i32 s8, s8, s9
	s_mul_hi_u32 s8, s9, s8
	s_add_i32 s8, s9, s8
	v_writelane_b32 v254, s8, 16
	v_readlane_b32 s8, v253, 3
	s_ashr_i32 s9, s8, 31
	s_abs_i32 s8, s8
	v_cvt_f32_u32_e32 v1, s8
	v_writelane_b32 v254, s9, 17
	v_writelane_b32 v254, s8, 18
	s_sub_i32 s8, 0, s8
	v_rcp_iflag_f32_e32 v1, v1
	v_add_u32_e32 v172, 48, v163
	v_lshl_add_u32 v164, v163, 1, v10
	v_lshl_add_u32 v167, v166, 1, v10
	v_mul_f32_e32 v1, 0x4f7ffffe, v1
	v_cvt_u32_f32_e32 v1, v1
	v_lshl_add_u32 v170, v169, 1, v10
	v_lshl_add_u32 v173, v172, 1, v10
	v_mul_lo_u32 v10, s44, v161
	v_readfirstlane_b32 s9, v1
	s_mul_i32 s8, s8, s9
	s_mul_hi_u32 s8, s9, s8
	s_add_i32 s8, s9, s8
	v_writelane_b32 v254, s8, 19
	s_abs_i32 s8, s52
	v_cvt_f32_u32_e32 v1, s8
	v_writelane_b32 v254, s8, 20
	s_sub_i32 s8, 0, s8
	v_ashrrev_i32_e32 v11, 31, v10
	v_rcp_iflag_f32_e32 v1, v1
	v_lshlrev_b64 v[54:55], 2, v[10:11]
	v_mul_lo_u32 v8, s46, v158
	v_ashrrev_i32_e32 v9, 31, v8
	v_mul_f32_e32 v1, 0x4f7ffffe, v1
	v_cvt_u32_f32_e32 v1, v1
	v_lshlrev_b64 v[56:57], 2, v[8:9]
	v_mov_b32_e32 v9, s75
	v_mul_lo_u32 v6, s46, v160
	v_mul_lo_u32 v18, s8, v1
	v_mul_hi_u32 v18, v1, v18
	v_add_u32_e32 v1, v1, v18
	buffer_store_dword v1, off, s[0:3], 0 offset:16 ; 4-byte Folded Spill
	v_and_b32_e32 v1, 1, v30
	v_lshlrev_b32_e32 v1, 4, v1
	v_add_co_u32_e32 v16, vcc, v1, v48
	v_addc_co_u32_e32 v17, vcc, 0, v49, vcc
	v_add_co_u32_e32 v16, vcc, s76, v16
	v_mov_b32_e32 v18, s77
	v_addc_co_u32_e32 v17, vcc, v17, v18, vcc
	v_add_co_u32_e32 v16, vcc, s42, v16
	buffer_store_dword v16, off, s[0:3], 0 offset:44 ; 4-byte Folded Spill
	v_addc_co_u32_e32 v16, vcc, 0, v17, vcc
	buffer_store_dword v16, off, s[0:3], 0 offset:48 ; 4-byte Folded Spill
	v_and_b32_e32 v16, 3, v30
	v_lshlrev_b32_e32 v16, 4, v16
	v_add_co_u32_e32 v14, vcc, v16, v50
	v_addc_co_u32_e32 v15, vcc, 0, v51, vcc
	v_add_co_u32_e32 v14, vcc, s76, v14
	v_mov_b32_e32 v17, s77
	v_addc_co_u32_e32 v15, vcc, v15, v17, vcc
	v_add_co_u32_e32 v14, vcc, s33, v14
	buffer_store_dword v14, off, s[0:3], 0 offset:52 ; 4-byte Folded Spill
	v_addc_co_u32_e32 v14, vcc, 0, v15, vcc
	buffer_store_dword v14, off, s[0:3], 0 offset:56 ; 4-byte Folded Spill
	v_lshlrev_b32_e32 v14, 4, v36
	v_add_co_u32_e32 v12, vcc, v14, v52
	v_addc_co_u32_e32 v13, vcc, 0, v53, vcc
	v_add_co_u32_e32 v12, vcc, s76, v12
	buffer_store_dword v12, off, s[0:3], 0 offset:60 ; 4-byte Folded Spill
	v_mov_b32_e32 v12, s77
	v_addc_co_u32_e32 v12, vcc, v12, v13, vcc
	v_add_co_u32_e32 v10, vcc, v14, v54
	v_addc_co_u32_e32 v11, vcc, 0, v55, vcc
	v_add_co_u32_e32 v10, vcc, s76, v10
	buffer_store_dword v10, off, s[0:3], 0 offset:68 ; 4-byte Folded Spill
	v_mov_b32_e32 v10, s77
	v_addc_co_u32_e32 v10, vcc, v10, v11, vcc
	v_add_co_u32_e32 v1, vcc, v1, v56
	v_addc_co_u32_e32 v8, vcc, 0, v57, vcc
	v_add_co_u32_e32 v1, vcc, s74, v1
	v_addc_co_u32_e32 v8, vcc, v8, v9, vcc
	v_ashrrev_i32_e32 v7, 31, v6
	v_add_co_u32_e32 v1, vcc, s42, v1
	buffer_store_dword v1, off, s[0:3], 0 offset:76 ; 4-byte Folded Spill
	v_addc_co_u32_e32 v1, vcc, 0, v8, vcc
	v_lshlrev_b64 v[58:59], 2, v[6:7]
	buffer_store_dword v1, off, s[0:3], 0 offset:80 ; 4-byte Folded Spill
	v_add_co_u32_e32 v1, vcc, v16, v58
	v_addc_co_u32_e32 v6, vcc, 0, v59, vcc
	v_add_co_u32_e32 v1, vcc, s74, v1
	v_mov_b32_e32 v7, s75
	v_mul_lo_u32 v4, s46, v125
	v_addc_co_u32_e32 v6, vcc, v6, v7, vcc
	v_ashrrev_i32_e32 v5, 31, v4
	v_add_co_u32_e32 v1, vcc, s33, v1
	v_writelane_b32 v253, s44, 60
	buffer_store_dword v1, off, s[0:3], 0 offset:84 ; 4-byte Folded Spill
	v_addc_co_u32_e32 v1, vcc, 0, v6, vcc
	v_lshlrev_b64 v[60:61], 2, v[4:5]
	v_writelane_b32 v253, s45, 61
	buffer_store_dword v1, off, s[0:3], 0 offset:88 ; 4-byte Folded Spill
	v_add_co_u32_e32 v1, vcc, v14, v60
	v_lshl_add_u32 v2, s46, 5, v4
	v_writelane_b32 v253, s46, 58
	v_addc_co_u32_e32 v4, vcc, 0, v61, vcc
	v_cmp_gt_u32_e64 s[18:19], s42, v30
	v_writelane_b32 v253, s47, 59
	v_add_co_u32_e32 v1, vcc, s74, v1
	s_mov_b32 s42, s50
	v_ashrrev_i32_e32 v3, 31, v2
	buffer_store_dword v1, off, s[0:3], 0 offset:92 ; 4-byte Folded Spill
	v_mov_b32_e32 v1, s75
	v_writelane_b32 v253, s42, 56
	v_addc_co_u32_e32 v1, vcc, v1, v4, vcc
	v_lshlrev_b64 v[62:63], 2, v[2:3]
	v_writelane_b32 v253, s43, 57
	s_lshl_b64 s[42:43], s[50:51], 1
	buffer_store_dword v1, off, s[0:3], 0 offset:96 ; 4-byte Folded Spill
	v_add_co_u32_e32 v1, vcc, v14, v62
	v_writelane_b32 v254, s42, 21
	v_mul_u32_u24_e32 v0, 0xf0, v0
	v_addc_co_u32_e32 v2, vcc, 0, v63, vcc
	v_writelane_b32 v254, s43, 22
	v_add_co_u32_e32 v1, vcc, s74, v1
	v_add_u32_e32 v0, 0, v0
	v_writelane_b32 v254, s61, 23
	s_mov_b64 s[68:69], src_private_base
	v_mad_u32_u24 v20, v20, 60, v34
	buffer_store_dword v1, off, s[0:3], 0 offset:100 ; 4-byte Folded Spill
	v_mov_b32_e32 v1, s75
	buffer_store_dword v0, off, s[0:3], 0 offset:108 ; 4-byte Folded Spill
	v_mbcnt_lo_u32_b32 v0, -1, 0
	v_writelane_b32 v254, s62, 24
	v_mov_b32_e32 v122, 0
	v_cmp_gt_u32_e64 s[4:5], 64, v30
	v_cmp_lt_u32_e64 s[6:7], 63, v30
	v_add_u32_e32 v129, 0x240, v127
	v_add_u32_e32 v131, 0x480, v127
	;; [unrolled: 1-line block ×20, first 2 shown]
	s_mov_b32 s68, 0
	v_cmp_gt_u32_e64 s[64:65], 64, v158
	v_cmp_gt_u32_e64 s[10:11], 64, v160
	v_cmp_gt_u32_e64 s[12:13], 64, v125
	v_cmp_gt_u32_e64 s[14:15], 32, v125
	v_add_u32_e32 v168, 18, v163
	v_add_u32_e32 v171, 34, v163
	;; [unrolled: 1-line block ×3, first 2 shown]
	v_cmp_gt_u32_e64 s[20:21], 47, v163
	v_cmp_gt_u32_e64 s[22:23], 46, v163
	;; [unrolled: 1-line block ×10, first 2 shown]
	v_or_b32_e32 v209, 1, v163
	v_or_b32_e32 v132, 2, v163
	v_add_u32_e32 v134, 17, v163
	v_add_u32_e32 v136, 19, v163
	;; [unrolled: 1-line block ×10, first 2 shown]
	v_lshl_add_u32 v20, v20, 2, 0
	s_lshl_b64 s[8:9], s[44:45], 8
	s_lshl_b64 s[52:53], s[46:47], 8
	v_addc_co_u32_e32 v1, vcc, v1, v2, vcc
	s_mov_b32 s49, 0x42b17218
	s_mov_b32 s48, 0x3fb8aa3b
	;; [unrolled: 1-line block ×5, first 2 shown]
	v_mov_b32_e32 v45, 0x7f800000
	v_mov_b32_e32 v234, 0x7fc00000
	v_mbcnt_hi_u32_b32 v245, -1, v0
	v_writelane_b32 v254, s67, 25
	buffer_store_dword v20, off, s[0:3], 0 offset:128 ; 4-byte Folded Spill
	buffer_store_dword v12, off, s[0:3], 0 offset:64 ; 4-byte Folded Spill
	;; [unrolled: 1-line block ×4, first 2 shown]
	s_branch .LBB19_13
.LBB19_12:                              ;   in Loop: Header=BB19_13 Depth=1
	s_or_b64 exec, exec, s[42:43]
	v_readlane_b32 s46, v253, 1
	v_readlane_b32 s42, v254, 26
	s_add_i32 s42, s42, s46
	s_abs_i32 s44, s42
	s_mul_hi_u32 s45, s44, s62
	s_mul_i32 s45, s45, s61
	v_readlane_b32 s43, v254, 27
	s_sub_i32 s44, s44, s45
	s_ashr_i32 s43, s42, 31
	s_sub_i32 s45, s44, s61
	s_cmp_ge_u32 s44, s61
	s_cselect_b32 s44, s45, s44
	s_sub_i32 s45, s44, s61
	s_cmp_ge_u32 s44, s61
	s_cselect_b32 s44, s45, s44
	s_xor_b32 s44, s44, s43
	s_sub_i32 s43, s43, s44
	s_add_i32 s54, s42, s43
	v_readlane_b32 s42, v253, 19
	v_readlane_b32 s43, v253, 20
	s_sub_i32 s44, s42, s54
	s_min_i32 s43, s46, s44
	s_cmp_gt_i32 s42, s54
	v_writelane_b32 v253, s43, 62
	s_cselect_b64 s[42:43], -1, 0
	s_cmp_le_i32 s46, s44
	s_cselect_b64 s[44:45], -1, 0
	s_and_b64 s[44:45], s[44:45], s[42:43]
	s_mov_b32 s58, 0
	s_and_b64 vcc, exec, s[44:45]
	s_cbranch_vccz .LBB19_368
.LBB19_13:                              ; =>This Loop Header: Depth=1
                                        ;     Child Loop BB19_80 Depth 2
                                        ;     Child Loop BB19_262 Depth 2
	s_ashr_i32 s42, s54, 31
	v_readlane_b32 s43, v254, 11
	s_xor_b32 s42, s42, s43
	s_abs_i32 s43, s54
	v_readlane_b32 s44, v254, 13
	s_mul_hi_u32 s44, s43, s44
	v_readlane_b32 s47, v254, 12
	s_mul_i32 s45, s44, s47
	s_sub_i32 s43, s43, s45
	s_add_i32 s45, s44, 1
	s_sub_i32 s46, s43, s47
	s_cmp_ge_u32 s43, s47
	s_cselect_b32 s44, s45, s44
	s_cselect_b32 s43, s46, s43
	s_add_i32 s45, s44, 1
	s_cmp_ge_u32 s43, s47
	s_cselect_b32 s43, s45, s44
	s_xor_b32 s43, s43, s42
	s_sub_i32 s56, s43, s42
	v_readlane_b32 s42, v253, 63
	v_readlane_b32 s43, v254, 0
	s_andn2_b64 vcc, exec, s[42:43]
	s_ashr_i32 s57, s56, 31
	s_cbranch_vccnz .LBB19_15
; %bb.14:                               ;   in Loop: Header=BB19_13 Depth=1
	buffer_load_dword v0, off, s[0:3], 0 offset:16 ; 4-byte Folded Reload
	s_abs_i32 s42, s56
	v_readlane_b32 s43, v254, 20
	v_readlane_b32 s72, v253, 34
	;; [unrolled: 1-line block ×17, first 2 shown]
	s_waitcnt vmcnt(0)
	v_mul_hi_u32 v0, s42, v0
	v_mul_lo_u32 v0, v0, s43
	v_sub_u32_e32 v0, s42, v0
	v_subrev_u32_e32 v1, s43, v0
	v_cmp_le_u32_e32 vcc, s43, v0
	v_cndmask_b32_e32 v0, v0, v1, vcc
	v_subrev_u32_e32 v1, s43, v0
	v_cmp_le_u32_e32 vcc, s43, v0
	v_cndmask_b32_e32 v0, v0, v1, vcc
	v_xor_b32_e32 v0, s57, v0
	v_readlane_b32 s42, v253, 25
	v_subrev_u32_e32 v0, s57, v0
	v_readlane_b32 s43, v253, 26
	v_ashrrev_i32_e32 v1, 31, v0
	v_mul_lo_u32 v2, v0, s43
	v_mul_hi_u32 v3, v0, s42
	v_add_u32_e32 v2, v3, v2
	v_mul_lo_u32 v1, v1, s42
	v_mul_lo_u32 v0, v0, s42
	v_add_u32_e32 v1, v2, v1
	v_mov_b32_e32 v2, s79
	v_add_co_u32_e32 v66, vcc, s78, v0
	v_addc_co_u32_e32 v67, vcc, v2, v1, vcc
	s_branch .LBB19_16
.LBB19_15:                              ;   in Loop: Header=BB19_13 Depth=1
	v_pk_mov_b32 v[66:67], 0, 0
.LBB19_16:                              ;   in Loop: Header=BB19_13 Depth=1
	v_readlane_b32 s42, v253, 11
	s_mov_b32 s44, s54
	s_mul_i32 s42, s56, s42
	v_writelane_b32 v254, s44, 26
	v_writelane_b32 v254, s45, 27
	s_sub_i32 s42, s54, s42
	s_ashr_i32 s43, s42, 31
	v_readlane_b32 s44, v254, 14
	s_xor_b32 s43, s43, s44
	s_abs_i32 s44, s42
	v_readlane_b32 s45, v254, 16
	s_mul_hi_u32 s45, s44, s45
	v_readlane_b32 s54, v254, 15
	s_mul_i32 s46, s45, s54
	s_sub_i32 s44, s44, s46
	s_add_i32 s46, s45, 1
	s_sub_i32 s47, s44, s54
	s_cmp_ge_u32 s44, s54
	s_cselect_b32 s45, s46, s45
	s_cselect_b32 s44, s47, s44
	s_add_i32 s46, s45, 1
	s_cmp_ge_u32 s44, s54
	s_cselect_b32 s44, s46, s45
	s_xor_b32 s44, s44, s43
	s_sub_i32 s59, s44, s43
	v_readlane_b32 s43, v253, 6
	s_mul_i32 s43, s59, s43
	s_sub_i32 s55, s42, s43
	s_ashr_i32 s42, s55, 31
	v_readlane_b32 s43, v254, 17
	s_xor_b32 s42, s42, s43
	s_abs_i32 s43, s55
	v_readlane_b32 s44, v254, 19
	s_mul_hi_u32 s44, s43, s44
	v_readlane_b32 s47, v254, 18
	s_mul_i32 s45, s44, s47
	s_sub_i32 s43, s43, s45
	s_add_i32 s45, s44, 1
	s_sub_i32 s46, s43, s47
	s_cmp_ge_u32 s43, s47
	s_cselect_b32 s44, s45, s44
	s_cselect_b32 s43, s46, s43
	s_add_i32 s45, s44, 1
	s_cmp_ge_u32 s43, s47
	s_cselect_b32 s43, s45, s44
	s_xor_b32 s43, s43, s42
	s_sub_i32 s60, s43, s42
	v_readlane_b32 s42, v253, 2
	s_mul_i32 s42, s59, s42
	s_add_i32 s54, s42, s60
	v_readlane_b32 s42, v254, 4
	v_readlane_b32 s43, v254, 5
	s_andn2_b64 vcc, exec, s[42:43]
	v_mov_b32_e32 v64, 1.0
	s_cbranch_vccnz .LBB19_18
; %bb.17:                               ;   in Loop: Header=BB19_13 Depth=1
	v_readlane_b32 s43, v253, 22
	s_sub_i32 s42, s54, s43
	s_lshl_b32 s42, s42, 1
	s_add_i32 s44, s54, 1
	s_or_b32 s45, s42, 1
	s_cmp_lt_u32 s54, s43
	v_readlane_b32 s72, v253, 50
	s_cselect_b64 vcc, -1, 0
	v_readlane_b32 s74, v253, 52
	v_readlane_b32 s75, v253, 53
	s_and_b64 s[42:43], vcc, exec
	v_mov_b32_e32 v0, s75
	v_mov_b32_e32 v1, s74
	s_cselect_b32 s42, s44, s45
	v_cndmask_b32_e32 v16, v0, v1, vcc
	v_cvt_f32_i32_e32 v0, s42
	v_cmp_neq_f32_e32 vcc, 1.0, v16
	s_mov_b32 s42, 0x3f2aaaab
	s_movk_i32 s44, 0x204
	v_cndmask_b32_e32 v17, 1.0, v0, vcc
	v_cmp_eq_f32_e32 vcc, 0, v17
	v_cndmask_b32_e64 v18, |v16|, 1.0, vcc
	v_frexp_mant_f32_e32 v0, v18
	v_cmp_gt_f32_e64 s[42:43], s42, v0
	v_cndmask_b32_e64 v1, 1.0, 2.0, s[42:43]
	v_mul_f32_e32 v0, v0, v1
	v_add_f32_e32 v3, 1.0, v0
	v_rcp_f32_e32 v8, v3
	v_add_f32_e32 v1, -1.0, v3
	v_sub_f32_e32 v5, v0, v1
	v_add_f32_e32 v1, -1.0, v0
	v_mul_f32_e32 v9, v1, v8
	v_mul_f32_e32 v2, v3, v9
	v_fma_f32 v4, v9, v3, -v2
	v_fmac_f32_e32 v4, v9, v5
	v_add_f32_e32 v0, v2, v4
	v_sub_f32_e32 v3, v1, v0
	v_pk_add_f32 v[6:7], v[0:1], v[2:3] neg_lo:[0,1] neg_hi:[0,1]
	v_mov_b32_e32 v5, v0
	v_pk_add_f32 v[0:1], v[6:7], v[4:5] neg_lo:[0,1] neg_hi:[0,1]
	v_add_f32_e32 v0, v0, v1
	v_add_f32_e32 v0, v3, v0
	v_mul_f32_e32 v1, v8, v0
	v_add_f32_e32 v0, v9, v1
	v_sub_f32_e32 v2, v0, v9
	v_sub_f32_e32 v10, v1, v2
	v_mul_f32_e32 v1, v0, v0
	v_fma_f32 v3, v0, v0, -v1
	v_add_f32_e32 v2, v10, v10
	v_fmac_f32_e32 v3, v0, v2
	v_add_f32_e32 v2, v1, v3
	v_mov_b32_e32 v4, 0x3e91f4c4
	v_fmac_f32_e32 v4, 0x3e76c4e1, v2
	v_mov_b32_e32 v5, 0x3ecccdef
	v_fma_f32 v4, v2, v4, v5
	v_sub_f32_e32 v1, v2, v1
	v_sub_f32_e32 v11, v3, v1
	v_mul_f32_e32 v1, v2, v4
	v_fma_f32 v3, v2, v4, -v1
	v_fmac_f32_e32 v3, v11, v4
	v_add_f32_e32 v4, v1, v3
	v_add_f32_e32 v5, 0x3f2aaaaa, v4
	v_sub_f32_e32 v1, v4, v1
	v_sub_f32_e32 v1, v3, v1
	v_add_f32_e32 v3, 0xbf2aaaaa, v5
	v_add_f32_e32 v1, 0x31739010, v1
	v_sub_f32_e32 v3, v4, v3
	v_pk_mul_f32 v[6:7], v[0:1], v[2:3]
	v_fma_f32 v4, v2, v0, -v6
	v_pk_add_f32 v[8:9], v[0:1], v[2:3]
	v_fmac_f32_e32 v4, v2, v10
	v_mov_b32_e32 v7, v9
	v_fmac_f32_e32 v4, v11, v0
	v_pk_add_f32 v[2:3], v[6:7], v[4:5]
	v_sub_f32_e32 v1, v2, v6
	v_sub_f32_e32 v1, v4, v1
	;; [unrolled: 1-line block ×3, first 2 shown]
	v_add_f32_e32 v8, v9, v4
	v_mov_b32_e32 v4, v3
	v_pk_mul_f32 v[4:5], v[2:3], v[4:5]
	v_cvt_f64_f32_e32 v[6:7], v18
	v_frexp_exp_i32_f64_e32 v5, v[6:7]
	v_subbrev_co_u32_e64 v5, s[42:43], 0, v5, s[42:43]
	v_cvt_f32_i32_e32 v5, v5
	v_fma_f32 v6, v2, v3, -v4
	v_fmac_f32_e32 v6, v2, v8
	s_mov_b32 s42, 0x3f317218
	v_mul_f32_e32 v2, 0x3f317218, v5
	v_fmac_f32_e32 v6, v1, v3
	v_fma_f32 v8, v5, s42, -v2
	v_fmac_f32_e32 v8, 0xb102e308, v5
	v_ldexp_f32 v9, v0, 1
	v_add_f32_e32 v3, v4, v6
	v_pk_add_f32 v[0:1], v[2:3], v[8:9]
	v_ldexp_f32 v12, v10, 1
	v_mov_b32_e32 v10, v3
	v_mov_b32_e32 v11, v1
	;; [unrolled: 1-line block ×3, first 2 shown]
	v_pk_add_f32 v[4:5], v[10:11], v[4:5] neg_lo:[0,1] neg_hi:[0,1]
	v_mov_b32_e32 v7, v3
	v_pk_add_f32 v[4:5], v[6:7], v[4:5] neg_lo:[0,1] neg_hi:[0,1]
	v_add_f32_e32 v3, v12, v4
	v_add_f32_e32 v3, v3, v5
	v_pk_add_f32 v[4:5], v[0:1], v[2:3] neg_lo:[0,1] neg_hi:[0,1]
	v_pk_add_f32 v[6:7], v[0:1], v[2:3]
	v_mov_b32_e32 v10, v4
	v_mov_b32_e32 v11, v7
	;; [unrolled: 1-line block ×3, first 2 shown]
	v_pk_add_f32 v[10:11], v[8:9], v[10:11]
	v_mov_b32_e32 v2, v11
	v_pk_add_f32 v[12:13], v[2:3], v[0:1] neg_lo:[0,1] neg_hi:[0,1]
	v_mov_b32_e32 v13, v12
	v_mov_b32_e32 v10, v7
	;; [unrolled: 1-line block ×4, first 2 shown]
	v_pk_add_f32 v[4:5], v[8:9], v[4:5] neg_lo:[0,1] neg_hi:[0,1]
	v_pk_add_f32 v[14:15], v[6:7], v[12:13] neg_lo:[0,1] neg_hi:[0,1]
	;; [unrolled: 1-line block ×3, first 2 shown]
	v_mov_b32_e32 v8, v3
	v_pk_add_f32 v[0:1], v[8:9], v[0:1] neg_lo:[0,1] neg_hi:[0,1]
	v_mov_b32_e32 v14, v4
	v_pk_add_f32 v[6:7], v[14:15], v[0:1]
	v_mov_b32_e32 v8, v7
	v_pk_add_f32 v[8:9], v[6:7], v[8:9]
	v_pk_add_f32 v[2:3], v[2:3], v[8:9]
	v_mov_b32_e32 v5, v11
	v_mov_b32_e32 v7, v2
	v_pk_add_f32 v[10:11], v[6:7], v[4:5] neg_lo:[0,1] neg_hi:[0,1]
	v_mov_b32_e32 v1, v8
	v_sub_f32_e32 v3, v6, v10
	v_pk_add_f32 v[0:1], v[0:1], v[10:11] neg_lo:[0,1] neg_hi:[0,1]
	v_sub_f32_e32 v3, v4, v3
	v_add_f32_e32 v0, v0, v3
	v_add_f32_e32 v0, v0, v1
	;; [unrolled: 1-line block ×3, first 2 shown]
	v_sub_f32_e32 v2, v1, v2
	v_sub_f32_e32 v0, v0, v2
	v_mul_f32_e32 v2, v17, v1
	v_fma_f32 v1, v17, v1, -v2
	v_fmac_f32_e32 v1, v17, v0
	v_add_f32_e32 v0, v2, v1
	v_cmp_class_f32_e64 s[42:43], v2, s44
	v_sub_f32_e32 v3, v0, v2
	v_cndmask_b32_e64 v0, v0, v2, s[42:43]
	v_cmp_eq_f32_e64 s[42:43], s49, v0
	v_mov_b32_e32 v2, 0x37000000
	v_cndmask_b32_e64 v2, 0, v2, s[42:43]
	v_sub_f32_e32 v1, v1, v3
	v_sub_f32_e32 v3, v0, v2
	v_mul_f32_e32 v4, 0x3fb8aa3b, v3
	v_fma_f32 v5, v3, s48, -v4
	v_rndne_f32_e32 v6, v4
	v_fmac_f32_e32 v5, 0x32a5705f, v3
	v_sub_f32_e32 v4, v4, v6
	v_add_f32_e32 v4, v4, v5
	v_exp_f32_e32 v4, v4
	v_cvt_i32_f32_e32 v5, v6
	s_mov_b32 s45, 0x7f800000
	v_cmp_neq_f32_e64 s[42:43], |v0|, s45
	v_cndmask_b32_e64 v0, 0, v1, s[42:43]
	v_ldexp_f32 v1, v4, v5
	v_cmp_ngt_f32_e64 s[42:43], s50, v3
	v_cndmask_b32_e64 v1, 0, v1, s[42:43]
	v_cmp_nlt_f32_e64 s[42:43], s49, v3
	v_add_f32_e32 v0, v2, v0
	v_cndmask_b32_e64 v1, v45, v1, s[42:43]
	v_fma_f32 v0, v1, v0, v1
	v_cmp_class_f32_e64 s[42:43], v1, s44
	v_trunc_f32_e32 v2, v17
	v_cndmask_b32_e64 v0, v0, v1, s[42:43]
	v_cndmask_b32_e64 v1, v16, 1.0, vcc
	v_cmp_eq_f32_e32 vcc, v2, v17
	v_mul_f32_e32 v2, 0.5, v17
	v_trunc_f32_e32 v3, v2
	v_cmp_neq_f32_e64 s[42:43], v3, v2
	s_and_b64 s[42:43], vcc, s[42:43]
	v_cndmask_b32_e64 v2, 1.0, v1, s[42:43]
	s_brev_b32 s63, -2
	v_bfi_b32 v0, s63, v0, v2
	v_cndmask_b32_e32 v2, v234, v0, vcc
	v_cmp_gt_f32_e32 vcc, 0, v1
	v_cndmask_b32_e32 v0, v0, v2, vcc
	v_cmp_eq_f32_e32 vcc, s45, v18
	v_cmp_eq_f32_e64 s[44:45], 0, v1
	v_cmp_gt_f32_e64 s[46:47], 0, v17
	s_xor_b64 s[46:47], s[46:47], s[44:45]
	v_cndmask_b32_e64 v2, v45, 0, s[46:47]
	v_cndmask_b32_e64 v3, 0, v1, s[42:43]
	v_bfi_b32 v2, s63, v2, v3
	s_or_b64 vcc, vcc, s[44:45]
	v_cndmask_b32_e32 v0, v0, v2, vcc
	v_cmp_o_f32_e32 vcc, v1, v1
	v_cndmask_b32_e32 v64, v234, v0, vcc
	v_readlane_b32 s73, v253, 51
.LBB19_18:                              ;   in Loop: Header=BB19_13 Depth=1
	v_readlane_b32 s42, v253, 3
	s_mul_i32 s60, s60, s42
	s_sub_i32 s42, s55, s60
	s_ashr_i32 s43, s42, 31
	v_readlane_b32 s44, v253, 33
	s_abs_i32 s42, s42
	s_xor_b32 s43, s43, s44
	s_mul_hi_u32 s44, s42, s62
	s_mul_i32 s45, s44, s61
	s_sub_i32 s42, s42, s45
	s_add_i32 s45, s44, 1
	s_sub_i32 s46, s42, s61
	s_cmp_ge_u32 s42, s61
	s_cselect_b32 s44, s45, s44
	s_cselect_b32 s42, s46, s42
	s_add_i32 s45, s44, 1
	s_cmp_ge_u32 s42, s61
	s_cselect_b32 s42, s45, s44
	v_readlane_b32 s44, v254, 6
	s_xor_b32 s42, s42, s43
	v_readlane_b32 s45, v254, 7
	s_andn2_b64 vcc, exec, s[44:45]
	s_sub_i32 s62, s42, s43
	s_cbranch_vccnz .LBB19_20
; %bb.19:                               ;   in Loop: Header=BB19_13 Depth=1
	v_readlane_b32 s42, v253, 0
	s_mul_i32 s42, s56, s42
	s_add_i32 s42, s62, s42
	s_ashr_i32 s43, s42, 31
	v_readlane_b32 s72, v253, 34
	s_lshl_b64 s[42:43], s[42:43], 2
	v_readlane_b32 s82, v253, 44
	v_readlane_b32 s83, v253, 45
	s_add_u32 s42, s82, s42
	s_addc_u32 s43, s83, s43
	global_load_dword v0, v122, s[42:43]
	v_readlane_b32 s73, v253, 35
	v_readlane_b32 s74, v253, 36
	;; [unrolled: 1-line block ×13, first 2 shown]
	s_waitcnt vmcnt(0)
	v_readfirstlane_b32 s42, v0
	s_ashr_i32 s43, s42, 31
	s_lshr_b32 s43, s43, 26
	s_add_i32 s42, s42, s43
	s_ashr_i32 s42, s42, 6
	v_readlane_b32 s43, v253, 62
	s_min_i32 s43, s43, s42
	v_writelane_b32 v253, s43, 62
	s_branch .LBB19_21
.LBB19_20:                              ;   in Loop: Header=BB19_13 Depth=1
	v_readlane_b32 s72, v253, 34
	v_readlane_b32 s73, v253, 35
	;; [unrolled: 1-line block ×16, first 2 shown]
.LBB19_21:                              ;   in Loop: Header=BB19_13 Depth=1
	v_readlane_b32 s42, v254, 1
	s_mul_i32 s42, s42, s56
	s_add_i32 s42, s54, s42
	s_mul_i32 s70, s42, 56
	s_lshl_b64 s[42:43], s[70:71], 3
	s_add_u32 s42, s84, s42
	v_readlane_b32 s44, v253, 23
	v_writelane_b32 v254, s42, 28
	s_addc_u32 s42, s85, s43
	v_readlane_b32 s45, v253, 24
	v_writelane_b32 v254, s42, 29
	s_mul_i32 s42, s56, s45
	s_mul_hi_u32 s43, s56, s44
	s_add_i32 s42, s43, s42
	s_mul_i32 s43, s57, s44
	s_add_i32 s43, s42, s43
	s_mul_i32 s42, s56, s44
	v_readlane_b32 s44, v253, 29
	v_readlane_b32 s47, v253, 32
	v_writelane_b32 v254, s42, 30
	s_add_u32 s42, s76, s42
	v_readlane_b32 s46, v253, 31
	s_mul_i32 s70, s59, s47
	v_writelane_b32 v254, s43, 31
	s_addc_u32 s43, s77, s43
	s_ashr_i32 s46, s70, 31
	s_add_u32 s42, s42, s70
	v_writelane_b32 v254, s42, 32
	s_addc_u32 s42, s43, s46
	s_ashr_i32 s55, s54, 31
	v_readlane_b32 s45, v253, 30
	v_writelane_b32 v254, s42, 33
	s_lshl_b64 s[42:43], s[54:55], 2
	s_mov_b64 s[60:61], s[44:45]
	s_add_u32 s44, s80, s42
	s_addc_u32 s45, s81, s43
	v_readlane_b32 s42, v254, 2
	v_readlane_b32 s43, v254, 3
	s_and_b64 s[42:43], s[42:43], exec
	s_cselect_b32 s77, 0, s45
	s_cselect_b32 s76, 0, s44
	v_readlane_b32 s44, v253, 14
	v_readlane_b32 s45, v253, 15
	s_mul_i32 s42, s56, s45
	s_ashr_i32 s43, s42, 31
	s_add_u32 s42, s72, s42
	s_mul_i32 s44, s54, s44
	s_addc_u32 s43, s73, s43
	s_ashr_i32 s45, s44, 31
	s_add_u32 s42, s42, s44
	v_writelane_b32 v254, s42, 34
	s_addc_u32 s42, s43, s45
	v_writelane_b32 v254, s42, 35
	s_mul_i32 s42, s56, s61
	s_mul_hi_u32 s43, s56, s60
	s_add_i32 s42, s43, s42
	s_mul_i32 s57, s57, s60
	v_readlane_b32 s44, v253, 27
	s_add_i32 s43, s42, s57
	s_mul_i32 s42, s56, s60
	v_readlane_b32 s45, v253, 28
	v_writelane_b32 v254, s42, 36
	s_add_u32 s42, s74, s42
	s_mul_i32 s47, s59, s45
	v_writelane_b32 v254, s43, 37
	s_addc_u32 s43, s75, s43
	s_ashr_i32 s66, s47, 31
	s_add_u32 s42, s42, s47
	v_writelane_b32 v254, s42, 38
	s_addc_u32 s42, s43, s66
	v_writelane_b32 v254, s42, 39
	v_writelane_b32 v254, s76, 40
	;; [unrolled: 1-line block ×3, first 2 shown]
	s_cmp_lg_u32 s58, 0
	v_writelane_b32 v254, s62, 42
                                        ; implicit-def: $vgpr255 : SGPR spill to VGPR lane
	s_cbranch_scc0 .LBB19_98
; %bb.22:                               ;   in Loop: Header=BB19_13 Depth=1
	s_lshl_b32 s59, s62, 6
	v_readlane_b32 s60, v253, 7
	v_add_u32_e32 v108, s59, v123
	s_mov_b32 s44, s60
	v_cmp_gt_i32_e64 s[42:43], s44, v108
	v_writelane_b32 v255, s42, 7
	v_writelane_b32 v255, s43, 8
	v_cmp_le_i32_e32 vcc, s44, v108
	v_readlane_b32 s61, v253, 8
	v_readlane_b32 s62, v253, 9
	;; [unrolled: 1-line block ×3, first 2 shown]
	s_and_saveexec_b64 s[42:43], vcc
	s_xor_b64 s[42:43], exec, s[42:43]
	s_cbranch_execz .LBB19_24
; %bb.23:                               ;   in Loop: Header=BB19_13 Depth=1
	ds_write_b32 v217, v122
.LBB19_24:                              ;   in Loop: Header=BB19_13 Depth=1
	s_or_saveexec_b64 s[42:43], s[42:43]
	v_readlane_b32 s57, v254, 32
	v_readlane_b32 s78, v254, 33
	s_xor_b64 exec, exec, s[42:43]
	s_cbranch_execz .LBB19_26
; %bb.25:                               ;   in Loop: Header=BB19_13 Depth=1
	v_mad_u64_u32 v[0:1], s[44:45], v108, s67, v[32:33]
	v_ashrrev_i32_e32 v1, 31, v0
	v_readlane_b32 s44, v254, 35
	v_lshlrev_b64 v[0:1], 3, v[0:1]
	v_mov_b32_e32 v2, s44
	v_readlane_b32 s44, v254, 34
	v_add_co_u32_e32 v0, vcc, s44, v0
	v_addc_co_u32_e32 v1, vcc, v2, v1, vcc
	global_load_dwordx2 v[0:1], v[0:1], off
	s_waitcnt vmcnt(0)
	v_cvt_f16_f32_e32 v0, v0
	v_cvt_f16_f32_e32 v1, v1
	v_pack_b32_f16 v0, v0, v1
	v_pk_mul_f16 v0, v121, v0
	ds_write_b32 v217, v0
.LBB19_26:                              ;   in Loop: Header=BB19_13 Depth=1
	s_or_b64 exec, exec, s[42:43]
	v_readlane_b32 s60, v253, 7
	v_add_u32_e32 v107, s59, v218
	s_mov_b32 s44, s60
	v_cmp_gt_i32_e64 s[42:43], s44, v107
	v_writelane_b32 v255, s42, 9
	v_writelane_b32 v255, s43, 10
	v_cmp_le_i32_e32 vcc, s44, v107
	v_readlane_b32 s61, v253, 8
	v_readlane_b32 s62, v253, 9
	v_readlane_b32 s63, v253, 10
	s_and_saveexec_b64 s[42:43], vcc
	s_xor_b64 s[42:43], exec, s[42:43]
	s_cbranch_execz .LBB19_28
; %bb.27:                               ;   in Loop: Header=BB19_13 Depth=1
	ds_write_b32 v217, v122 offset:1920
.LBB19_28:                              ;   in Loop: Header=BB19_13 Depth=1
	s_andn2_saveexec_b64 s[42:43], s[42:43]
	s_cbranch_execz .LBB19_30
; %bb.29:                               ;   in Loop: Header=BB19_13 Depth=1
	v_mad_u64_u32 v[0:1], s[44:45], v107, s67, v[32:33]
	v_ashrrev_i32_e32 v1, 31, v0
	v_readlane_b32 s44, v254, 35
	v_lshlrev_b64 v[0:1], 3, v[0:1]
	v_mov_b32_e32 v2, s44
	v_readlane_b32 s44, v254, 34
	v_add_co_u32_e32 v0, vcc, s44, v0
	v_addc_co_u32_e32 v1, vcc, v2, v1, vcc
	global_load_dwordx2 v[0:1], v[0:1], off
	s_waitcnt vmcnt(0)
	v_cvt_f16_f32_e32 v0, v0
	v_cvt_f16_f32_e32 v1, v1
	v_pack_b32_f16 v0, v0, v1
	v_pk_mul_f16 v0, v121, v0
	ds_write_b32 v217, v0 offset:1920
.LBB19_30:                              ;   in Loop: Header=BB19_13 Depth=1
	s_or_b64 exec, exec, s[42:43]
	v_readlane_b32 s60, v253, 7
	v_add_u32_e32 v106, s59, v219
	s_mov_b32 s44, s60
	v_cmp_gt_i32_e64 s[42:43], s44, v106
	v_writelane_b32 v255, s42, 11
	v_writelane_b32 v255, s43, 12
	v_cmp_le_i32_e32 vcc, s44, v106
	v_readlane_b32 s61, v253, 8
	v_readlane_b32 s62, v253, 9
	v_readlane_b32 s63, v253, 10
	s_and_saveexec_b64 s[42:43], vcc
	s_xor_b64 s[42:43], exec, s[42:43]
	s_cbranch_execz .LBB19_32
; %bb.31:                               ;   in Loop: Header=BB19_13 Depth=1
	ds_write_b32 v217, v122 offset:3840
.LBB19_32:                              ;   in Loop: Header=BB19_13 Depth=1
	s_andn2_saveexec_b64 s[42:43], s[42:43]
	s_cbranch_execz .LBB19_34
; %bb.33:                               ;   in Loop: Header=BB19_13 Depth=1
	v_mad_u64_u32 v[0:1], s[44:45], v106, s67, v[32:33]
	v_ashrrev_i32_e32 v1, 31, v0
	v_readlane_b32 s44, v254, 35
	v_lshlrev_b64 v[0:1], 3, v[0:1]
	v_mov_b32_e32 v2, s44
	v_readlane_b32 s44, v254, 34
	v_add_co_u32_e32 v0, vcc, s44, v0
	v_addc_co_u32_e32 v1, vcc, v2, v1, vcc
	global_load_dwordx2 v[0:1], v[0:1], off
	s_waitcnt vmcnt(0)
	v_cvt_f16_f32_e32 v0, v0
	v_cvt_f16_f32_e32 v1, v1
	v_pack_b32_f16 v0, v0, v1
	v_pk_mul_f16 v0, v121, v0
	ds_write_b32 v217, v0 offset:3840
.LBB19_34:                              ;   in Loop: Header=BB19_13 Depth=1
	;; [unrolled: 36-line block ×7, first 2 shown]
	s_or_b64 exec, exec, s[42:43]
	v_readlane_b32 s60, v253, 7
	v_add_u32_e32 v41, s59, v124
	s_mov_b32 s44, s60
	v_cmp_gt_i32_e64 s[42:43], s44, v41
	v_writelane_b32 v255, s42, 23
	v_writelane_b32 v255, s43, 24
	v_cmp_le_i32_e32 vcc, s44, v41
	v_readlane_b32 s61, v253, 8
	v_readlane_b32 s62, v253, 9
	v_readlane_b32 s63, v253, 10
	s_and_saveexec_b64 s[42:43], vcc
	s_xor_b64 s[42:43], exec, s[42:43]
	s_cbranch_execz .LBB19_56
; %bb.55:                               ;   in Loop: Header=BB19_13 Depth=1
	ds_write_b32 v225, v122 offset:128
.LBB19_56:                              ;   in Loop: Header=BB19_13 Depth=1
	s_andn2_saveexec_b64 s[42:43], s[42:43]
	s_cbranch_execz .LBB19_58
; %bb.57:                               ;   in Loop: Header=BB19_13 Depth=1
	v_mul_lo_u32 v0, v41, s67
	v_ashrrev_i32_e32 v1, 31, v0
	v_add_co_u32_e32 v0, vcc, v0, v34
	v_addc_co_u32_e32 v1, vcc, 0, v1, vcc
	v_readlane_b32 s44, v254, 35
	v_lshlrev_b64 v[0:1], 3, v[0:1]
	v_mov_b32_e32 v2, s44
	v_readlane_b32 s44, v254, 34
	v_add_co_u32_e32 v0, vcc, s44, v0
	v_addc_co_u32_e32 v1, vcc, v2, v1, vcc
	global_load_dwordx2 v[0:1], v[0:1], off offset:256
	s_waitcnt vmcnt(0)
	v_cvt_f16_f32_e32 v0, v0
	v_cvt_f16_f32_e32 v1, v1
	v_pack_b32_f16 v0, v0, v1
	v_pk_mul_f16 v0, v121, v0
	ds_write_b32 v225, v0 offset:128
.LBB19_58:                              ;   in Loop: Header=BB19_13 Depth=1
	s_or_b64 exec, exec, s[42:43]
	v_readlane_b32 s60, v253, 7
	v_add_u32_e32 v37, s59, v226
	s_mov_b32 s44, s60
	v_cmp_gt_i32_e64 s[42:43], s44, v37
	v_writelane_b32 v255, s42, 25
	v_writelane_b32 v255, s43, 26
	v_cmp_le_i32_e32 vcc, s44, v37
	v_readlane_b32 s61, v253, 8
	v_readlane_b32 s62, v253, 9
	v_readlane_b32 s63, v253, 10
	s_and_saveexec_b64 s[42:43], vcc
	s_xor_b64 s[42:43], exec, s[42:43]
	s_cbranch_execz .LBB19_60
; %bb.59:                               ;   in Loop: Header=BB19_13 Depth=1
	ds_write_b32 v225, v122 offset:3968
.LBB19_60:                              ;   in Loop: Header=BB19_13 Depth=1
	s_andn2_saveexec_b64 s[42:43], s[42:43]
	s_cbranch_execz .LBB19_62
; %bb.61:                               ;   in Loop: Header=BB19_13 Depth=1
	v_mul_lo_u32 v0, v37, s67
	v_ashrrev_i32_e32 v1, 31, v0
	v_add_co_u32_e32 v0, vcc, v0, v34
	v_addc_co_u32_e32 v1, vcc, 0, v1, vcc
	v_readlane_b32 s44, v254, 35
	v_lshlrev_b64 v[0:1], 3, v[0:1]
	v_mov_b32_e32 v2, s44
	v_readlane_b32 s44, v254, 34
	v_add_co_u32_e32 v0, vcc, s44, v0
	v_addc_co_u32_e32 v1, vcc, v2, v1, vcc
	global_load_dwordx2 v[0:1], v[0:1], off offset:256
	s_waitcnt vmcnt(0)
	v_cvt_f16_f32_e32 v0, v0
	v_cvt_f16_f32_e32 v1, v1
	v_pack_b32_f16 v0, v0, v1
	v_pk_mul_f16 v0, v121, v0
	ds_write_b32 v225, v0 offset:3968
.LBB19_62:                              ;   in Loop: Header=BB19_13 Depth=1
	;; [unrolled: 38-line block ×6, first 2 shown]
	s_or_b64 exec, exec, s[42:43]
	s_waitcnt lgkmcnt(0)
	s_barrier
	ds_read2_b64 v[10:13], v126 offset1:4
	ds_read2_b64 v[6:9], v126 offset0:8 offset1:12
	ds_read2_b64 v[2:5], v126 offset0:16 offset1:20
	ds_read_b64 v[68:69], v126 offset:192
	v_readlane_b32 s42, v253, 62
	s_add_i32 s56, s42, -1
	s_cmp_le_i32 s56, s58
	v_mov_b32_e32 v231, 0
	s_waitcnt lgkmcnt(0)
	s_barrier
	s_cbranch_scc1 .LBB19_100
; %bb.79:                               ;   in Loop: Header=BB19_13 Depth=1
	v_add_u32_e32 v46, 32, v120
	v_readlane_b32 s54, v253, 17
	v_add_u32_e32 v46, s59, v46
	v_mul_hi_u32 v47, s54, v46
	v_readlane_b32 s55, v253, 18
	v_readlane_b32 s60, v253, 7
	v_add_u32_e32 v47, v46, v47
	s_mov_b32 s44, s60
	v_lshrrev_b32_e32 v47, s55, v47
	v_readlane_b32 s61, v253, 8
	v_mul_lo_u32 v47, v47, s44
	v_readlane_b32 s60, v253, 56
	v_sub_u32_e32 v46, v46, v47
	v_mad_i64_i32 v[88:89], s[42:43], v46, s60, 0
	v_add_u32_e32 v46, 36, v120
	v_add_u32_e32 v46, s59, v46
	v_mul_hi_u32 v47, s54, v46
	v_add_u32_e32 v47, v46, v47
	v_lshrrev_b32_e32 v47, s55, v47
	v_mul_lo_u32 v47, v47, s44
	v_sub_u32_e32 v46, v46, v47
	v_mad_i64_i32 v[90:91], s[42:43], v46, s60, 0
	v_add_u32_e32 v46, 40, v120
	v_add_u32_e32 v46, s59, v46
	v_mul_hi_u32 v47, s54, v46
	v_add_u32_e32 v47, v46, v47
	v_lshrrev_b32_e32 v47, s55, v47
	v_mul_lo_u32 v47, v47, s44
	v_sub_u32_e32 v46, v46, v47
	v_mad_i64_i32 v[92:93], s[42:43], v46, s60, 0
	v_mov_b32_e32 v46, v148
	v_add_u32_e32 v46, s59, v46
	v_mul_hi_u32 v47, s54, v46
	v_add_u32_e32 v47, v46, v47
	v_lshrrev_b32_e32 v47, s55, v47
	v_mul_lo_u32 v47, v47, s44
	v_sub_u32_e32 v46, v46, v47
	v_mad_i64_i32 v[94:95], s[42:43], v46, s60, 0
	v_mov_b32_e32 v46, v150
	;; [unrolled: 8-line block ×5, first 2 shown]
	v_add_u32_e32 v46, s59, v46
	v_mul_hi_u32 v47, s54, v46
	v_add_u32_e32 v47, v46, v47
	v_lshrrev_b32_e32 v47, s55, v47
	v_mul_lo_u32 v47, v47, s44
	v_lshlrev_b32_e32 v14, 1, v30
	v_add_u32_e32 v16, 4, v120
	v_add_u32_e32 v18, 8, v120
	;; [unrolled: 1-line block ×7, first 2 shown]
	v_sub_u32_e32 v46, v46, v47
	v_add_co_u32_e32 v109, vcc, v66, v14
	v_add_u32_e32 v14, s59, v120
	v_add_u32_e32 v16, s59, v16
	;; [unrolled: 1-line block ×8, first 2 shown]
	v_mad_i64_i32 v[102:103], s[42:43], v46, s60, 0
	v_and_b32_e32 v46, 64, v245
	v_addc_co_u32_e32 v110, vcc, 0, v67, vcc
	v_mul_hi_u32 v15, s54, v14
	v_mul_hi_u32 v17, s54, v16
	;; [unrolled: 1-line block ×8, first 2 shown]
	v_add_u32_e32 v46, 64, v46
	v_xor_b32_e32 v47, 32, v245
	v_add_u32_e32 v15, v14, v15
	v_add_u32_e32 v17, v16, v17
	;; [unrolled: 1-line block ×8, first 2 shown]
	v_cmp_lt_i32_e32 vcc, v47, v46
	v_lshrrev_b32_e32 v15, s55, v15
	v_lshrrev_b32_e32 v17, s55, v17
	;; [unrolled: 1-line block ×8, first 2 shown]
	v_cndmask_b32_e32 v47, v245, v47, vcc
	v_mul_lo_u32 v15, v15, s44
	v_mul_lo_u32 v17, v17, s44
	;; [unrolled: 1-line block ×8, first 2 shown]
	v_lshlrev_b32_e32 v113, 2, v47
	v_xor_b32_e32 v47, 16, v245
	v_sub_u32_e32 v14, v14, v15
	v_sub_u32_e32 v16, v16, v17
	;; [unrolled: 1-line block ×8, first 2 shown]
	v_cmp_lt_i32_e32 vcc, v47, v46
	v_mad_i64_i32 v[14:15], s[42:43], v14, s60, 0
	v_mad_i64_i32 v[16:17], s[42:43], v16, s60, 0
	;; [unrolled: 1-line block ×8, first 2 shown]
	v_cndmask_b32_e32 v46, v245, v47, vcc
	v_cmp_ne_u64_e64 s[72:73], 0, v[66:67]
	v_mov_b32_e32 v236, 0
	v_lshlrev_b32_e32 v114, 2, v46
	v_mov_b32_e32 v70, v64
	v_mov_b32_e32 v71, v64
	s_lshl_b32 s42, s58, 6
	v_mov_b32_e32 v47, 0
	v_mov_b32_e32 v128, 0xfeffffff
	v_lshlrev_b64 v[72:73], 1, v[14:15]
	v_lshlrev_b64 v[74:75], 1, v[16:17]
	;; [unrolled: 1-line block ×16, first 2 shown]
	v_mov_b32_e32 v237, 0
	v_mov_b32_e32 v235, 0
	;; [unrolled: 1-line block ×13, first 2 shown]
	v_readlane_b32 s62, v253, 9
	v_readlane_b32 s63, v253, 10
	;; [unrolled: 1-line block ×3, first 2 shown]
.LBB19_80:                              ;   Parent Loop BB19_13 Depth=1
                                        ; =>  This Inner Loop Header: Depth=2
	s_nop 0
	v_cndmask_b32_e64 v14, 0, 1, s[72:73]
	v_cmp_ne_u32_e64 s[74:75], 1, v14
	s_andn2_b64 vcc, exec, s[72:73]
	s_ashr_i32 s43, s42, 31
	s_cbranch_vccnz .LBB19_90
; %bb.81:                               ;   in Loop: Header=BB19_80 Depth=2
                                        ; implicit-def: $sgpr44
	s_and_saveexec_b64 s[54:55], s[6:7]
	s_xor_b64 s[54:55], exec, s[54:55]
	s_cbranch_execz .LBB19_83
; %bb.82:                               ;   in Loop: Header=BB19_80 Depth=2
	ds_write_b16 v127, v122 offset:15360
	ds_write_b16 v129, v122 offset:15360
	;; [unrolled: 1-line block ×4, first 2 shown]
	s_mov_b32 s44, 0
.LBB19_83:                              ;   in Loop: Header=BB19_80 Depth=2
	s_or_saveexec_b64 s[54:55], s[54:55]
	s_lshl_b64 s[60:61], s[42:43], 1
	v_mov_b32_e32 v15, s61
	v_add_co_u32_e32 v14, vcc, s60, v109
	v_addc_co_u32_e32 v15, vcc, v110, v15, vcc
	v_mov_b32_e32 v16, s44
	v_mov_b32_e32 v17, s44
	v_mov_b32_e32 v18, s44
	v_mov_b32_e32 v19, s44
	s_xor_b64 exec, exec, s[54:55]
	s_cbranch_execz .LBB19_85
; %bb.84:                               ;   in Loop: Header=BB19_80 Depth=2
	v_add_co_u32_e32 v16, vcc, v14, v72
	v_addc_co_u32_e32 v17, vcc, v15, v73, vcc
	flat_load_ushort v18, v[16:17]
	v_add_co_u32_e32 v16, vcc, v14, v74
	v_addc_co_u32_e32 v17, vcc, v15, v75, vcc
	flat_load_ushort v19, v[16:17]
	;; [unrolled: 3-line block ×4, first 2 shown]
	s_waitcnt vmcnt(0) lgkmcnt(0)
	ds_write_b16 v127, v18 offset:15360
	ds_write_b16 v129, v19 offset:15360
	ds_write_b16 v131, v20 offset:15360
	ds_write_b16 v133, v16 offset:15360
	v_add_co_u32_e32 v16, vcc, v14, v80
	v_addc_co_u32_e32 v17, vcc, v15, v81, vcc
	v_add_co_u32_e32 v18, vcc, v14, v82
	v_addc_co_u32_e32 v19, vcc, v15, v83, vcc
	flat_load_ushort v16, v[16:17]
	s_nop 0
	flat_load_ushort v17, v[18:19]
	v_add_co_u32_e32 v18, vcc, v14, v84
	v_addc_co_u32_e32 v19, vcc, v15, v85, vcc
	v_add_co_u32_e32 v20, vcc, v14, v86
	v_addc_co_u32_e32 v21, vcc, v15, v87, vcc
	flat_load_ushort v18, v[18:19]
	s_nop 0
	flat_load_ushort v19, v[20:21]
.LBB19_85:                              ;   in Loop: Header=BB19_80 Depth=2
	s_or_b64 exec, exec, s[54:55]
	s_waitcnt vmcnt(0) lgkmcnt(0)
	ds_write_b16 v135, v16 offset:15360
	ds_write_b16 v137, v17 offset:15360
	;; [unrolled: 1-line block ×4, first 2 shown]
                                        ; implicit-def: $sgpr43
	s_and_saveexec_b64 s[44:45], s[6:7]
	s_xor_b64 s[54:55], exec, s[44:45]
	s_cbranch_execz .LBB19_87
; %bb.86:                               ;   in Loop: Header=BB19_80 Depth=2
	ds_write_b16 v143, v122 offset:15360
	ds_write_b16 v145, v122 offset:15360
	;; [unrolled: 1-line block ×4, first 2 shown]
	s_mov_b32 s43, 0
                                        ; implicit-def: $vgpr14
                                        ; implicit-def: $vgpr15
.LBB19_87:                              ;   in Loop: Header=BB19_80 Depth=2
	s_or_saveexec_b64 s[54:55], s[54:55]
	v_mov_b32_e32 v16, s43
	v_mov_b32_e32 v17, s43
	;; [unrolled: 1-line block ×4, first 2 shown]
	s_xor_b64 exec, exec, s[54:55]
	s_cbranch_execz .LBB19_89
; %bb.88:                               ;   in Loop: Header=BB19_80 Depth=2
	v_add_co_u32_e32 v16, vcc, v14, v88
	v_addc_co_u32_e32 v17, vcc, v15, v89, vcc
	flat_load_ushort v18, v[16:17]
	v_add_co_u32_e32 v16, vcc, v14, v90
	v_addc_co_u32_e32 v17, vcc, v15, v91, vcc
	flat_load_ushort v19, v[16:17]
	;; [unrolled: 3-line block ×4, first 2 shown]
	s_waitcnt vmcnt(0) lgkmcnt(0)
	ds_write_b16 v143, v18 offset:15360
	ds_write_b16 v145, v19 offset:15360
	;; [unrolled: 1-line block ×4, first 2 shown]
	v_add_co_u32_e32 v16, vcc, v14, v96
	v_addc_co_u32_e32 v17, vcc, v15, v97, vcc
	v_add_co_u32_e32 v18, vcc, v14, v98
	v_addc_co_u32_e32 v19, vcc, v15, v99, vcc
	flat_load_ushort v16, v[16:17]
	s_nop 0
	flat_load_ushort v17, v[18:19]
	v_add_co_u32_e32 v18, vcc, v14, v100
	v_addc_co_u32_e32 v19, vcc, v15, v101, vcc
	v_add_co_u32_e32 v14, vcc, v14, v102
	v_addc_co_u32_e32 v15, vcc, v15, v103, vcc
	flat_load_ushort v18, v[18:19]
	s_nop 0
	flat_load_ushort v19, v[14:15]
.LBB19_89:                              ;   in Loop: Header=BB19_80 Depth=2
	s_or_b64 exec, exec, s[54:55]
	s_waitcnt vmcnt(0) lgkmcnt(0)
	ds_write_b16 v151, v16 offset:15360
	ds_write_b16 v153, v17 offset:15360
	;; [unrolled: 1-line block ×4, first 2 shown]
.LBB19_90:                              ;   in Loop: Header=BB19_80 Depth=2
	v_readlane_b32 s44, v253, 58
	v_readlane_b32 s45, v253, 59
	s_mul_hi_i32 s45, s42, s44
	s_mul_i32 s44, s42, s44
	s_lshl_b64 s[44:45], s[44:45], 2
	v_readlane_b32 s43, v254, 38
	s_add_u32 s44, s43, s44
	v_readlane_b32 s43, v254, 39
	s_addc_u32 s43, s43, s45
	buffer_store_dword v122, off, s[0:3], 0
	buffer_store_dword v122, off, s[0:3], 0 offset:4
	buffer_store_dword v122, off, s[0:3], 0 offset:8
	;; [unrolled: 1-line block ×3, first 2 shown]
	s_and_saveexec_b64 s[54:55], s[64:65]
	s_cbranch_execz .LBB19_92
; %bb.91:                               ;   in Loop: Header=BB19_80 Depth=2
	v_mov_b32_e32 v14, s43
	v_add_co_u32_e32 v15, vcc, s44, v56
	v_addc_co_u32_e32 v16, vcc, v14, v57, vcc
	v_lshlrev_b32_e32 v14, 2, v40
	v_add_co_u32_e32 v14, vcc, v15, v14
	v_addc_co_u32_e32 v15, vcc, 0, v16, vcc
	global_load_dwordx4 v[14:17], v[14:15], off offset:192
	s_waitcnt vmcnt(0)
	ds_write_b128 v159, v[14:17]
.LBB19_92:                              ;   in Loop: Header=BB19_80 Depth=2
	s_or_b64 exec, exec, s[54:55]
	v_add_co_u32_e32 v14, vcc, s44, v58
	v_mov_b32_e32 v15, s43
	v_addc_co_u32_e32 v15, vcc, v15, v59, vcc
	v_lshlrev_b32_e32 v239, 2, v42
	v_add_co_u32_e32 v14, vcc, v14, v239
	v_addc_co_u32_e32 v15, vcc, 0, v15, vcc
	v_add_co_u32_e32 v14, vcc, 0x80, v14
	v_addc_co_u32_e32 v15, vcc, 0, v15, vcc
	v_mov_b32_e32 v18, s69
	v_mov_b32_e32 v19, s68
	v_cndmask_b32_e64 v15, v18, v15, s[10:11]
	v_cndmask_b32_e64 v14, v19, v14, s[10:11]
	flat_load_dwordx4 v[14:17], v[14:15]
	v_lshlrev_b32_e32 v46, 2, v44
	v_add_u32_e32 v22, 0x800, v162
	v_add_u32_e32 v65, 0x1800, v162
	s_waitcnt vmcnt(0) lgkmcnt(0)
	ds_write_b128 v206, v[14:17]
	v_add_co_u32_e32 v14, vcc, s44, v60
	v_mov_b32_e32 v15, s43
	v_addc_co_u32_e32 v15, vcc, v15, v61, vcc
	v_add_co_u32_e32 v14, vcc, v14, v46
	v_addc_co_u32_e32 v15, vcc, 0, v15, vcc
	v_cndmask_b32_e64 v15, v18, v15, s[12:13]
	v_cndmask_b32_e64 v14, v19, v14, s[12:13]
	flat_load_dwordx4 v[14:17], v[14:15]
	s_waitcnt vmcnt(0) lgkmcnt(0)
	ds_write_b128 v207, v[14:17]
	v_add_co_u32_e32 v14, vcc, s44, v62
	v_mov_b32_e32 v15, s43
	v_addc_co_u32_e32 v15, vcc, v15, v63, vcc
	v_add_co_u32_e32 v14, vcc, v14, v46
	v_addc_co_u32_e32 v15, vcc, 0, v15, vcc
	v_cndmask_b32_e64 v15, v18, v15, s[14:15]
	v_cndmask_b32_e64 v14, v19, v14, s[14:15]
	flat_load_dwordx4 v[14:17], v[14:15]
	s_and_b64 vcc, exec, s[74:75]
	s_waitcnt vmcnt(0) lgkmcnt(0)
	ds_write_b128 v208, v[14:17]
	s_waitcnt lgkmcnt(0)
	s_barrier
	ds_read2_b64 v[14:17], v162 offset1:4
	s_waitcnt lgkmcnt(0)
	v_mfma_f32_16x16x16f16 v[18:21], v[14:15], v[10:11], 0
	v_mfma_f32_16x16x16f16 v[14:17], v[16:17], v[12:13], v[18:21]
	s_nop 7
	s_nop 1
	ds_read2_b64 v[18:21], v162 offset0:8 offset1:12
	s_waitcnt lgkmcnt(0)
	v_mfma_f32_16x16x16f16 v[14:17], v[18:19], v[6:7], v[14:17]
	v_mfma_f32_16x16x16f16 v[14:17], v[20:21], v[8:9], v[14:17]
	ds_read2_b64 v[18:21], v162 offset0:16 offset1:20
	s_waitcnt lgkmcnt(0)
	v_mfma_f32_16x16x16f16 v[14:17], v[18:19], v[2:3], v[14:17]
	ds_read_b64 v[18:19], v162 offset:192
	v_mfma_f32_16x16x16f16 v[14:17], v[20:21], v[4:5], v[14:17]
	s_waitcnt lgkmcnt(0)
	v_mfma_f32_16x16x16f16 v[26:29], v[18:19], v[68:69], v[14:17]
	s_nop 7
	s_nop 0
	ds_read2_b64 v[14:17], v22 offset0:224 offset1:228
	s_waitcnt lgkmcnt(0)
	v_mfma_f32_16x16x16f16 v[18:21], v[14:15], v[10:11], 0
	v_mfma_f32_16x16x16f16 v[14:17], v[16:17], v[12:13], v[18:21]
	s_nop 7
	s_nop 1
	ds_read2_b64 v[18:21], v22 offset0:232 offset1:236
	s_waitcnt lgkmcnt(0)
	v_mfma_f32_16x16x16f16 v[14:17], v[18:19], v[6:7], v[14:17]
	v_mfma_f32_16x16x16f16 v[14:17], v[20:21], v[8:9], v[14:17]
	ds_read2_b64 v[18:21], v22 offset0:240 offset1:244
	s_waitcnt lgkmcnt(0)
	v_mfma_f32_16x16x16f16 v[14:17], v[18:19], v[2:3], v[14:17]
	ds_read_b64 v[18:19], v162 offset:4032
	v_mfma_f32_16x16x16f16 v[14:17], v[20:21], v[4:5], v[14:17]
	s_waitcnt lgkmcnt(0)
	v_mfma_f32_16x16x16f16 v[18:21], v[18:19], v[68:69], v[14:17]
	s_nop 7
	s_nop 0
	ds_read2_b64 v[14:17], v65 offset0:192 offset1:196
	s_waitcnt lgkmcnt(0)
	v_mfma_f32_16x16x16f16 v[22:25], v[14:15], v[10:11], 0
	v_mfma_f32_16x16x16f16 v[14:17], v[16:17], v[12:13], v[22:25]
	s_nop 7
	s_nop 1
	ds_read2_b64 v[22:25], v65 offset0:200 offset1:204
	s_waitcnt lgkmcnt(0)
	v_mfma_f32_16x16x16f16 v[14:17], v[22:23], v[6:7], v[14:17]
	v_mfma_f32_16x16x16f16 v[14:17], v[24:25], v[8:9], v[14:17]
	ds_read2_b64 v[22:25], v65 offset0:208 offset1:212
	v_add_u32_e32 v65, 0x2800, v162
	s_waitcnt lgkmcnt(0)
	v_mfma_f32_16x16x16f16 v[14:17], v[22:23], v[2:3], v[14:17]
	ds_read_b64 v[22:23], v162 offset:7872
	v_mfma_f32_16x16x16f16 v[14:17], v[24:25], v[4:5], v[14:17]
	s_waitcnt lgkmcnt(0)
	v_mfma_f32_16x16x16f16 v[14:17], v[22:23], v[68:69], v[14:17]
	ds_read2_b64 v[22:25], v65 offset0:160 offset1:164
	s_waitcnt lgkmcnt(0)
	v_mfma_f32_16x16x16f16 v[210:213], v[22:23], v[10:11], 0
	v_mfma_f32_16x16x16f16 v[22:25], v[24:25], v[12:13], v[210:213]
	s_nop 7
	s_nop 1
	ds_read2_b64 v[210:213], v65 offset0:168 offset1:172
	s_waitcnt lgkmcnt(0)
	v_mfma_f32_16x16x16f16 v[22:25], v[210:211], v[6:7], v[22:25]
	v_mfma_f32_16x16x16f16 v[22:25], v[212:213], v[8:9], v[22:25]
	ds_read2_b64 v[210:213], v65 offset0:176 offset1:180
	s_waitcnt lgkmcnt(0)
	v_mfma_f32_16x16x16f16 v[22:25], v[210:211], v[2:3], v[22:25]
	ds_read_b64 v[210:211], v162 offset:11712
	s_waitcnt lgkmcnt(0)
	s_barrier
	v_mfma_f32_16x16x16f16 v[22:25], v[212:213], v[4:5], v[22:25]
	v_mfma_f32_16x16x16f16 v[22:25], v[210:211], v[68:69], v[22:25]
	s_cbranch_vccnz .LBB19_94
; %bb.93:                               ;   in Loop: Header=BB19_80 Depth=2
	ds_read_b32 v65, v164 offset:15360
	v_add_u32_e32 v130, 0x3c00, v167
	s_waitcnt lgkmcnt(0)
	v_cvt_f32_f16_sdwa v211, v65 dst_sel:DWORD dst_unused:UNUSED_PAD src0_sel:WORD_1
	v_cvt_f32_f16_e32 v210, v65
	ds_read_b32 v65, v165 offset:15360
	v_pk_fma_f32 v[26:27], v[70:71], v[210:211], v[26:27]
	ds_read2_b32 v[210:211], v130 offset1:1
	s_waitcnt lgkmcnt(1)
	v_cvt_f32_f16_sdwa v213, v65 dst_sel:DWORD dst_unused:UNUSED_PAD src0_sel:WORD_1
	v_cvt_f32_f16_e32 v212, v65
	v_mov_b32_e32 v65, v64
	v_add_u32_e32 v130, 0x3c00, v170
	v_pk_fma_f32 v[28:29], v[64:65], v[212:213], v[28:29]
	s_waitcnt lgkmcnt(0)
	v_cvt_f32_f16_e32 v212, v210
	v_cvt_f32_f16_sdwa v213, v210 dst_sel:DWORD dst_unused:UNUSED_PAD src0_sel:WORD_1
	v_cvt_f32_f16_e32 v210, v211
	v_cvt_f32_f16_sdwa v211, v211 dst_sel:DWORD dst_unused:UNUSED_PAD src0_sel:WORD_1
	v_pk_fma_f32 v[18:19], v[70:71], v[212:213], v[18:19]
	v_pk_fma_f32 v[20:21], v[64:65], v[210:211], v[20:21]
	ds_read2_b32 v[210:211], v130 offset1:1
	v_add_u32_e32 v130, 0x3c00, v173
	s_waitcnt lgkmcnt(0)
	v_cvt_f32_f16_e32 v212, v210
	v_cvt_f32_f16_sdwa v213, v210 dst_sel:DWORD dst_unused:UNUSED_PAD src0_sel:WORD_1
	v_cvt_f32_f16_e32 v210, v211
	v_cvt_f32_f16_sdwa v211, v211 dst_sel:DWORD dst_unused:UNUSED_PAD src0_sel:WORD_1
	v_pk_fma_f32 v[14:15], v[70:71], v[212:213], v[14:15]
	v_pk_fma_f32 v[16:17], v[64:65], v[210:211], v[16:17]
	ds_read2_b32 v[210:211], v130 offset1:1
	s_waitcnt lgkmcnt(0)
	v_cvt_f32_f16_e32 v212, v210
	v_cvt_f32_f16_sdwa v213, v210 dst_sel:DWORD dst_unused:UNUSED_PAD src0_sel:WORD_1
	v_cvt_f32_f16_e32 v210, v211
	v_cvt_f32_f16_sdwa v211, v211 dst_sel:DWORD dst_unused:UNUSED_PAD src0_sel:WORD_1
	v_pk_fma_f32 v[22:23], v[70:71], v[212:213], v[22:23]
	v_pk_fma_f32 v[24:25], v[64:65], v[210:211], v[24:25]
.LBB19_94:                              ;   in Loop: Header=BB19_80 Depth=2
	v_add_f32_e32 v65, 0x40051340, v26
	v_max_f32_e32 v130, v128, v128
	v_max_f32_e32 v65, v130, v65
	v_cndmask_b32_e64 v65, v128, v65, s[16:17]
	v_add_f32_e32 v130, 0x40051340, v27
	v_max_f32_e32 v65, v65, v65
	v_max_f32_e32 v65, v65, v130
	v_cndmask_b32_e64 v65, v128, v65, s[16:17]
	;; [unrolled: 4-line block ×16, first 2 shown]
	ds_bpermute_b32 v130, v113, v65
	v_max_f32_e32 v65, v65, v65
	v_readlane_b32 s44, v253, 60
	v_readlane_b32 s45, v253, 61
	s_mul_hi_i32 s45, s42, s44
	s_waitcnt lgkmcnt(0)
	v_max_f32_e32 v130, v130, v130
	v_max_f32_e32 v65, v65, v130
	ds_bpermute_b32 v240, v114, v65
	s_mul_i32 s44, s42, s44
	s_lshl_b64 s[44:45], s[44:45], 2
	s_add_u32 s44, s57, s44
	s_addc_u32 s43, s78, s45
	buffer_store_dword v122, off, s[0:3], 0
	buffer_store_dword v122, off, s[0:3], 0 offset:4
	buffer_store_dword v122, off, s[0:3], 0 offset:8
	buffer_store_dword v122, off, s[0:3], 0 offset:12
	s_and_saveexec_b64 s[54:55], s[64:65]
	s_cbranch_execz .LBB19_96
; %bb.95:                               ;   in Loop: Header=BB19_80 Depth=2
	v_mov_b32_e32 v130, s43
	v_add_co_u32_e32 v140, vcc, s44, v48
	v_addc_co_u32_e32 v130, vcc, v130, v49, vcc
	v_lshlrev_b32_e32 v142, 2, v40
	v_add_co_u32_e32 v210, vcc, v140, v142
	v_addc_co_u32_e32 v211, vcc, 0, v130, vcc
	global_load_dwordx4 v[210:213], v[210:211], off offset:192
	s_waitcnt vmcnt(0)
	ds_write_b128 v159, v[210:213]
.LBB19_96:                              ;   in Loop: Header=BB19_80 Depth=2
	s_or_b64 exec, exec, s[54:55]
	s_waitcnt lgkmcnt(0)
	v_max_f32_e32 v130, v240, v240
	v_max_f32_e32 v65, v65, v65
	;; [unrolled: 1-line block ×3, first 2 shown]
	v_sub_f32_e32 v26, v26, v65
	v_mul_f32_e32 v130, 0x3fb8aa3b, v26
	v_fma_f32 v140, v26, s48, -v130
	v_rndne_f32_e32 v142, v130
	v_fmac_f32_e32 v140, 0x32a5705f, v26
	v_sub_f32_e32 v130, v130, v142
	v_add_f32_e32 v130, v130, v140
	v_exp_f32_e32 v130, v130
	v_cvt_i32_f32_e32 v140, v142
	v_sub_f32_e32 v27, v27, v65
	v_cmp_ngt_f32_e32 vcc, s50, v26
	v_cndmask_b32_e64 v28, v28, v28, s[16:17]
	v_ldexp_f32 v130, v130, v140
	v_mul_f32_e32 v140, 0x3fb8aa3b, v27
	v_fma_f32 v142, v27, s48, -v140
	v_rndne_f32_e32 v144, v140
	v_fmac_f32_e32 v142, 0x32a5705f, v27
	v_sub_f32_e32 v140, v140, v144
	v_add_f32_e32 v140, v140, v142
	v_exp_f32_e32 v140, v140
	v_cvt_i32_f32_e32 v142, v144
	v_cndmask_b32_e32 v130, 0, v130, vcc
	v_cmp_nlt_f32_e32 vcc, s49, v26
	v_cndmask_b32_e32 v130, v45, v130, vcc
	v_ldexp_f32 v140, v140, v142
	v_cmp_ngt_f32_e32 vcc, s50, v27
	v_cndmask_b32_e32 v140, 0, v140, vcc
	v_cmp_nlt_f32_e32 vcc, s49, v27
	v_cndmask_b32_e32 v140, v45, v140, vcc
	v_mov_b32_e32 v27, s71
	v_cndmask_b32_e64 v26, 0, v130, s[16:17]
	v_add_f32_e32 v130, v130, v140
	v_cndmask_b32_e64 v140, v27, v140, s[16:17]
	v_sub_f32_e32 v27, v28, v65
	v_mul_f32_e32 v28, 0x3fb8aa3b, v27
	v_fma_f32 v142, v27, s48, -v28
	v_rndne_f32_e32 v144, v28
	v_fmac_f32_e32 v142, 0x32a5705f, v27
	v_sub_f32_e32 v28, v28, v144
	v_add_f32_e32 v28, v28, v142
	v_exp_f32_e32 v28, v28
	v_cvt_i32_f32_e32 v142, v144
	v_cmp_ngt_f32_e32 vcc, s50, v27
	v_cndmask_b32_e64 v29, v29, v29, s[16:17]
	v_sub_f32_e32 v18, v18, v65
	v_ldexp_f32 v28, v28, v142
	v_cndmask_b32_e32 v28, 0, v28, vcc
	v_cmp_nlt_f32_e32 vcc, s49, v27
	v_cndmask_b32_e32 v27, v45, v28, vcc
	v_mov_b32_e32 v28, s71
	v_add_f32_e32 v130, v130, v27
	v_cndmask_b32_e64 v142, v28, v27, s[16:17]
	v_sub_f32_e32 v27, v29, v65
	v_mul_f32_e32 v28, 0x3fb8aa3b, v27
	v_fma_f32 v29, v27, s48, -v28
	v_rndne_f32_e32 v144, v28
	v_fmac_f32_e32 v29, 0x32a5705f, v27
	v_sub_f32_e32 v28, v28, v144
	v_add_f32_e32 v28, v28, v29
	v_exp_f32_e32 v28, v28
	v_cvt_i32_f32_e32 v29, v144
	v_cmp_ngt_f32_e32 vcc, s50, v27
	v_cndmask_b32_e64 v19, v19, v19, s[18:19]
	v_sub_f32_e32 v19, v19, v65
	v_ldexp_f32 v28, v28, v29
	v_cndmask_b32_e32 v28, 0, v28, vcc
	v_cmp_nlt_f32_e32 vcc, s49, v27
	v_cndmask_b32_e32 v144, v45, v28, vcc
	v_mul_f32_e32 v28, 0x3fb8aa3b, v18
	v_add_f32_e32 v27, v130, v144
	v_fma_f32 v29, v18, s48, -v28
	v_rndne_f32_e32 v130, v28
	v_fmac_f32_e32 v29, 0x32a5705f, v18
	v_sub_f32_e32 v28, v28, v130
	v_add_f32_e32 v28, v28, v29
	v_exp_f32_e32 v28, v28
	v_cvt_i32_f32_e32 v29, v130
	v_cmp_ngt_f32_e32 vcc, s50, v18
	v_cndmask_b32_e64 v27, 0, v27, s[16:17]
	v_cndmask_b32_e64 v20, v20, v20, s[18:19]
	v_ldexp_f32 v28, v28, v29
	v_cndmask_b32_e32 v28, 0, v28, vcc
	v_cmp_nlt_f32_e32 vcc, s49, v18
	v_cndmask_b32_e32 v28, v45, v28, vcc
	v_add_f32_e32 v29, v28, v27
	v_mov_b32_e32 v18, s71
	v_cndmask_b32_e64 v130, v18, v28, s[18:19]
	v_cndmask_b32_e64 v18, v27, v29, s[18:19]
	v_mul_f32_e32 v27, 0x3fb8aa3b, v19
	v_fma_f32 v28, v19, s48, -v27
	v_rndne_f32_e32 v29, v27
	v_fmac_f32_e32 v28, 0x32a5705f, v19
	v_sub_f32_e32 v27, v27, v29
	v_add_f32_e32 v27, v27, v28
	v_exp_f32_e32 v27, v27
	v_cvt_i32_f32_e32 v28, v29
	v_cmp_ngt_f32_e32 vcc, s50, v19
	v_cndmask_b32_e64 v21, v21, v21, s[18:19]
	v_sub_f32_e32 v21, v21, v65
	v_ldexp_f32 v27, v27, v28
	v_cndmask_b32_e32 v27, 0, v27, vcc
	v_cmp_nlt_f32_e32 vcc, s49, v19
	v_cndmask_b32_e32 v27, v45, v27, vcc
	v_add_f32_e32 v28, v27, v18
	v_mov_b32_e32 v19, s71
	v_cndmask_b32_e64 v19, v19, v27, s[20:21]
	v_cndmask_b32_e64 v27, v18, v28, s[20:21]
	v_sub_f32_e32 v18, v20, v65
	v_mul_f32_e32 v20, 0x3fb8aa3b, v18
	v_fma_f32 v28, v18, s48, -v20
	v_rndne_f32_e32 v29, v20
	v_fmac_f32_e32 v28, 0x32a5705f, v18
	v_sub_f32_e32 v20, v20, v29
	v_add_f32_e32 v20, v20, v28
	v_exp_f32_e32 v20, v20
	v_cvt_i32_f32_e32 v28, v29
	v_cmp_ngt_f32_e32 vcc, s50, v18
	v_sub_f32_e32 v14, v14, v65
	v_cndmask_b32_e64 v15, v15, v15, s[26:27]
	v_ldexp_f32 v20, v20, v28
	v_cndmask_b32_e32 v20, 0, v20, vcc
	v_cmp_nlt_f32_e32 vcc, s49, v18
	v_cndmask_b32_e32 v20, v45, v20, vcc
	v_add_f32_e32 v28, v20, v27
	v_mov_b32_e32 v18, s71
	v_cndmask_b32_e64 v20, v18, v20, s[22:23]
	v_cndmask_b32_e64 v18, v27, v28, s[22:23]
	v_mul_f32_e32 v27, 0x3fb8aa3b, v21
	v_fma_f32 v28, v21, s48, -v27
	v_rndne_f32_e32 v29, v27
	v_fmac_f32_e32 v28, 0x32a5705f, v21
	v_sub_f32_e32 v27, v27, v29
	v_add_f32_e32 v27, v27, v28
	v_exp_f32_e32 v27, v27
	v_cvt_i32_f32_e32 v28, v29
	v_cmp_ngt_f32_e32 vcc, s50, v21
	v_sub_f32_e32 v15, v15, v65
	v_cndmask_b32_e64 v16, v16, v16, s[26:27]
	v_ldexp_f32 v27, v27, v28
	v_cndmask_b32_e32 v27, 0, v27, vcc
	v_cmp_nlt_f32_e32 vcc, s49, v21
	v_cndmask_b32_e32 v21, v45, v27, vcc
	v_add_f32_e32 v27, v21, v18
	v_cndmask_b32_e64 v18, v18, v27, s[24:25]
	v_mul_f32_e32 v27, 0x3fb8aa3b, v14
	v_fma_f32 v28, v14, s48, -v27
	v_rndne_f32_e32 v29, v27
	v_fmac_f32_e32 v28, 0x32a5705f, v14
	v_sub_f32_e32 v27, v27, v29
	v_add_f32_e32 v27, v27, v28
	v_exp_f32_e32 v27, v27
	v_cvt_i32_f32_e32 v28, v29
	v_cmp_ngt_f32_e32 vcc, s50, v14
	v_cndmask_b32_e64 v17, v17, v17, s[26:27]
	v_cndmask_b32_e64 v23, v23, v23, s[4:5]
	v_ldexp_f32 v27, v27, v28
	v_cndmask_b32_e32 v27, 0, v27, vcc
	v_cmp_nlt_f32_e32 vcc, s49, v14
	v_cndmask_b32_e32 v27, v45, v27, vcc
	v_add_f32_e32 v28, v27, v18
	v_mov_b32_e32 v14, s71
	v_cndmask_b32_e64 v146, v14, v27, s[26:27]
	v_cndmask_b32_e64 v14, v18, v28, s[26:27]
	v_mul_f32_e32 v18, 0x3fb8aa3b, v15
	v_fma_f32 v27, v15, s48, -v18
	v_rndne_f32_e32 v28, v18
	v_fmac_f32_e32 v27, 0x32a5705f, v15
	v_sub_f32_e32 v18, v18, v28
	v_add_f32_e32 v18, v18, v27
	v_exp_f32_e32 v18, v18
	v_cvt_i32_f32_e32 v27, v28
	v_cmp_ngt_f32_e32 vcc, s50, v15
	v_cndmask_b32_e64 v24, v24, v24, s[4:5]
	v_cndmask_b32_e64 v25, v25, v25, s[4:5]
	v_ldexp_f32 v18, v18, v27
	v_cndmask_b32_e32 v18, 0, v18, vcc
	v_cmp_nlt_f32_e32 vcc, s49, v15
	v_cndmask_b32_e32 v18, v45, v18, vcc
	v_add_f32_e32 v27, v18, v14
	v_mov_b32_e32 v15, s71
	v_cndmask_b32_e64 v18, v15, v18, s[28:29]
	v_cndmask_b32_e64 v15, v14, v27, s[28:29]
	v_sub_f32_e32 v14, v16, v65
	v_mul_f32_e32 v16, 0x3fb8aa3b, v14
	v_fma_f32 v27, v14, s48, -v16
	v_rndne_f32_e32 v28, v16
	v_fmac_f32_e32 v27, 0x32a5705f, v14
	v_sub_f32_e32 v16, v16, v28
	v_add_f32_e32 v16, v16, v27
	v_exp_f32_e32 v16, v16
	v_cvt_i32_f32_e32 v27, v28
	v_cmp_ngt_f32_e32 vcc, s50, v14
	v_cvt_f16_f32_e32 v19, v19
	s_add_i32 s58, s58, 1
	v_ldexp_f32 v16, v16, v27
	v_cndmask_b32_e32 v16, 0, v16, vcc
	v_cmp_nlt_f32_e32 vcc, s49, v14
	v_cndmask_b32_e32 v16, v45, v16, vcc
	v_add_f32_e32 v27, v16, v15
	v_mov_b32_e32 v14, s71
	v_cndmask_b32_e64 v210, v14, v16, s[30:31]
	v_cndmask_b32_e64 v14, v15, v27, s[30:31]
	v_sub_f32_e32 v15, v17, v65
	v_mul_f32_e32 v16, 0x3fb8aa3b, v15
	v_fma_f32 v17, v15, s48, -v16
	v_rndne_f32_e32 v27, v16
	v_fmac_f32_e32 v17, 0x32a5705f, v15
	v_sub_f32_e32 v16, v16, v27
	v_add_f32_e32 v16, v16, v17
	v_exp_f32_e32 v16, v16
	v_cvt_i32_f32_e32 v17, v27
	v_cmp_ngt_f32_e32 vcc, s50, v15
	s_add_i32 s42, s42, 64
	s_cmp_lt_i32 s58, s56
	v_ldexp_f32 v16, v16, v17
	v_cndmask_b32_e32 v16, 0, v16, vcc
	v_cmp_nlt_f32_e32 vcc, s49, v15
	v_cndmask_b32_e32 v16, v45, v16, vcc
	v_add_f32_e32 v15, v16, v14
	v_cndmask_b32_e64 v15, v14, v15, s[34:35]
	v_sub_f32_e32 v14, v22, v65
	v_mul_f32_e32 v17, 0x3fb8aa3b, v14
	v_fma_f32 v22, v14, s48, -v17
	v_rndne_f32_e32 v27, v17
	v_fmac_f32_e32 v22, 0x32a5705f, v14
	v_sub_f32_e32 v17, v17, v27
	v_add_f32_e32 v17, v17, v22
	v_exp_f32_e32 v17, v17
	v_cvt_i32_f32_e32 v22, v27
	v_cmp_ngt_f32_e32 vcc, s50, v14
	v_ldexp_f32 v17, v17, v22
	v_cndmask_b32_e32 v17, 0, v17, vcc
	v_cmp_nlt_f32_e32 vcc, s49, v14
	v_cndmask_b32_e32 v17, v45, v17, vcc
	v_add_f32_e32 v22, v17, v15
	v_mov_b32_e32 v14, s71
	v_cndmask_b32_e64 v17, v14, v17, s[4:5]
	v_cndmask_b32_e64 v14, v15, v22, s[4:5]
	v_sub_f32_e32 v15, v23, v65
	v_mul_f32_e32 v22, 0x3fb8aa3b, v15
	v_fma_f32 v23, v15, s48, -v22
	v_rndne_f32_e32 v27, v22
	v_fmac_f32_e32 v23, 0x32a5705f, v15
	v_sub_f32_e32 v22, v22, v27
	v_add_f32_e32 v22, v22, v23
	v_exp_f32_e32 v22, v22
	v_cvt_i32_f32_e32 v23, v27
	v_cmp_ngt_f32_e32 vcc, s50, v15
	v_ldexp_f32 v22, v22, v23
	v_cndmask_b32_e32 v22, 0, v22, vcc
	v_cmp_nlt_f32_e32 vcc, s49, v15
	v_cndmask_b32_e32 v22, v45, v22, vcc
	v_add_f32_e32 v23, v22, v14
	v_mov_b32_e32 v15, s71
	v_cndmask_b32_e64 v211, v15, v22, s[36:37]
	;; [unrolled: 18-line block ×3, first 2 shown]
	v_cndmask_b32_e64 v14, v15, v23, s[38:39]
	v_sub_f32_e32 v15, v25, v65
	v_mul_f32_e32 v22, 0x3fb8aa3b, v15
	v_fma_f32 v23, v15, s48, -v22
	v_rndne_f32_e32 v24, v22
	v_fmac_f32_e32 v23, 0x32a5705f, v15
	v_sub_f32_e32 v22, v22, v24
	v_add_f32_e32 v22, v22, v23
	v_exp_f32_e32 v22, v22
	v_cvt_i32_f32_e32 v23, v24
	v_cmp_ngt_f32_e32 vcc, s50, v15
	v_ldexp_f32 v22, v22, v23
	v_cndmask_b32_e32 v22, 0, v22, vcc
	v_cmp_nlt_f32_e32 vcc, s49, v15
	v_cndmask_b32_e32 v213, v45, v22, vcc
	v_add_f32_e32 v15, v213, v14
	v_cndmask_b32_e64 v27, v14, v15, s[40:41]
	v_sub_f32_e32 v14, v128, v65
	v_mul_f32_e32 v15, 0x3fb8aa3b, v14
	v_fma_f32 v22, v14, s48, -v15
	v_rndne_f32_e32 v23, v15
	v_fmac_f32_e32 v22, 0x32a5705f, v14
	v_sub_f32_e32 v15, v15, v23
	v_add_f32_e32 v15, v15, v22
	v_exp_f32_e32 v15, v15
	v_cvt_i32_f32_e32 v22, v23
	v_cmp_ngt_f32_e32 vcc, s50, v14
	v_ldexp_f32 v15, v15, v22
	v_cndmask_b32_e32 v15, 0, v15, vcc
	v_cmp_nlt_f32_e32 vcc, s49, v14
	v_cndmask_b32_e32 v15, v45, v15, vcc
	v_cmp_le_f32_e32 vcc, s88, v14
	v_cndmask_b32_e32 v14, 0, v15, vcc
	v_fmac_f32_e32 v27, v47, v14
	v_cvt_f16_f32_e32 v14, v14
	v_mov_b32_e32 v15, s71
	v_cndmask_b32_e64 v128, v15, v16, s[34:35]
	v_cndmask_b32_e64 v21, v15, v21, s[24:25]
	v_pk_mul_f16 v112, v14, v112 op_sel_hi:[0,1]
	v_pk_mul_f16 v111, v14, v111 op_sel_hi:[0,1]
	;; [unrolled: 1-line block ×14, first 2 shown]
	v_cndmask_b32_e64 v119, v15, v213, s[40:41]
	v_cndmask_b32_e64 v144, v15, v144, s[16:17]
	v_cvt_f16_f32_e32 v14, v17
	v_cvt_f16_f32_e32 v15, v211
	;; [unrolled: 1-line block ×5, first 2 shown]
	v_pack_b32_f16 v14, v14, v15
	v_cvt_f16_f32_e32 v15, v212
	v_mov_b32_e32 v119, s43
	v_pack_b32_f16 v15, v15, v16
	v_cvt_f16_f32_e32 v16, v146
	v_pack_b32_f16 v16, v16, v17
	v_cvt_f16_f32_e32 v17, v210
	;; [unrolled: 2-line block ×3, first 2 shown]
	v_mov_b32_e32 v130, s43
	v_pack_b32_f16 v18, v18, v19
	v_cvt_f16_f32_e32 v19, v20
	v_cvt_f16_f32_e32 v20, v21
	;; [unrolled: 1-line block ×3, first 2 shown]
	v_pack_b32_f16 v19, v19, v20
	v_cvt_f16_f32_e32 v20, v26
	v_cvt_f16_f32_e32 v26, v144
	v_pack_b32_f16 v20, v20, v21
	v_cvt_f16_f32_e32 v21, v142
	v_pack_b32_f16 v21, v21, v26
	v_add_co_u32_e32 v26, vcc, s44, v50
	v_addc_co_u32_e32 v119, vcc, v119, v51, vcc
	v_add_co_u32_e32 v26, vcc, v26, v239
	v_addc_co_u32_e32 v119, vcc, 0, v119, vcc
	;; [unrolled: 2-line block ×3, first 2 shown]
	v_mov_b32_e32 v26, s69
	v_cndmask_b32_e64 v211, v26, v119, s[10:11]
	v_mov_b32_e32 v119, s68
	v_cndmask_b32_e64 v210, v119, v128, s[10:11]
	flat_load_dwordx4 v[210:213], v[210:211]
	v_add_co_u32_e32 v128, vcc, s44, v52
	v_addc_co_u32_e32 v130, vcc, v130, v53, vcc
	v_add_co_u32_e32 v128, vcc, v128, v46
	v_addc_co_u32_e32 v130, vcc, 0, v130, vcc
	s_waitcnt vmcnt(0) lgkmcnt(0)
	ds_write_b128 v206, v[210:213]
	v_cndmask_b32_e64 v211, v26, v130, s[12:13]
	v_cndmask_b32_e64 v210, v119, v128, s[12:13]
	flat_load_dwordx4 v[210:213], v[210:211]
	v_add_co_u32_e32 v128, vcc, s44, v54
	v_mov_b32_e32 v130, s43
	v_addc_co_u32_e32 v130, vcc, v130, v55, vcc
	v_add_co_u32_e32 v46, vcc, v128, v46
	v_addc_co_u32_e32 v128, vcc, 0, v130, vcc
	s_waitcnt vmcnt(0) lgkmcnt(0)
	ds_write_b128 v207, v[210:213]
	v_cndmask_b32_e64 v211, v26, v128, s[14:15]
	v_cndmask_b32_e64 v210, v119, v46, s[14:15]
	flat_load_dwordx4 v[210:213], v[210:211]
	s_waitcnt vmcnt(0) lgkmcnt(0)
	ds_write_b128 v208, v[210:213]
	s_waitcnt lgkmcnt(0)
	s_barrier
	ds_read_u16 v26, v177 offset:480
	ds_read_u16 v46, v178
	ds_read_u16 v119, v178 offset:32
	v_cvt_f32_f16_e32 v212, v111
	v_cvt_f32_f16_sdwa v213, v111 dst_sel:DWORD dst_unused:UNUSED_PAD src0_sel:WORD_1
	v_cvt_f32_f16_e32 v210, v112
	s_waitcnt lgkmcnt(1)
	v_perm_b32 v237, v46, v26, s51
	ds_read_u16 v26, v176
	ds_read_u16 v46, v176 offset:32
	ds_read_u16 v111, v177 offset:240
	;; [unrolled: 1-line block ×3, first 2 shown]
	v_cvt_f32_f16_sdwa v211, v112 dst_sel:DWORD dst_unused:UNUSED_PAD src0_sel:WORD_1
	ds_read_u16 v140, v176 offset:3840
	ds_read_u16 v142, v177 offset:4080
	;; [unrolled: 1-line block ×4, first 2 shown]
	s_waitcnt lgkmcnt(5)
	v_perm_b32 v236, v111, v26, s51
	s_nop 1
	v_mfma_f32_16x16x16f16 v[210:213], v[236:237], v[20:21], v[210:213]
	s_waitcnt lgkmcnt(0)
	v_perm_b32 v237, v146, v144, s51
	v_perm_b32 v236, v142, v140, s51
	ds_read_u16 v140, v176 offset:7680
	ds_read_u16 v142, v177 offset:7920
	;; [unrolled: 1-line block ×4, first 2 shown]
	s_nop 3
	v_cvt_f16_f32_e32 v26, v210
	v_cvt_f16_f32_e32 v111, v211
	;; [unrolled: 1-line block ×4, first 2 shown]
	v_cvt_f32_f16_e32 v210, v26
	v_cvt_f32_f16_e32 v211, v111
	;; [unrolled: 1-line block ×4, first 2 shown]
	s_nop 1
	v_mfma_f32_16x16x16f16 v[210:213], v[236:237], v[18:19], v[210:213]
	s_waitcnt lgkmcnt(0)
	v_perm_b32 v237, v146, v144, s51
	v_perm_b32 v236, v142, v140, s51
	ds_read_u16 v140, v176 offset:11520
	ds_read_u16 v142, v177 offset:11760
	ds_read_u16 v144, v181 offset:480
	ds_read_u16 v146, v178 offset:11520
	s_nop 3
	v_cvt_f16_f32_e32 v26, v210
	v_cvt_f16_f32_e32 v111, v211
	;; [unrolled: 1-line block ×4, first 2 shown]
	v_cvt_f32_f16_e32 v210, v26
	v_cvt_f32_f16_e32 v211, v111
	;; [unrolled: 1-line block ×4, first 2 shown]
	s_nop 1
	v_mfma_f32_16x16x16f16 v[210:213], v[236:237], v[16:17], v[210:213]
	s_waitcnt lgkmcnt(0)
	v_perm_b32 v237, v146, v144, s51
	v_perm_b32 v236, v142, v140, s51
	s_nop 7
	v_cvt_f16_f32_e32 v26, v210
	v_cvt_f16_f32_e32 v111, v211
	;; [unrolled: 1-line block ×4, first 2 shown]
	v_cvt_f32_f16_e32 v210, v26
	v_cvt_f32_f16_e32 v211, v111
	;; [unrolled: 1-line block ×4, first 2 shown]
	s_nop 1
	v_mfma_f32_16x16x16f16 v[210:213], v[236:237], v[14:15], v[210:213]
	v_perm_b32 v236, v128, v46, s51
	s_nop 7
	s_nop 1
	v_cvt_f16_f32_e32 v26, v210
	v_cvt_f16_f32_e32 v111, v211
	;; [unrolled: 1-line block ×4, first 2 shown]
	v_cvt_f32_f16_e32 v210, v116
	v_pack_b32_f16 v112, v26, v111
	ds_read_u16 v26, v182 offset:480
	v_cvt_f32_f16_sdwa v211, v116 dst_sel:DWORD dst_unused:UNUSED_PAD src0_sel:WORD_1
	v_cvt_f32_f16_e32 v212, v115
	v_cvt_f32_f16_sdwa v213, v115 dst_sel:DWORD dst_unused:UNUSED_PAD src0_sel:WORD_1
	v_pack_b32_f16 v111, v130, v140
	s_waitcnt lgkmcnt(0)
	v_perm_b32 v237, v119, v26, s51
	ds_read_u16 v119, v176 offset:3872
	ds_read_u16 v128, v177 offset:4112
	;; [unrolled: 1-line block ×4, first 2 shown]
	v_mfma_f32_16x16x16f16 v[210:213], v[236:237], v[20:21], v[210:213]
	s_waitcnt lgkmcnt(0)
	v_perm_b32 v237, v140, v130, s51
	v_perm_b32 v236, v128, v119, s51
	ds_read_u16 v119, v176 offset:7712
	ds_read_u16 v128, v177 offset:7952
	ds_read_u16 v130, v184 offset:480
	ds_read_u16 v140, v178 offset:7712
	s_nop 3
	v_cvt_f16_f32_e32 v26, v210
	v_cvt_f16_f32_e32 v46, v211
	;; [unrolled: 1-line block ×4, first 2 shown]
	v_cvt_f32_f16_e32 v210, v26
	v_cvt_f32_f16_e32 v211, v46
	;; [unrolled: 1-line block ×4, first 2 shown]
	s_nop 1
	v_mfma_f32_16x16x16f16 v[210:213], v[236:237], v[18:19], v[210:213]
	s_waitcnt lgkmcnt(0)
	v_perm_b32 v237, v140, v130, s51
	v_perm_b32 v236, v128, v119, s51
	ds_read_u16 v119, v176 offset:11552
	ds_read_u16 v128, v177 offset:11792
	;; [unrolled: 1-line block ×4, first 2 shown]
	s_nop 3
	v_cvt_f16_f32_e32 v26, v210
	v_cvt_f16_f32_e32 v46, v211
	;; [unrolled: 1-line block ×4, first 2 shown]
	v_cvt_f32_f16_e32 v210, v26
	v_cvt_f32_f16_e32 v211, v46
	;; [unrolled: 1-line block ×4, first 2 shown]
	s_nop 1
	v_mfma_f32_16x16x16f16 v[210:213], v[236:237], v[16:17], v[210:213]
	s_waitcnt lgkmcnt(0)
	v_perm_b32 v237, v140, v130, s51
	v_perm_b32 v236, v128, v119, s51
	s_nop 7
	v_cvt_f16_f32_e32 v26, v210
	v_cvt_f16_f32_e32 v46, v211
	;; [unrolled: 1-line block ×4, first 2 shown]
	v_cvt_f32_f16_e32 v210, v26
	v_cvt_f32_f16_e32 v211, v46
	;; [unrolled: 1-line block ×4, first 2 shown]
	s_nop 1
	v_mfma_f32_16x16x16f16 v[210:213], v[236:237], v[14:15], v[210:213]
	s_nop 7
	s_nop 2
	v_cvt_f16_f32_e32 v26, v210
	v_cvt_f16_f32_e32 v46, v211
	v_cvt_f16_f32_e32 v115, v212
	v_cvt_f16_f32_e32 v119, v213
	v_cvt_f32_f16_e32 v210, v118
	v_pack_b32_f16 v116, v26, v46
	v_cvt_f32_f16_sdwa v211, v118 dst_sel:DWORD dst_unused:UNUSED_PAD src0_sel:WORD_1
	v_pack_b32_f16 v115, v115, v119
	ds_read_u16 v26, v176 offset:64
	ds_read_u16 v46, v177 offset:304
	;; [unrolled: 1-line block ×4, first 2 shown]
	v_cvt_f32_f16_e32 v212, v117
	v_cvt_f32_f16_sdwa v213, v117 dst_sel:DWORD dst_unused:UNUSED_PAD src0_sel:WORD_1
	s_waitcnt lgkmcnt(2)
	v_perm_b32 v118, v46, v26, s51
	s_waitcnt lgkmcnt(0)
	v_perm_b32 v119, v128, v119, s51
	s_nop 1
	v_mfma_f32_16x16x16f16 v[210:213], v[118:119], v[20:21], v[210:213]
	ds_read_u16 v128, v176 offset:3904
	ds_read_u16 v130, v177 offset:4144
	ds_read_u16 v119, v187 offset:480
	ds_read_u16 v140, v178 offset:3904
	s_waitcnt lgkmcnt(0)
	v_perm_b32 v119, v140, v119, s51
	s_nop 4
	v_cvt_f16_f32_e32 v118, v213
	v_cvt_f16_f32_e32 v26, v210
	v_cvt_f16_f32_e32 v46, v211
	v_cvt_f16_f32_e32 v117, v212
	v_cvt_f32_f16_e32 v213, v118
	v_perm_b32 v118, v130, v128, s51
	v_cvt_f32_f16_e32 v210, v26
	v_cvt_f32_f16_e32 v211, v46
	v_cvt_f32_f16_e32 v212, v117
	s_nop 1
	v_mfma_f32_16x16x16f16 v[210:213], v[118:119], v[18:19], v[210:213]
	ds_read_u16 v128, v176 offset:7744
	ds_read_u16 v130, v177 offset:7984
	ds_read_u16 v119, v188 offset:480
	ds_read_u16 v140, v178 offset:7744
	s_waitcnt lgkmcnt(0)
	v_perm_b32 v119, v140, v119, s51
	s_nop 4
	v_cvt_f16_f32_e32 v118, v213
	v_cvt_f16_f32_e32 v26, v210
	v_cvt_f16_f32_e32 v46, v211
	v_cvt_f16_f32_e32 v117, v212
	v_cvt_f32_f16_e32 v213, v118
	v_perm_b32 v118, v130, v128, s51
	v_cvt_f32_f16_e32 v210, v26
	v_cvt_f32_f16_e32 v211, v46
	v_cvt_f32_f16_e32 v212, v117
	;; [unrolled: 18-line block ×3, first 2 shown]
	s_nop 1
	v_mfma_f32_16x16x16f16 v[210:213], v[118:119], v[14:15], v[210:213]
	s_nop 7
	s_nop 2
	v_cvt_f16_f32_e32 v26, v210
	v_cvt_f16_f32_e32 v46, v211
	;; [unrolled: 1-line block ×4, first 2 shown]
	v_cvt_f32_f16_e32 v212, v47
	v_pack_b32_f16 v118, v26, v46
	v_cvt_f32_f16_sdwa v213, v47 dst_sel:DWORD dst_unused:UNUSED_PAD src0_sel:WORD_1
	v_pack_b32_f16 v117, v117, v119
	ds_read_u16 v26, v176 offset:96
	ds_read_u16 v46, v177 offset:336
	;; [unrolled: 1-line block ×4, first 2 shown]
	v_cvt_f32_f16_e32 v210, v233
	v_cvt_f32_f16_sdwa v211, v233 dst_sel:DWORD dst_unused:UNUSED_PAD src0_sel:WORD_1
	s_waitcnt lgkmcnt(2)
	v_perm_b32 v46, v46, v26, s51
	s_waitcnt lgkmcnt(0)
	v_perm_b32 v47, v128, v119, s51
	ds_read_u16 v128, v176 offset:3936
	ds_read_u16 v130, v177 offset:4176
	ds_read_u16 v140, v191 offset:480
	ds_read_u16 v142, v178 offset:3936
	v_mfma_f32_16x16x16f16 v[210:213], v[46:47], v[20:21], v[210:213]
	s_nop 7
	s_nop 2
	v_cvt_f16_f32_e32 v46, v211
	v_cvt_f16_f32_e32 v47, v212
	v_cvt_f16_f32_e32 v26, v210
	v_cvt_f16_f32_e32 v119, v213
	v_cvt_f32_f16_e32 v211, v46
	v_cvt_f32_f16_e32 v212, v47
	s_waitcnt lgkmcnt(0)
	v_perm_b32 v47, v142, v140, s51
	v_perm_b32 v46, v130, v128, s51
	v_cvt_f32_f16_e32 v210, v26
	v_cvt_f32_f16_e32 v213, v119
	ds_read_u16 v128, v176 offset:7776
	ds_read_u16 v130, v177 offset:8016
	ds_read_u16 v140, v192 offset:480
	ds_read_u16 v142, v178 offset:7776
	v_mfma_f32_16x16x16f16 v[210:213], v[46:47], v[18:19], v[210:213]
	s_nop 7
	s_nop 2
	v_cvt_f16_f32_e32 v46, v211
	v_cvt_f16_f32_e32 v47, v212
	v_cvt_f16_f32_e32 v26, v210
	v_cvt_f16_f32_e32 v119, v213
	v_cvt_f32_f16_e32 v211, v46
	v_cvt_f32_f16_e32 v212, v47
	s_waitcnt lgkmcnt(0)
	v_perm_b32 v47, v142, v140, s51
	v_perm_b32 v46, v130, v128, s51
	v_cvt_f32_f16_e32 v210, v26
	v_cvt_f32_f16_e32 v213, v119
	;; [unrolled: 18-line block ×3, first 2 shown]
	s_nop 1
	v_mfma_f32_16x16x16f16 v[210:213], v[46:47], v[14:15], v[210:213]
	s_nop 7
	s_nop 2
	v_cvt_f16_f32_e32 v26, v210
	v_cvt_f16_f32_e32 v46, v211
	;; [unrolled: 1-line block ×4, first 2 shown]
	v_cvt_f32_f16_e32 v210, v29
	v_pack_b32_f16 v233, v26, v46
	v_cvt_f32_f16_sdwa v211, v29 dst_sel:DWORD dst_unused:UNUSED_PAD src0_sel:WORD_1
	v_pack_b32_f16 v119, v47, v119
	ds_read_u16 v26, v176 offset:128
	ds_read_u16 v46, v177 offset:368
	;; [unrolled: 1-line block ×4, first 2 shown]
	v_cvt_f32_f16_e32 v212, v28
	v_cvt_f32_f16_sdwa v213, v28 dst_sel:DWORD dst_unused:UNUSED_PAD src0_sel:WORD_1
	s_waitcnt lgkmcnt(2)
	v_perm_b32 v28, v46, v26, s51
	s_waitcnt lgkmcnt(0)
	v_perm_b32 v29, v128, v47, s51
	ds_read_u16 v47, v176 offset:3968
	ds_read_u16 v128, v177 offset:4208
	ds_read_u16 v130, v195 offset:480
	ds_read_u16 v140, v178 offset:3968
	v_mfma_f32_16x16x16f16 v[210:213], v[28:29], v[20:21], v[210:213]
	s_nop 7
	s_nop 2
	v_cvt_f16_f32_e32 v28, v211
	v_cvt_f16_f32_e32 v29, v212
	v_cvt_f16_f32_e32 v26, v210
	v_cvt_f16_f32_e32 v46, v213
	v_cvt_f32_f16_e32 v211, v28
	v_cvt_f32_f16_e32 v212, v29
	s_waitcnt lgkmcnt(0)
	v_perm_b32 v29, v140, v130, s51
	v_perm_b32 v28, v128, v47, s51
	v_cvt_f32_f16_e32 v210, v26
	v_cvt_f32_f16_e32 v213, v46
	ds_read_u16 v47, v176 offset:7808
	ds_read_u16 v128, v177 offset:8048
	ds_read_u16 v130, v196 offset:480
	ds_read_u16 v140, v178 offset:7808
	v_mfma_f32_16x16x16f16 v[210:213], v[28:29], v[18:19], v[210:213]
	s_nop 7
	s_nop 2
	v_cvt_f16_f32_e32 v28, v211
	v_cvt_f16_f32_e32 v29, v212
	v_cvt_f16_f32_e32 v26, v210
	v_cvt_f16_f32_e32 v46, v213
	v_cvt_f32_f16_e32 v211, v28
	v_cvt_f32_f16_e32 v212, v29
	s_waitcnt lgkmcnt(0)
	v_perm_b32 v29, v140, v130, s51
	v_perm_b32 v28, v128, v47, s51
	v_cvt_f32_f16_e32 v210, v26
	v_cvt_f32_f16_e32 v213, v46
	ds_read_u16 v47, v176 offset:11648
	ds_read_u16 v128, v177 offset:11888
	ds_read_u16 v130, v197 offset:480
	ds_read_u16 v140, v178 offset:11648
	v_mfma_f32_16x16x16f16 v[210:213], v[28:29], v[16:17], v[210:213]
	s_nop 7
	s_nop 2
	v_cvt_f16_f32_e32 v28, v211
	v_cvt_f16_f32_e32 v29, v212
	v_cvt_f16_f32_e32 v26, v210
	v_cvt_f16_f32_e32 v46, v213
	v_cvt_f32_f16_e32 v211, v28
	v_cvt_f32_f16_e32 v212, v29
	s_waitcnt lgkmcnt(0)
	v_perm_b32 v29, v140, v130, s51
	v_perm_b32 v28, v128, v47, s51
	v_cvt_f32_f16_e32 v210, v26
	v_cvt_f32_f16_e32 v213, v46
	s_nop 1
	v_mfma_f32_16x16x16f16 v[210:213], v[28:29], v[14:15], v[210:213]
	s_nop 7
	s_nop 2
	v_cvt_f16_f32_e32 v26, v210
	v_cvt_f16_f32_e32 v28, v211
	;; [unrolled: 1-line block ×4, first 2 shown]
	v_cvt_f32_f16_e32 v210, v25
	v_pack_b32_f16 v235, v26, v28
	v_cvt_f32_f16_sdwa v211, v25 dst_sel:DWORD dst_unused:UNUSED_PAD src0_sel:WORD_1
	v_pack_b32_f16 v232, v29, v46
	ds_read_u16 v26, v176 offset:160
	ds_read_u16 v28, v177 offset:400
	;; [unrolled: 1-line block ×4, first 2 shown]
	v_cvt_f32_f16_e32 v212, v24
	v_cvt_f32_f16_sdwa v213, v24 dst_sel:DWORD dst_unused:UNUSED_PAD src0_sel:WORD_1
	s_waitcnt lgkmcnt(2)
	v_perm_b32 v24, v28, v26, s51
	s_waitcnt lgkmcnt(0)
	v_perm_b32 v25, v46, v29, s51
	ds_read_u16 v29, v176 offset:4000
	ds_read_u16 v46, v177 offset:4240
	ds_read_u16 v47, v199 offset:480
	ds_read_u16 v128, v178 offset:4000
	v_mfma_f32_16x16x16f16 v[210:213], v[24:25], v[20:21], v[210:213]
	s_nop 7
	s_nop 2
	v_cvt_f16_f32_e32 v24, v210
	v_cvt_f16_f32_e32 v25, v211
	v_cvt_f16_f32_e32 v26, v212
	v_cvt_f16_f32_e32 v28, v213
	v_cvt_f32_f16_e32 v210, v24
	v_cvt_f32_f16_e32 v211, v25
	s_waitcnt lgkmcnt(0)
	v_perm_b32 v25, v128, v47, s51
	v_perm_b32 v24, v46, v29, s51
	v_cvt_f32_f16_e32 v212, v26
	v_cvt_f32_f16_e32 v213, v28
	ds_read_u16 v29, v176 offset:7840
	ds_read_u16 v46, v177 offset:8080
	ds_read_u16 v47, v200 offset:480
	ds_read_u16 v128, v178 offset:7840
	v_mfma_f32_16x16x16f16 v[210:213], v[24:25], v[18:19], v[210:213]
	s_nop 7
	s_nop 2
	v_cvt_f16_f32_e32 v24, v210
	v_cvt_f16_f32_e32 v25, v211
	v_cvt_f16_f32_e32 v26, v212
	v_cvt_f16_f32_e32 v28, v213
	v_cvt_f32_f16_e32 v210, v24
	v_cvt_f32_f16_e32 v211, v25
	s_waitcnt lgkmcnt(0)
	v_perm_b32 v25, v128, v47, s51
	v_perm_b32 v24, v46, v29, s51
	v_cvt_f32_f16_e32 v212, v26
	v_cvt_f32_f16_e32 v213, v28
	;; [unrolled: 18-line block ×3, first 2 shown]
	s_nop 1
	v_mfma_f32_16x16x16f16 v[210:213], v[24:25], v[14:15], v[210:213]
	s_nop 7
	s_nop 2
	v_cvt_f16_f32_e32 v24, v210
	v_cvt_f16_f32_e32 v25, v211
	;; [unrolled: 1-line block ×4, first 2 shown]
	v_cvt_f32_f16_e32 v210, v23
	v_pack_b32_f16 v236, v24, v25
	v_cvt_f32_f16_sdwa v211, v23 dst_sel:DWORD dst_unused:UNUSED_PAD src0_sel:WORD_1
	v_pack_b32_f16 v237, v26, v28
	ds_read_u16 v24, v176 offset:192
	ds_read_u16 v25, v177 offset:432
	;; [unrolled: 1-line block ×4, first 2 shown]
	v_cvt_f32_f16_e32 v212, v22
	v_cvt_f32_f16_sdwa v213, v22 dst_sel:DWORD dst_unused:UNUSED_PAD src0_sel:WORD_1
	s_waitcnt lgkmcnt(2)
	v_perm_b32 v22, v25, v24, s51
	s_waitcnt lgkmcnt(0)
	v_perm_b32 v23, v28, v26, s51
	ds_read_u16 v24, v176 offset:4032
	ds_read_u16 v26, v177 offset:4272
	;; [unrolled: 1-line block ×4, first 2 shown]
	v_mfma_f32_16x16x16f16 v[20:23], v[22:23], v[20:21], v[210:213]
	s_waitcnt lgkmcnt(0)
	v_perm_b32 v25, v28, v25, s51
	v_perm_b32 v24, v26, v24, s51
	s_nop 7
	v_cvt_f16_f32_e32 v20, v20
	v_cvt_f16_f32_e32 v21, v21
	;; [unrolled: 1-line block ×4, first 2 shown]
	v_cvt_f32_f16_e32 v20, v20
	v_cvt_f32_f16_e32 v21, v21
	;; [unrolled: 1-line block ×4, first 2 shown]
	s_nop 1
	v_mfma_f32_16x16x16f16 v[18:21], v[24:25], v[18:19], v[20:23]
	s_nop 6
	ds_read_u16 v22, v176 offset:7872
	ds_read_u16 v24, v177 offset:8112
	;; [unrolled: 1-line block ×4, first 2 shown]
	s_waitcnt lgkmcnt(2)
	v_perm_b32 v22, v24, v22, s51
	s_waitcnt lgkmcnt(0)
	v_perm_b32 v23, v25, v23, s51
	v_cvt_f16_f32_e32 v18, v18
	v_cvt_f16_f32_e32 v19, v19
	v_cvt_f16_f32_e32 v20, v20
	v_cvt_f16_f32_e32 v21, v21
	v_cvt_f32_f16_e32 v18, v18
	v_cvt_f32_f16_e32 v19, v19
	;; [unrolled: 1-line block ×4, first 2 shown]
	s_nop 1
	v_mfma_f32_16x16x16f16 v[18:21], v[22:23], v[16:17], v[18:21]
	s_nop 7
	s_nop 2
	v_cvt_f16_f32_e32 v17, v18
	v_cvt_f16_f32_e32 v18, v19
	;; [unrolled: 1-line block ×4, first 2 shown]
	ds_read_u16 v16, v176 offset:11712
	ds_read_u16 v21, v177 offset:11952
	;; [unrolled: 1-line block ×4, first 2 shown]
	v_cvt_f32_f16_e32 v210, v17
	v_cvt_f32_f16_e32 v211, v18
	s_waitcnt lgkmcnt(2)
	v_perm_b32 v16, v21, v16, s51
	v_cvt_f32_f16_e32 v212, v19
	s_waitcnt lgkmcnt(0)
	v_perm_b32 v17, v23, v22, s51
	v_cvt_f32_f16_e32 v213, v20
	s_barrier
	s_nop 0
	v_mfma_f32_16x16x16f16 v[14:17], v[16:17], v[14:15], v[210:213]
	s_nop 7
	s_nop 2
	v_cvt_f16_f32_e32 v14, v14
	v_cvt_f16_f32_e32 v15, v15
	v_cvt_f16_f32_e32 v16, v16
	v_cvt_f16_f32_e32 v17, v17
	v_pack_b32_f16 v238, v14, v15
	v_pack_b32_f16 v231, v16, v17
	s_cbranch_scc0 .LBB19_101
; %bb.97:                               ;   in Loop: Header=BB19_80 Depth=2
	v_mov_b32_e32 v47, v27
	v_mov_b32_e32 v128, v65
	s_branch .LBB19_80
.LBB19_98:                              ;   in Loop: Header=BB19_13 Depth=1
	s_mov_b64 s[54:55], 0
                                        ; implicit-def: $vgpr2_vgpr3
                                        ; implicit-def: $vgpr0
	s_cbranch_execnz .LBB19_195
.LBB19_99:                              ;   in Loop: Header=BB19_13 Depth=1
	v_readlane_b32 s61, v254, 23
	v_readlane_b32 s62, v254, 24
	s_and_saveexec_b64 s[42:43], s[54:55]
	s_cbranch_execz .LBB19_12
	s_branch .LBB19_365
.LBB19_100:                             ;   in Loop: Header=BB19_13 Depth=1
	v_mov_b32_e32 v27, 0
	v_mov_b32_e32 v65, 0xfeffffff
	v_mov_b32_e32 v238, 0
	v_mov_b32_e32 v111, 0
	v_mov_b32_e32 v112, 0
	v_mov_b32_e32 v115, 0
	v_mov_b32_e32 v116, 0
	v_mov_b32_e32 v117, 0
	v_mov_b32_e32 v118, 0
	v_mov_b32_e32 v119, 0
	v_mov_b32_e32 v233, 0
	v_mov_b32_e32 v232, 0
	v_mov_b32_e32 v235, 0
	v_mov_b32_e32 v237, 0
	v_mov_b32_e32 v236, 0
.LBB19_101:                             ;   in Loop: Header=BB19_13 Depth=1
	s_lshl_b32 s56, s58, 6
	v_readlane_b32 s42, v253, 4
	v_cmp_eq_u64_e32 vcc, 0, v[66:67]
	s_sub_i32 s67, s42, s56
	v_cmp_ne_u64_e64 s[78:79], 0, v[66:67]
	s_ashr_i32 s57, s56, 31
	v_readlane_b32 s43, v253, 5
	s_cbranch_vccnz .LBB19_119
; %bb.102:                              ;   in Loop: Header=BB19_13 Depth=1
	v_cmp_le_i32_e32 vcc, s67, v30
                                        ; implicit-def: $sgpr44
	s_and_saveexec_b64 s[42:43], vcc
	s_xor_b64 s[42:43], exec, s[42:43]
	s_cbranch_execz .LBB19_104
; %bb.103:                              ;   in Loop: Header=BB19_13 Depth=1
	ds_write_b16 v127, v122 offset:15360
	ds_write_b16 v129, v122 offset:15360
	s_mov_b32 s44, 0
.LBB19_104:                             ;   in Loop: Header=BB19_13 Depth=1
	s_or_saveexec_b64 s[54:55], s[42:43]
	s_lshl_b64 s[42:43], s[56:57], 1
	v_mov_b32_e32 v14, s43
	v_add_co_u32_e64 v15, s[42:43], s42, v66
	v_addc_co_u32_e64 v16, s[42:43], v67, v14, s[42:43]
	v_lshlrev_b32_e32 v14, 1, v30
	v_add_co_u32_e64 v14, s[42:43], v15, v14
	v_addc_co_u32_e64 v15, s[42:43], 0, v16, s[42:43]
	v_mov_b32_e32 v16, s44
	v_mov_b32_e32 v17, s44
	s_xor_b64 exec, exec, s[54:55]
	s_cbranch_execz .LBB19_106
; %bb.105:                              ;   in Loop: Header=BB19_13 Depth=1
	v_add_u32_e32 v16, s59, v120
	v_readlane_b32 s72, v253, 17
	v_mul_hi_u32 v17, s72, v16
	v_readlane_b32 s73, v253, 18
	v_add_u32_e32 v17, v16, v17
	v_readlane_b32 s60, v253, 7
	v_lshrrev_b32_e32 v17, s73, v17
	s_mov_b32 s44, s60
	v_mul_lo_u32 v17, v17, s44
	v_readlane_b32 s42, v253, 56
	v_sub_u32_e32 v16, v16, v17
	v_readlane_b32 s43, v253, 57
	s_mov_b32 s58, s42
	v_mad_i64_i32 v[16:17], s[42:43], v16, s58, 0
	v_lshlrev_b64 v[16:17], 1, v[16:17]
	v_add_co_u32_e64 v16, s[42:43], v14, v16
	v_addc_co_u32_e64 v17, s[42:43], v15, v17, s[42:43]
	flat_load_ushort v18, v[16:17]
	v_add_u32_e32 v16, 4, v120
	v_add_u32_e32 v16, s59, v16
	v_mul_hi_u32 v17, s72, v16
	v_add_u32_e32 v17, v16, v17
	v_lshrrev_b32_e32 v17, s73, v17
	v_mul_lo_u32 v17, v17, s44
	v_sub_u32_e32 v16, v16, v17
	v_mad_i64_i32 v[16:17], s[42:43], v16, s58, 0
	v_lshlrev_b64 v[16:17], 1, v[16:17]
	v_add_co_u32_e64 v16, s[42:43], v14, v16
	v_addc_co_u32_e64 v17, s[42:43], v15, v17, s[42:43]
	flat_load_ushort v16, v[16:17]
	v_readlane_b32 s61, v253, 8
	v_readlane_b32 s62, v253, 9
	;; [unrolled: 1-line block ×3, first 2 shown]
	s_waitcnt vmcnt(0) lgkmcnt(0)
	ds_write_b16 v127, v18 offset:15360
	ds_write_b16 v129, v16 offset:15360
	v_add_u32_e32 v16, 8, v120
	v_add_u32_e32 v16, s59, v16
	v_mul_hi_u32 v17, s72, v16
	v_add_u32_e32 v17, v16, v17
	v_lshrrev_b32_e32 v17, s73, v17
	v_mul_lo_u32 v17, v17, s44
	v_sub_u32_e32 v16, v16, v17
	v_mad_i64_i32 v[16:17], s[42:43], v16, s58, 0
	v_lshlrev_b64 v[16:17], 1, v[16:17]
	v_add_co_u32_e64 v16, s[42:43], v14, v16
	v_addc_co_u32_e64 v17, s[42:43], v15, v17, s[42:43]
	flat_load_ushort v16, v[16:17]
	v_add_u32_e32 v17, 12, v120
	v_add_u32_e32 v17, s59, v17
	v_mul_hi_u32 v18, s72, v17
	v_add_u32_e32 v18, v17, v18
	v_lshrrev_b32_e32 v18, s73, v18
	v_mul_lo_u32 v18, v18, s44
	v_sub_u32_e32 v17, v17, v18
	v_mad_i64_i32 v[18:19], s[42:43], v17, s58, 0
	v_lshlrev_b64 v[18:19], 1, v[18:19]
	v_add_co_u32_e64 v18, s[42:43], v14, v18
	v_addc_co_u32_e64 v19, s[42:43], v15, v19, s[42:43]
	flat_load_ushort v17, v[18:19]
.LBB19_106:                             ;   in Loop: Header=BB19_13 Depth=1
	s_or_b64 exec, exec, s[54:55]
	s_waitcnt vmcnt(0) lgkmcnt(0)
	ds_write_b16 v131, v16 offset:15360
	ds_write_b16 v133, v17 offset:15360
                                        ; implicit-def: $sgpr44
	s_and_saveexec_b64 s[42:43], vcc
	s_xor_b64 s[42:43], exec, s[42:43]
	s_cbranch_execz .LBB19_108
; %bb.107:                              ;   in Loop: Header=BB19_13 Depth=1
	ds_write_b16 v135, v122 offset:15360
	ds_write_b16 v137, v122 offset:15360
	s_mov_b32 s44, 0
.LBB19_108:                             ;   in Loop: Header=BB19_13 Depth=1
	s_or_saveexec_b64 s[54:55], s[42:43]
	v_mov_b32_e32 v16, s44
	v_mov_b32_e32 v17, s44
	s_xor_b64 exec, exec, s[54:55]
	s_cbranch_execz .LBB19_110
; %bb.109:                              ;   in Loop: Header=BB19_13 Depth=1
	v_add_u32_e32 v16, 16, v120
	v_add_u32_e32 v16, s59, v16
	v_readlane_b32 s72, v253, 17
	v_mul_hi_u32 v17, s72, v16
	v_readlane_b32 s73, v253, 18
	v_add_u32_e32 v17, v16, v17
	v_readlane_b32 s60, v253, 7
	v_lshrrev_b32_e32 v17, s73, v17
	s_mov_b32 s44, s60
	v_mul_lo_u32 v17, v17, s44
	v_readlane_b32 s42, v253, 56
	v_sub_u32_e32 v16, v16, v17
	v_readlane_b32 s43, v253, 57
	s_mov_b32 s58, s42
	v_mad_i64_i32 v[16:17], s[42:43], v16, s58, 0
	v_lshlrev_b64 v[16:17], 1, v[16:17]
	v_add_co_u32_e64 v16, s[42:43], v14, v16
	v_addc_co_u32_e64 v17, s[42:43], v15, v17, s[42:43]
	flat_load_ushort v18, v[16:17]
	v_add_u32_e32 v16, 20, v120
	v_add_u32_e32 v16, s59, v16
	v_mul_hi_u32 v17, s72, v16
	v_add_u32_e32 v17, v16, v17
	v_lshrrev_b32_e32 v17, s73, v17
	v_mul_lo_u32 v17, v17, s44
	v_sub_u32_e32 v16, v16, v17
	v_mad_i64_i32 v[16:17], s[42:43], v16, s58, 0
	v_lshlrev_b64 v[16:17], 1, v[16:17]
	v_add_co_u32_e64 v16, s[42:43], v14, v16
	v_addc_co_u32_e64 v17, s[42:43], v15, v17, s[42:43]
	flat_load_ushort v16, v[16:17]
	v_readlane_b32 s61, v253, 8
	v_readlane_b32 s62, v253, 9
	;; [unrolled: 1-line block ×3, first 2 shown]
	s_waitcnt vmcnt(0) lgkmcnt(0)
	ds_write_b16 v135, v18 offset:15360
	ds_write_b16 v137, v16 offset:15360
	v_add_u32_e32 v16, 24, v120
	v_add_u32_e32 v16, s59, v16
	v_mul_hi_u32 v17, s72, v16
	v_add_u32_e32 v17, v16, v17
	v_lshrrev_b32_e32 v17, s73, v17
	v_mul_lo_u32 v17, v17, s44
	v_sub_u32_e32 v16, v16, v17
	v_mad_i64_i32 v[16:17], s[42:43], v16, s58, 0
	v_lshlrev_b64 v[16:17], 1, v[16:17]
	v_add_co_u32_e64 v16, s[42:43], v14, v16
	v_addc_co_u32_e64 v17, s[42:43], v15, v17, s[42:43]
	flat_load_ushort v16, v[16:17]
	v_add_u32_e32 v17, 28, v120
	v_add_u32_e32 v17, s59, v17
	v_mul_hi_u32 v18, s72, v17
	v_add_u32_e32 v18, v17, v18
	v_lshrrev_b32_e32 v18, s73, v18
	v_mul_lo_u32 v18, v18, s44
	v_sub_u32_e32 v17, v17, v18
	v_mad_i64_i32 v[18:19], s[42:43], v17, s58, 0
	v_lshlrev_b64 v[18:19], 1, v[18:19]
	v_add_co_u32_e64 v18, s[42:43], v14, v18
	v_addc_co_u32_e64 v19, s[42:43], v15, v19, s[42:43]
	flat_load_ushort v17, v[18:19]
.LBB19_110:                             ;   in Loop: Header=BB19_13 Depth=1
	s_or_b64 exec, exec, s[54:55]
	s_waitcnt vmcnt(0) lgkmcnt(0)
	ds_write_b16 v139, v16 offset:15360
	ds_write_b16 v141, v17 offset:15360
                                        ; implicit-def: $sgpr44
	s_and_saveexec_b64 s[42:43], vcc
	s_xor_b64 s[42:43], exec, s[42:43]
	s_cbranch_execz .LBB19_112
; %bb.111:                              ;   in Loop: Header=BB19_13 Depth=1
	ds_write_b16 v143, v122 offset:15360
	ds_write_b16 v145, v122 offset:15360
	s_mov_b32 s44, 0
.LBB19_112:                             ;   in Loop: Header=BB19_13 Depth=1
	s_or_saveexec_b64 s[54:55], s[42:43]
	v_mov_b32_e32 v16, s44
	v_mov_b32_e32 v17, s44
	s_xor_b64 exec, exec, s[54:55]
	s_cbranch_execz .LBB19_114
; %bb.113:                              ;   in Loop: Header=BB19_13 Depth=1
	v_add_u32_e32 v16, 32, v120
	v_add_u32_e32 v16, s59, v16
	v_readlane_b32 s72, v253, 17
	v_mul_hi_u32 v17, s72, v16
	v_readlane_b32 s73, v253, 18
	v_add_u32_e32 v17, v16, v17
	v_readlane_b32 s60, v253, 7
	v_lshrrev_b32_e32 v17, s73, v17
	s_mov_b32 s44, s60
	v_mul_lo_u32 v17, v17, s44
	v_readlane_b32 s42, v253, 56
	v_sub_u32_e32 v16, v16, v17
	v_readlane_b32 s43, v253, 57
	s_mov_b32 s58, s42
	v_mad_i64_i32 v[16:17], s[42:43], v16, s58, 0
	v_lshlrev_b64 v[16:17], 1, v[16:17]
	v_add_co_u32_e64 v16, s[42:43], v14, v16
	v_addc_co_u32_e64 v17, s[42:43], v15, v17, s[42:43]
	flat_load_ushort v18, v[16:17]
	v_add_u32_e32 v16, 36, v120
	v_add_u32_e32 v16, s59, v16
	v_mul_hi_u32 v17, s72, v16
	v_add_u32_e32 v17, v16, v17
	v_lshrrev_b32_e32 v17, s73, v17
	v_mul_lo_u32 v17, v17, s44
	v_sub_u32_e32 v16, v16, v17
	v_mad_i64_i32 v[16:17], s[42:43], v16, s58, 0
	v_lshlrev_b64 v[16:17], 1, v[16:17]
	v_add_co_u32_e64 v16, s[42:43], v14, v16
	v_addc_co_u32_e64 v17, s[42:43], v15, v17, s[42:43]
	flat_load_ushort v16, v[16:17]
	v_readlane_b32 s61, v253, 8
	v_readlane_b32 s62, v253, 9
	;; [unrolled: 1-line block ×3, first 2 shown]
	s_waitcnt vmcnt(0) lgkmcnt(0)
	ds_write_b16 v143, v18 offset:15360
	ds_write_b16 v145, v16 offset:15360
	v_add_u32_e32 v16, 40, v120
	v_add_u32_e32 v16, s59, v16
	v_mul_hi_u32 v17, s72, v16
	v_add_u32_e32 v17, v16, v17
	v_lshrrev_b32_e32 v17, s73, v17
	v_mul_lo_u32 v17, v17, s44
	v_sub_u32_e32 v16, v16, v17
	v_mad_i64_i32 v[16:17], s[42:43], v16, s58, 0
	v_lshlrev_b64 v[16:17], 1, v[16:17]
	v_add_co_u32_e64 v16, s[42:43], v14, v16
	v_addc_co_u32_e64 v17, s[42:43], v15, v17, s[42:43]
	flat_load_ushort v16, v[16:17]
	v_mov_b32_e32 v17, v148
	v_add_u32_e32 v17, s59, v17
	v_mul_hi_u32 v18, s72, v17
	v_add_u32_e32 v18, v17, v18
	v_lshrrev_b32_e32 v18, s73, v18
	v_mul_lo_u32 v18, v18, s44
	v_sub_u32_e32 v17, v17, v18
	v_mad_i64_i32 v[18:19], s[42:43], v17, s58, 0
	v_lshlrev_b64 v[18:19], 1, v[18:19]
	v_add_co_u32_e64 v18, s[42:43], v14, v18
	v_addc_co_u32_e64 v19, s[42:43], v15, v19, s[42:43]
	flat_load_ushort v17, v[18:19]
.LBB19_114:                             ;   in Loop: Header=BB19_13 Depth=1
	s_or_b64 exec, exec, s[54:55]
	s_waitcnt vmcnt(0) lgkmcnt(0)
	ds_write_b16 v147, v16 offset:15360
	ds_write_b16 v149, v17 offset:15360
                                        ; implicit-def: $sgpr44
	s_and_saveexec_b64 s[42:43], vcc
	s_xor_b64 s[42:43], exec, s[42:43]
	s_cbranch_execz .LBB19_116
; %bb.115:                              ;   in Loop: Header=BB19_13 Depth=1
	ds_write_b16 v151, v122 offset:15360
	ds_write_b16 v153, v122 offset:15360
	s_mov_b32 s44, 0
                                        ; implicit-def: $vgpr14
                                        ; implicit-def: $vgpr15
.LBB19_116:                             ;   in Loop: Header=BB19_13 Depth=1
	s_or_saveexec_b64 s[42:43], s[42:43]
	v_mov_b32_e32 v16, s44
	v_mov_b32_e32 v17, s44
	s_xor_b64 exec, exec, s[42:43]
	s_cbranch_execz .LBB19_118
; %bb.117:                              ;   in Loop: Header=BB19_13 Depth=1
	v_mov_b32_e32 v16, v150
	v_add_u32_e32 v16, s59, v16
	v_readlane_b32 s54, v253, 17
	v_mul_hi_u32 v17, s54, v16
	v_readlane_b32 s55, v253, 18
	v_add_u32_e32 v17, v16, v17
	v_lshrrev_b32_e32 v17, s55, v17
	v_readlane_b32 s60, v253, 7
	v_mul_lo_u32 v17, v17, s60
	v_readlane_b32 s44, v253, 56
	v_sub_u32_e32 v16, v16, v17
	v_readlane_b32 s45, v253, 57
	s_mov_b32 s58, s44
	v_mad_i64_i32 v[16:17], s[44:45], v16, s58, 0
	v_lshlrev_b64 v[16:17], 1, v[16:17]
	v_add_co_u32_e32 v16, vcc, v14, v16
	v_addc_co_u32_e32 v17, vcc, v15, v17, vcc
	flat_load_ushort v18, v[16:17]
	v_mov_b32_e32 v16, v152
	v_add_u32_e32 v16, s59, v16
	v_mul_hi_u32 v17, s54, v16
	v_add_u32_e32 v17, v16, v17
	v_lshrrev_b32_e32 v17, s55, v17
	v_mul_lo_u32 v17, v17, s60
	v_sub_u32_e32 v16, v16, v17
	v_mad_i64_i32 v[16:17], s[44:45], v16, s58, 0
	v_lshlrev_b64 v[16:17], 1, v[16:17]
	v_add_co_u32_e32 v16, vcc, v14, v16
	v_addc_co_u32_e32 v17, vcc, v15, v17, vcc
	flat_load_ushort v16, v[16:17]
	v_readlane_b32 s61, v253, 8
	v_readlane_b32 s62, v253, 9
	;; [unrolled: 1-line block ×3, first 2 shown]
	s_waitcnt vmcnt(0) lgkmcnt(0)
	ds_write_b16 v151, v18 offset:15360
	ds_write_b16 v153, v16 offset:15360
	v_mov_b32_e32 v16, v154
	v_add_u32_e32 v16, s59, v16
	v_mul_hi_u32 v17, s54, v16
	v_add_u32_e32 v17, v16, v17
	v_lshrrev_b32_e32 v17, s55, v17
	v_mul_lo_u32 v17, v17, s60
	v_sub_u32_e32 v16, v16, v17
	v_mad_i64_i32 v[16:17], s[44:45], v16, s58, 0
	v_lshlrev_b64 v[16:17], 1, v[16:17]
	v_add_co_u32_e32 v16, vcc, v14, v16
	v_addc_co_u32_e32 v17, vcc, v15, v17, vcc
	flat_load_ushort v16, v[16:17]
	v_mov_b32_e32 v17, v156
	v_add_u32_e32 v17, s59, v17
	v_mul_hi_u32 v18, s54, v17
	v_add_u32_e32 v18, v17, v18
	v_lshrrev_b32_e32 v18, s55, v18
	v_mul_lo_u32 v18, v18, s60
	v_sub_u32_e32 v17, v17, v18
	v_mad_i64_i32 v[18:19], s[44:45], v17, s58, 0
	v_lshlrev_b64 v[18:19], 1, v[18:19]
	v_add_co_u32_e32 v14, vcc, v14, v18
	v_addc_co_u32_e32 v15, vcc, v15, v19, vcc
	flat_load_ushort v17, v[14:15]
.LBB19_118:                             ;   in Loop: Header=BB19_13 Depth=1
	s_or_b64 exec, exec, s[42:43]
	s_waitcnt vmcnt(0) lgkmcnt(0)
	ds_write_b16 v155, v16 offset:15360
	ds_write_b16 v157, v17 offset:15360
.LBB19_119:                             ;   in Loop: Header=BB19_13 Depth=1
	v_readlane_b32 s42, v253, 58
	v_readlane_b32 s43, v253, 59
	s_mul_hi_i32 s43, s56, s42
	s_mul_i32 s42, s56, s42
	s_lshl_b64 s[42:43], s[42:43], 2
	v_readlane_b32 s44, v254, 38
	s_add_u32 s45, s44, s42
	v_readlane_b32 s42, v254, 39
	s_addc_u32 s44, s42, s43
	buffer_store_dword v122, off, s[0:3], 0
	buffer_store_dword v122, off, s[0:3], 0 offset:4
	buffer_store_dword v122, off, s[0:3], 0 offset:8
	;; [unrolled: 1-line block ×3, first 2 shown]
	s_and_saveexec_b64 s[42:43], s[64:65]
	s_cbranch_execz .LBB19_121
; %bb.120:                              ;   in Loop: Header=BB19_13 Depth=1
	v_mov_b32_e32 v14, s44
	v_add_co_u32_e32 v15, vcc, s45, v56
	v_addc_co_u32_e32 v14, vcc, v14, v57, vcc
	v_lshlrev_b32_e32 v16, 2, v40
	v_add_co_u32_e32 v15, vcc, v15, v16
	v_addc_co_u32_e32 v14, vcc, 0, v14, vcc
	v_add_co_u32_e32 v16, vcc, 0xc0, v15
	v_addc_co_u32_e32 v14, vcc, 0, v14, vcc
	v_mov_b32_e32 v15, s69
	v_cmp_gt_i32_e32 vcc, s67, v158
	v_cndmask_b32_e32 v15, v15, v14, vcc
	v_mov_b32_e32 v14, s68
	v_cndmask_b32_e32 v14, v14, v16, vcc
	flat_load_dwordx4 v[14:17], v[14:15]
	s_waitcnt vmcnt(0) lgkmcnt(0)
	ds_write_b128 v159, v[14:17]
.LBB19_121:                             ;   in Loop: Header=BB19_13 Depth=1
	s_or_b64 exec, exec, s[42:43]
	v_add_co_u32_e32 v14, vcc, s45, v58
	v_mov_b32_e32 v15, s44
	v_addc_co_u32_e32 v15, vcc, v15, v59, vcc
	v_lshlrev_b32_e32 v29, 2, v42
	v_add_co_u32_e32 v14, vcc, v14, v29
	v_addc_co_u32_e32 v15, vcc, 0, v15, vcc
	v_add_co_u32_e32 v14, vcc, 0x80, v14
	v_cmp_gt_i32_e64 s[76:77], s67, v160
	v_addc_co_u32_e32 v15, vcc, 0, v15, vcc
	v_mov_b32_e32 v18, s69
	v_mov_b32_e32 v19, s68
	v_cndmask_b32_e64 v15, v18, v15, s[76:77]
	v_cndmask_b32_e64 v14, v19, v14, s[76:77]
	flat_load_dwordx4 v[14:17], v[14:15]
	v_lshlrev_b32_e32 v28, 2, v44
	v_cmp_gt_i32_e64 s[74:75], s67, v125
	v_cmp_gt_i32_e64 s[72:73], s67, v161
	v_add_u32_e32 v26, 0x800, v162
	s_waitcnt vmcnt(0) lgkmcnt(0)
	ds_write_b128 v206, v[14:17]
	v_add_co_u32_e32 v14, vcc, s45, v60
	v_mov_b32_e32 v15, s44
	v_addc_co_u32_e32 v15, vcc, v15, v61, vcc
	v_add_co_u32_e32 v14, vcc, v14, v28
	v_addc_co_u32_e32 v15, vcc, 0, v15, vcc
	v_cndmask_b32_e64 v15, v18, v15, s[74:75]
	v_cndmask_b32_e64 v14, v19, v14, s[74:75]
	flat_load_dwordx4 v[14:17], v[14:15]
	s_waitcnt vmcnt(0) lgkmcnt(0)
	ds_write_b128 v207, v[14:17]
	v_add_co_u32_e32 v14, vcc, s45, v62
	v_mov_b32_e32 v15, s44
	v_addc_co_u32_e32 v15, vcc, v15, v63, vcc
	v_add_co_u32_e32 v14, vcc, v14, v28
	v_addc_co_u32_e32 v15, vcc, 0, v15, vcc
	v_cndmask_b32_e64 v15, v18, v15, s[72:73]
	v_cndmask_b32_e64 v14, v19, v14, s[72:73]
	flat_load_dwordx4 v[14:17], v[14:15]
	s_andn2_b64 vcc, exec, s[78:79]
	s_waitcnt vmcnt(0) lgkmcnt(0)
	ds_write_b128 v208, v[14:17]
	s_waitcnt lgkmcnt(0)
	s_barrier
	ds_read2_b64 v[14:17], v162 offset1:4
	s_waitcnt lgkmcnt(0)
	v_mfma_f32_16x16x16f16 v[18:21], v[14:15], v[10:11], 0
	ds_read_b64 v[46:47], v162 offset:7872
	v_mfma_f32_16x16x16f16 v[14:17], v[16:17], v[12:13], v[18:21]
	s_nop 7
	s_nop 0
	ds_read2_b64 v[18:21], v162 offset0:8 offset1:12
	s_waitcnt lgkmcnt(0)
	v_mfma_f32_16x16x16f16 v[14:17], v[18:19], v[6:7], v[14:17]
	v_mfma_f32_16x16x16f16 v[14:17], v[20:21], v[8:9], v[14:17]
	ds_read2_b64 v[18:21], v162 offset0:16 offset1:20
	s_waitcnt lgkmcnt(0)
	v_mfma_f32_16x16x16f16 v[14:17], v[18:19], v[2:3], v[14:17]
	ds_read_b64 v[18:19], v162 offset:192
	v_mfma_f32_16x16x16f16 v[14:17], v[20:21], v[4:5], v[14:17]
	s_waitcnt lgkmcnt(0)
	v_mfma_f32_16x16x16f16 v[22:25], v[18:19], v[68:69], v[14:17]
	s_nop 7
	s_nop 0
	ds_read2_b64 v[14:17], v26 offset0:224 offset1:228
	s_waitcnt lgkmcnt(0)
	v_mfma_f32_16x16x16f16 v[18:21], v[14:15], v[10:11], 0
	v_mfma_f32_16x16x16f16 v[14:17], v[16:17], v[12:13], v[18:21]
	s_nop 7
	s_nop 1
	ds_read2_b64 v[18:21], v26 offset0:232 offset1:236
	s_waitcnt lgkmcnt(0)
	v_mfma_f32_16x16x16f16 v[14:17], v[18:19], v[6:7], v[14:17]
	v_mfma_f32_16x16x16f16 v[14:17], v[20:21], v[8:9], v[14:17]
	ds_read2_b64 v[18:21], v26 offset0:240 offset1:244
	v_add_u32_e32 v26, 0x1800, v162
	s_waitcnt lgkmcnt(0)
	v_mfma_f32_16x16x16f16 v[14:17], v[18:19], v[2:3], v[14:17]
	ds_read_b64 v[18:19], v162 offset:4032
	v_mfma_f32_16x16x16f16 v[14:17], v[20:21], v[4:5], v[14:17]
	s_waitcnt lgkmcnt(0)
	v_mfma_f32_16x16x16f16 v[18:21], v[18:19], v[68:69], v[14:17]
	s_nop 7
	s_nop 0
	ds_read2_b64 v[14:17], v26 offset0:192 offset1:196
	s_waitcnt lgkmcnt(0)
	v_mfma_f32_16x16x16f16 v[70:73], v[14:15], v[10:11], 0
	v_mfma_f32_16x16x16f16 v[14:17], v[16:17], v[12:13], v[70:73]
	s_nop 7
	s_nop 1
	ds_read2_b64 v[70:73], v26 offset0:200 offset1:204
	s_waitcnt lgkmcnt(0)
	v_mfma_f32_16x16x16f16 v[14:17], v[70:71], v[6:7], v[14:17]
	v_mfma_f32_16x16x16f16 v[14:17], v[72:73], v[8:9], v[14:17]
	ds_read2_b64 v[70:73], v26 offset0:208 offset1:212
	v_add_u32_e32 v26, 0x2800, v162
	s_waitcnt lgkmcnt(0)
	v_mfma_f32_16x16x16f16 v[14:17], v[70:71], v[2:3], v[14:17]
	v_mfma_f32_16x16x16f16 v[14:17], v[72:73], v[4:5], v[14:17]
	ds_read2_b64 v[70:73], v26 offset0:160 offset1:164
	s_waitcnt lgkmcnt(0)
	v_mfma_f32_16x16x16f16 v[74:77], v[70:71], v[10:11], 0
	v_mfma_f32_16x16x16f16 v[10:13], v[72:73], v[12:13], v[74:77]
	ds_read2_b64 v[70:73], v26 offset0:168 offset1:172
	s_waitcnt lgkmcnt(0)
	v_mfma_f32_16x16x16f16 v[10:13], v[70:71], v[6:7], v[10:13]
	v_mfma_f32_16x16x16f16 v[6:9], v[72:73], v[8:9], v[10:13]
	s_nop 7
	s_nop 1
	ds_read2_b64 v[10:13], v26 offset0:176 offset1:180
	s_waitcnt lgkmcnt(0)
	v_mfma_f32_16x16x16f16 v[6:9], v[10:11], v[2:3], v[6:9]
	v_mfma_f32_16x16x16f16 v[2:5], v[12:13], v[4:5], v[6:9]
	s_nop 7
	s_nop 1
	ds_read_b64 v[6:7], v162 offset:11712
	v_mfma_f32_16x16x16f16 v[14:17], v[46:47], v[68:69], v[14:17]
	s_waitcnt lgkmcnt(0)
	s_barrier
	v_mfma_f32_16x16x16f16 v[2:5], v[6:7], v[68:69], v[2:5]
	s_cbranch_vccnz .LBB19_123
; %bb.122:                              ;   in Loop: Header=BB19_13 Depth=1
	ds_read_b32 v6, v164 offset:15360
	ds_read_b32 v8, v165 offset:15360
	s_waitcnt lgkmcnt(1)
	v_cvt_f32_f16_sdwa v7, v6 dst_sel:DWORD dst_unused:UNUSED_PAD src0_sel:WORD_1
	v_cvt_f32_f16_e32 v6, v6
	v_pk_fma_f32 v[22:23], v[64:65], v[6:7], v[22:23] op_sel_hi:[0,1,1]
	v_add_u32_e32 v6, 0x3c00, v167
	ds_read2_b32 v[6:7], v6 offset1:1
	s_waitcnt lgkmcnt(1)
	v_cvt_f32_f16_sdwa v9, v8 dst_sel:DWORD dst_unused:UNUSED_PAD src0_sel:WORD_1
	v_cvt_f32_f16_e32 v8, v8
	v_pk_fma_f32 v[24:25], v[64:65], v[8:9], v[24:25] op_sel_hi:[0,1,1]
	s_waitcnt lgkmcnt(0)
	v_cvt_f32_f16_e32 v8, v6
	v_cvt_f32_f16_sdwa v9, v6 dst_sel:DWORD dst_unused:UNUSED_PAD src0_sel:WORD_1
	v_cvt_f32_f16_e32 v6, v7
	v_cvt_f32_f16_sdwa v7, v7 dst_sel:DWORD dst_unused:UNUSED_PAD src0_sel:WORD_1
	v_pk_fma_f32 v[18:19], v[64:65], v[8:9], v[18:19] op_sel_hi:[0,1,1]
	v_pk_fma_f32 v[20:21], v[64:65], v[6:7], v[20:21] op_sel_hi:[0,1,1]
	v_add_u32_e32 v6, 0x3c00, v170
	ds_read2_b32 v[6:7], v6 offset1:1
	s_waitcnt lgkmcnt(0)
	v_cvt_f32_f16_e32 v8, v6
	v_cvt_f32_f16_sdwa v9, v6 dst_sel:DWORD dst_unused:UNUSED_PAD src0_sel:WORD_1
	v_cvt_f32_f16_e32 v6, v7
	v_cvt_f32_f16_sdwa v7, v7 dst_sel:DWORD dst_unused:UNUSED_PAD src0_sel:WORD_1
	v_pk_fma_f32 v[14:15], v[64:65], v[8:9], v[14:15] op_sel_hi:[0,1,1]
	v_pk_fma_f32 v[16:17], v[64:65], v[6:7], v[16:17] op_sel_hi:[0,1,1]
	v_add_u32_e32 v6, 0x3c00, v173
	ds_read2_b32 v[6:7], v6 offset1:1
	s_waitcnt lgkmcnt(0)
	v_cvt_f32_f16_e32 v8, v6
	v_cvt_f32_f16_sdwa v9, v6 dst_sel:DWORD dst_unused:UNUSED_PAD src0_sel:WORD_1
	v_cvt_f32_f16_e32 v6, v7
	v_cvt_f32_f16_sdwa v7, v7 dst_sel:DWORD dst_unused:UNUSED_PAD src0_sel:WORD_1
	v_pk_fma_f32 v[2:3], v[64:65], v[8:9], v[2:3] op_sel_hi:[0,1,1]
	v_pk_fma_f32 v[4:5], v[64:65], v[6:7], v[4:5] op_sel_hi:[0,1,1]
.LBB19_123:                             ;   in Loop: Header=BB19_13 Depth=1
	v_add_f32_e32 v6, 0x40051340, v22
	v_max_f32_e32 v7, v65, v65
	v_max_f32_e32 v6, v7, v6
	v_cmp_gt_u32_e64 s[62:63], s67, v163
	v_cndmask_b32_e64 v6, v65, v6, s[62:63]
	v_add_f32_e32 v7, 0x40051340, v23
	v_max_f32_e32 v8, v6, v6
	v_max_f32_e32 v7, v8, v7
	v_cmp_gt_u32_e64 s[60:61], s67, v209
	v_cndmask_b32_e64 v6, v6, v7, s[60:61]
	;; [unrolled: 5-line block ×16, first 2 shown]
	v_and_b32_e32 v7, 64, v245
	v_add_u32_e32 v7, 64, v7
	v_xor_b32_e32 v8, 32, v245
	v_cmp_lt_i32_e32 vcc, v8, v7
	v_cndmask_b32_e32 v8, v245, v8, vcc
	v_lshlrev_b32_e32 v26, 2, v8
	ds_bpermute_b32 v8, v26, v6
	v_max_f32_e32 v6, v6, v6
	v_readlane_b32 s44, v253, 60
	v_readlane_b32 s45, v253, 61
	s_mul_hi_i32 s45, s56, s44
	s_waitcnt lgkmcnt(0)
	v_max_f32_e32 v8, v8, v8
	v_max_f32_e32 v6, v6, v8
	v_xor_b32_e32 v8, 16, v245
	v_cmp_lt_i32_e32 vcc, v8, v7
	v_cndmask_b32_e32 v7, v245, v8, vcc
	v_lshlrev_b32_e32 v9, 2, v7
	ds_bpermute_b32 v7, v9, v6
	s_mul_i32 s44, s56, s44
	s_lshl_b64 s[56:57], s[44:45], 2
	v_readlane_b32 s44, v254, 32
	s_add_u32 s45, s44, s56
	v_readlane_b32 s44, v254, 33
	s_addc_u32 s44, s44, s57
	buffer_store_dword v122, off, s[0:3], 0
	buffer_store_dword v122, off, s[0:3], 0 offset:4
	buffer_store_dword v122, off, s[0:3], 0 offset:8
	;; [unrolled: 1-line block ×3, first 2 shown]
	s_and_saveexec_b64 s[56:57], s[64:65]
	s_cbranch_execz .LBB19_125
; %bb.124:                              ;   in Loop: Header=BB19_13 Depth=1
	v_mov_b32_e32 v8, s44
	v_add_co_u32_e32 v10, vcc, s45, v48
	v_addc_co_u32_e32 v8, vcc, v8, v49, vcc
	v_lshlrev_b32_e32 v11, 2, v40
	v_add_co_u32_e32 v10, vcc, v10, v11
	v_addc_co_u32_e32 v8, vcc, 0, v8, vcc
	v_add_co_u32_e32 v10, vcc, 0xc0, v10
	v_addc_co_u32_e32 v8, vcc, 0, v8, vcc
	v_mov_b32_e32 v11, s69
	v_cmp_gt_i32_e32 vcc, s67, v158
	v_cndmask_b32_e32 v11, v11, v8, vcc
	v_mov_b32_e32 v8, s68
	v_cndmask_b32_e32 v10, v8, v10, vcc
	flat_load_dwordx4 v[10:13], v[10:11]
	s_waitcnt vmcnt(0) lgkmcnt(0)
	ds_write_b128 v159, v[10:13]
.LBB19_125:                             ;   in Loop: Header=BB19_13 Depth=1
	s_or_b64 exec, exec, s[56:57]
	s_waitcnt lgkmcnt(0)
	v_max_f32_e32 v7, v7, v7
	v_max_f32_e32 v6, v6, v6
	;; [unrolled: 1-line block ×3, first 2 shown]
	v_sub_f32_e32 v6, v22, v8
	v_mul_f32_e32 v7, 0x3fb8aa3b, v6
	v_fma_f32 v10, v6, s48, -v7
	v_rndne_f32_e32 v11, v7
	v_fmac_f32_e32 v10, 0x32a5705f, v6
	v_sub_f32_e32 v7, v7, v11
	v_add_f32_e32 v7, v7, v10
	v_exp_f32_e32 v7, v7
	v_cvt_i32_f32_e32 v10, v11
	v_cmp_ngt_f32_e32 vcc, s50, v6
	v_cndmask_b32_e64 v13, v24, v24, s[60:61]
	v_cndmask_b32_e64 v19, v19, v19, s[54:55]
	v_ldexp_f32 v7, v7, v10
	v_cndmask_b32_e32 v7, 0, v7, vcc
	v_cmp_nlt_f32_e32 vcc, s49, v6
	v_cndmask_b32_e32 v6, v45, v7, vcc
	v_sub_f32_e32 v7, v23, v8
	v_mul_f32_e32 v10, 0x3fb8aa3b, v7
	v_fma_f32 v11, v7, s48, -v10
	v_rndne_f32_e32 v12, v10
	v_fmac_f32_e32 v11, 0x32a5705f, v7
	v_sub_f32_e32 v10, v10, v12
	v_add_f32_e32 v10, v10, v11
	v_exp_f32_e32 v10, v10
	v_cvt_i32_f32_e32 v11, v12
	v_cmp_ngt_f32_e32 vcc, s50, v7
	v_cndmask_b32_e64 v6, 0, v6, s[62:63]
	v_cndmask_b32_e64 v12, v25, v25, s[60:61]
	v_ldexp_f32 v10, v10, v11
	v_cndmask_b32_e32 v10, 0, v10, vcc
	v_cmp_nlt_f32_e32 vcc, s49, v7
	v_cndmask_b32_e32 v10, v45, v10, vcc
	v_mov_b32_e32 v7, s71
	v_add_f32_e32 v11, v10, v6
	v_cndmask_b32_e64 v46, v7, v10, s[60:61]
	v_sub_f32_e32 v10, v13, v8
	v_cndmask_b32_e64 v7, v6, v11, s[60:61]
	v_mul_f32_e32 v11, 0x3fb8aa3b, v10
	v_fma_f32 v13, v10, s48, -v11
	v_rndne_f32_e32 v22, v11
	v_fmac_f32_e32 v13, 0x32a5705f, v10
	v_sub_f32_e32 v11, v11, v22
	v_add_f32_e32 v11, v11, v13
	v_exp_f32_e32 v11, v11
	v_cvt_i32_f32_e32 v13, v22
	v_cmp_ngt_f32_e32 vcc, s50, v10
	v_cndmask_b32_e64 v20, v20, v20, s[54:55]
	v_cndmask_b32_e64 v15, v15, v15, s[96:97]
	v_ldexp_f32 v11, v11, v13
	v_cndmask_b32_e32 v11, 0, v11, vcc
	v_cmp_nlt_f32_e32 vcc, s49, v10
	v_cndmask_b32_e32 v11, v45, v11, vcc
	v_mov_b32_e32 v10, s71
	v_cndmask_b32_e64 v47, v10, v11, s[58:59]
	v_sub_f32_e32 v10, v12, v8
	v_add_f32_e32 v13, v7, v11
	v_mul_f32_e32 v11, 0x3fb8aa3b, v10
	v_cndmask_b32_e64 v7, v7, v13, s[58:59]
	v_fma_f32 v12, v10, s48, -v11
	v_rndne_f32_e32 v13, v11
	v_fmac_f32_e32 v12, 0x32a5705f, v10
	v_sub_f32_e32 v11, v11, v13
	v_add_f32_e32 v11, v11, v12
	v_exp_f32_e32 v11, v11
	v_cvt_i32_f32_e32 v12, v13
	v_cmp_ngt_f32_e32 vcc, s50, v10
	v_cndmask_b32_e64 v16, v16, v16, s[96:97]
	v_sub_f32_e32 v2, v2, v8
	v_ldexp_f32 v11, v11, v12
	v_cndmask_b32_e32 v11, 0, v11, vcc
	v_cmp_nlt_f32_e32 vcc, s49, v10
	v_cndmask_b32_e32 v11, v45, v11, vcc
	v_add_f32_e32 v10, v7, v11
	v_cndmask_b32_e64 v7, v7, v10, s[78:79]
	v_sub_f32_e32 v10, v18, v8
	v_mul_f32_e32 v12, 0x3fb8aa3b, v10
	v_fma_f32 v13, v10, s48, -v12
	v_rndne_f32_e32 v18, v12
	v_fmac_f32_e32 v13, 0x32a5705f, v10
	v_sub_f32_e32 v12, v12, v18
	v_add_f32_e32 v12, v12, v13
	v_exp_f32_e32 v12, v12
	v_cvt_i32_f32_e32 v13, v18
	v_cmp_ngt_f32_e32 vcc, s50, v10
	v_cndmask_b32_e64 v18, v21, v21, s[54:55]
	v_cndmask_b32_e64 v3, v3, v3, s[90:91]
	v_ldexp_f32 v12, v12, v13
	v_cndmask_b32_e32 v12, 0, v12, vcc
	v_cmp_nlt_f32_e32 vcc, s49, v10
	v_cndmask_b32_e32 v12, v45, v12, vcc
	v_add_f32_e32 v13, v12, v7
	v_mov_b32_e32 v10, s71
	v_cndmask_b32_e64 v68, v10, v12, s[54:55]
	v_cndmask_b32_e64 v10, v7, v13, s[54:55]
	v_sub_f32_e32 v7, v19, v8
	v_mul_f32_e32 v12, 0x3fb8aa3b, v7
	v_fma_f32 v13, v7, s48, -v12
	v_rndne_f32_e32 v19, v12
	v_fmac_f32_e32 v13, 0x32a5705f, v7
	v_sub_f32_e32 v12, v12, v19
	v_add_f32_e32 v12, v12, v13
	v_exp_f32_e32 v12, v12
	v_cvt_i32_f32_e32 v13, v19
	v_cmp_ngt_f32_e32 vcc, s50, v7
	v_sub_f32_e32 v3, v3, v8
	v_cndmask_b32_e64 v4, v4, v4, s[90:91]
	v_ldexp_f32 v12, v12, v13
	v_cndmask_b32_e32 v12, 0, v12, vcc
	v_cmp_nlt_f32_e32 vcc, s49, v7
	v_cndmask_b32_e32 v12, v45, v12, vcc
	v_add_f32_e32 v13, v12, v10
	v_mov_b32_e32 v7, s71
	v_cndmask_b32_e64 v69, v7, v12, s[42:43]
	v_cndmask_b32_e64 v7, v10, v13, s[42:43]
	v_sub_f32_e32 v10, v20, v8
	v_mul_f32_e32 v12, 0x3fb8aa3b, v10
	v_fma_f32 v13, v10, s48, -v12
	v_rndne_f32_e32 v19, v12
	v_fmac_f32_e32 v13, 0x32a5705f, v10
	v_sub_f32_e32 v12, v12, v19
	v_add_f32_e32 v12, v12, v13
	v_exp_f32_e32 v12, v12
	v_cvt_i32_f32_e32 v13, v19
	v_cmp_ngt_f32_e32 vcc, s50, v10
	v_cndmask_b32_e64 v5, v5, v5, s[90:91]
	v_cvt_f16_f32_e32 v6, v6
	v_ldexp_f32 v12, v12, v13
	v_cndmask_b32_e32 v12, 0, v12, vcc
	v_cmp_nlt_f32_e32 vcc, s49, v10
	v_cndmask_b32_e32 v12, v45, v12, vcc
	v_mov_b32_e32 v10, s71
	v_cndmask_b32_e64 v70, v10, v12, s[98:99]
	v_sub_f32_e32 v10, v18, v8
	v_add_f32_e32 v13, v12, v7
	v_mul_f32_e32 v12, 0x3fb8aa3b, v10
	v_cndmask_b32_e64 v7, v7, v13, s[98:99]
	v_fma_f32 v13, v10, s48, -v12
	v_rndne_f32_e32 v18, v12
	v_fmac_f32_e32 v13, 0x32a5705f, v10
	v_sub_f32_e32 v12, v12, v18
	v_add_f32_e32 v12, v12, v13
	v_exp_f32_e32 v12, v12
	v_cvt_i32_f32_e32 v13, v18
	v_cmp_ngt_f32_e32 vcc, s50, v10
	v_ldexp_f32 v12, v12, v13
	v_cndmask_b32_e32 v12, 0, v12, vcc
	v_cmp_nlt_f32_e32 vcc, s49, v10
	v_cndmask_b32_e32 v71, v45, v12, vcc
	v_add_f32_e32 v10, v71, v7
	v_cndmask_b32_e64 v7, v7, v10, s[80:81]
	v_sub_f32_e32 v10, v14, v8
	v_mul_f32_e32 v12, 0x3fb8aa3b, v10
	v_fma_f32 v13, v10, s48, -v12
	v_rndne_f32_e32 v14, v12
	v_fmac_f32_e32 v13, 0x32a5705f, v10
	v_sub_f32_e32 v12, v12, v14
	v_add_f32_e32 v12, v12, v13
	v_exp_f32_e32 v12, v12
	v_cvt_i32_f32_e32 v13, v14
	v_cmp_ngt_f32_e32 vcc, s50, v10
	v_cndmask_b32_e64 v14, v17, v17, s[96:97]
	v_ldexp_f32 v12, v12, v13
	v_cndmask_b32_e32 v12, 0, v12, vcc
	v_cmp_nlt_f32_e32 vcc, s49, v10
	v_cndmask_b32_e32 v12, v45, v12, vcc
	v_add_f32_e32 v13, v12, v7
	v_mov_b32_e32 v10, s71
	v_cndmask_b32_e64 v72, v10, v12, s[96:97]
	v_cndmask_b32_e64 v10, v7, v13, s[96:97]
	v_sub_f32_e32 v7, v15, v8
	v_mul_f32_e32 v12, 0x3fb8aa3b, v7
	v_fma_f32 v13, v7, s48, -v12
	v_rndne_f32_e32 v15, v12
	v_fmac_f32_e32 v13, 0x32a5705f, v7
	v_sub_f32_e32 v12, v12, v15
	v_add_f32_e32 v12, v12, v13
	v_exp_f32_e32 v12, v12
	v_cvt_i32_f32_e32 v13, v15
	v_cmp_ngt_f32_e32 vcc, s50, v7
	v_ldexp_f32 v12, v12, v13
	v_cndmask_b32_e32 v12, 0, v12, vcc
	v_cmp_nlt_f32_e32 vcc, s49, v7
	v_cndmask_b32_e32 v12, v45, v12, vcc
	v_add_f32_e32 v13, v12, v10
	v_mov_b32_e32 v7, s71
	v_cndmask_b32_e64 v7, v7, v12, s[94:95]
	v_cndmask_b32_e64 v12, v10, v13, s[94:95]
	v_sub_f32_e32 v10, v16, v8
	v_mul_f32_e32 v13, 0x3fb8aa3b, v10
	v_fma_f32 v15, v10, s48, -v13
	v_rndne_f32_e32 v16, v13
	v_fmac_f32_e32 v15, 0x32a5705f, v10
	v_sub_f32_e32 v13, v13, v16
	v_add_f32_e32 v13, v13, v15
	v_exp_f32_e32 v13, v13
	v_cvt_i32_f32_e32 v15, v16
	v_cmp_ngt_f32_e32 vcc, s50, v10
	v_ldexp_f32 v13, v13, v15
	v_cndmask_b32_e32 v13, 0, v13, vcc
	v_cmp_nlt_f32_e32 vcc, s49, v10
	v_cndmask_b32_e32 v13, v45, v13, vcc
	v_mov_b32_e32 v10, s71
	v_add_f32_e32 v15, v13, v12
	v_cndmask_b32_e64 v10, v10, v13, s[92:93]
	v_sub_f32_e32 v13, v14, v8
	v_mul_f32_e32 v14, 0x3fb8aa3b, v13
	v_cndmask_b32_e64 v12, v12, v15, s[92:93]
	v_fma_f32 v15, v13, s48, -v14
	v_rndne_f32_e32 v16, v14
	v_fmac_f32_e32 v15, 0x32a5705f, v13
	v_sub_f32_e32 v14, v14, v16
	v_add_f32_e32 v14, v14, v15
	v_exp_f32_e32 v14, v14
	v_cvt_i32_f32_e32 v15, v16
	v_cmp_ngt_f32_e32 vcc, s50, v13
	v_ldexp_f32 v14, v14, v15
	v_cndmask_b32_e32 v14, 0, v14, vcc
	v_cmp_nlt_f32_e32 vcc, s49, v13
	v_cndmask_b32_e32 v73, v45, v14, vcc
	v_add_f32_e32 v13, v73, v12
	v_cndmask_b32_e64 v12, v12, v13, s[82:83]
	v_mul_f32_e32 v13, 0x3fb8aa3b, v2
	v_fma_f32 v14, v2, s48, -v13
	v_rndne_f32_e32 v15, v13
	v_fmac_f32_e32 v14, 0x32a5705f, v2
	v_sub_f32_e32 v13, v13, v15
	v_add_f32_e32 v13, v13, v14
	v_exp_f32_e32 v13, v13
	v_cvt_i32_f32_e32 v14, v15
	v_cmp_ngt_f32_e32 vcc, s50, v2
	v_ldexp_f32 v13, v13, v14
	v_cndmask_b32_e32 v13, 0, v13, vcc
	v_cmp_nlt_f32_e32 vcc, s49, v2
	v_cndmask_b32_e32 v13, v45, v13, vcc
	v_add_f32_e32 v14, v13, v12
	v_mov_b32_e32 v2, s71
	v_cndmask_b32_e64 v74, v2, v13, s[90:91]
	v_cndmask_b32_e64 v2, v12, v14, s[90:91]
	v_mul_f32_e32 v12, 0x3fb8aa3b, v3
	v_fma_f32 v13, v3, s48, -v12
	v_rndne_f32_e32 v14, v12
	v_fmac_f32_e32 v13, 0x32a5705f, v3
	v_sub_f32_e32 v12, v12, v14
	v_add_f32_e32 v12, v12, v13
	v_exp_f32_e32 v12, v12
	v_cvt_i32_f32_e32 v13, v14
	v_cmp_ngt_f32_e32 vcc, s50, v3
	v_ldexp_f32 v12, v12, v13
	v_cndmask_b32_e32 v12, 0, v12, vcc
	v_cmp_nlt_f32_e32 vcc, s49, v3
	v_cndmask_b32_e32 v12, v45, v12, vcc
	v_add_f32_e32 v13, v12, v2
	v_mov_b32_e32 v3, s71
	v_cndmask_b32_e64 v75, v3, v12, s[88:89]
	v_cndmask_b32_e64 v3, v2, v13, s[88:89]
	v_sub_f32_e32 v2, v4, v8
	v_mul_f32_e32 v4, 0x3fb8aa3b, v2
	v_fma_f32 v12, v2, s48, -v4
	v_rndne_f32_e32 v13, v4
	v_fmac_f32_e32 v12, 0x32a5705f, v2
	v_sub_f32_e32 v4, v4, v13
	v_add_f32_e32 v4, v4, v12
	v_exp_f32_e32 v4, v4
	v_cvt_i32_f32_e32 v12, v13
	v_cmp_ngt_f32_e32 vcc, s50, v2
	s_mov_b32 s88, 0xc1a00000
	v_ldexp_f32 v4, v4, v12
	v_cndmask_b32_e32 v4, 0, v4, vcc
	v_cmp_nlt_f32_e32 vcc, s49, v2
	v_cndmask_b32_e32 v4, v45, v4, vcc
	v_add_f32_e32 v12, v4, v3
	v_mov_b32_e32 v2, s71
	v_cndmask_b32_e64 v4, v2, v4, s[86:87]
	v_cndmask_b32_e64 v2, v3, v12, s[86:87]
	v_sub_f32_e32 v3, v5, v8
	v_mul_f32_e32 v5, 0x3fb8aa3b, v3
	v_fma_f32 v12, v3, s48, -v5
	v_rndne_f32_e32 v13, v5
	v_fmac_f32_e32 v12, 0x32a5705f, v3
	v_sub_f32_e32 v5, v5, v13
	v_add_f32_e32 v5, v5, v12
	v_exp_f32_e32 v5, v5
	v_cvt_i32_f32_e32 v12, v13
	v_cmp_ngt_f32_e32 vcc, s50, v3
	v_ldexp_f32 v5, v5, v12
	v_cndmask_b32_e32 v5, 0, v5, vcc
	v_cmp_nlt_f32_e32 vcc, s49, v3
	v_cndmask_b32_e32 v5, v45, v5, vcc
	v_add_f32_e32 v3, v5, v2
	v_cndmask_b32_e64 v24, v2, v3, s[84:85]
	v_sub_f32_e32 v2, v65, v8
	v_mul_f32_e32 v3, 0x3fb8aa3b, v2
	v_fma_f32 v12, v2, s48, -v3
	v_rndne_f32_e32 v13, v3
	v_fmac_f32_e32 v12, 0x32a5705f, v2
	v_sub_f32_e32 v3, v3, v13
	v_add_f32_e32 v3, v3, v12
	v_exp_f32_e32 v3, v3
	v_cvt_i32_f32_e32 v12, v13
	v_cmp_ngt_f32_e32 vcc, s50, v2
	v_ldexp_f32 v3, v3, v12
	v_cndmask_b32_e32 v3, 0, v3, vcc
	v_cmp_nlt_f32_e32 vcc, s49, v2
	v_cndmask_b32_e32 v3, v45, v3, vcc
	v_cmp_le_f32_e32 vcc, s88, v2
	v_cndmask_b32_e32 v2, 0, v3, vcc
	v_fmac_f32_e32 v24, v27, v2
	v_cvt_f16_f32_e32 v2, v2
	v_mov_b32_e32 v3, s71
	v_cndmask_b32_e64 v5, v3, v5, s[84:85]
	v_cndmask_b32_e64 v65, v3, v73, s[82:83]
	v_pk_mul_f16 v13, v2, v112 op_sel_hi:[0,1]
	v_pk_mul_f16 v12, v2, v111 op_sel_hi:[0,1]
	;; [unrolled: 1-line block ×14, first 2 shown]
	v_cndmask_b32_e64 v71, v3, v71, s[80:81]
	v_cndmask_b32_e64 v73, v3, v11, s[78:79]
	v_cvt_f16_f32_e32 v2, v74
	v_cvt_f16_f32_e32 v3, v75
	;; [unrolled: 1-line block ×3, first 2 shown]
	v_pack_b32_f16 v2, v2, v3
	v_cvt_f16_f32_e32 v3, v4
	v_cvt_f16_f32_e32 v4, v5
	;; [unrolled: 1-line block ×4, first 2 shown]
	v_mov_b32_e32 v65, s44
	v_pack_b32_f16 v3, v3, v4
	v_cvt_f16_f32_e32 v4, v72
	v_pack_b32_f16 v4, v4, v5
	v_cvt_f16_f32_e32 v5, v10
	v_cvt_f16_f32_e32 v10, v69
	v_pack_b32_f16 v5, v5, v7
	v_cvt_f16_f32_e32 v7, v68
	v_pack_b32_f16 v10, v7, v10
	;; [unrolled: 2-line block ×3, first 2 shown]
	v_cvt_f16_f32_e32 v7, v46
	v_cvt_f16_f32_e32 v46, v73
	v_pack_b32_f16 v6, v6, v7
	v_cvt_f16_f32_e32 v7, v47
	v_mov_b32_e32 v47, s44
	v_pack_b32_f16 v7, v7, v46
	v_add_co_u32_e32 v46, vcc, s45, v50
	v_addc_co_u32_e32 v47, vcc, v47, v51, vcc
	v_add_co_u32_e32 v29, vcc, v46, v29
	v_addc_co_u32_e32 v46, vcc, 0, v47, vcc
	;; [unrolled: 2-line block ×3, first 2 shown]
	v_mov_b32_e32 v29, s69
	v_cndmask_b32_e64 v69, v29, v46, s[76:77]
	v_mov_b32_e32 v46, s68
	v_cndmask_b32_e64 v68, v46, v47, s[76:77]
	flat_load_dwordx4 v[68:71], v[68:69]
	v_add_co_u32_e32 v47, vcc, s45, v52
	v_addc_co_u32_e32 v65, vcc, v65, v53, vcc
	v_add_co_u32_e32 v47, vcc, v47, v28
	v_addc_co_u32_e32 v65, vcc, 0, v65, vcc
	v_readlane_b32 s76, v254, 40
	v_readlane_b32 s77, v254, 41
	s_cmp_lg_u64 s[76:77], 0
	s_waitcnt vmcnt(0) lgkmcnt(0)
	ds_write_b128 v206, v[68:71]
	v_cndmask_b32_e64 v69, v29, v65, s[74:75]
	v_cndmask_b32_e64 v68, v46, v47, s[74:75]
	flat_load_dwordx4 v[68:71], v[68:69]
	v_add_co_u32_e32 v47, vcc, s45, v54
	v_mov_b32_e32 v65, s44
	v_addc_co_u32_e32 v65, vcc, v65, v55, vcc
	v_add_co_u32_e32 v28, vcc, v47, v28
	v_addc_co_u32_e32 v47, vcc, 0, v65, vcc
	v_cndmask_b32_e64 v29, v29, v47, s[72:73]
	v_cndmask_b32_e64 v28, v46, v28, s[72:73]
	s_waitcnt vmcnt(0) lgkmcnt(0)
	ds_write_b128 v207, v[68:71]
	flat_load_dwordx4 v[68:71], v[28:29]
	s_waitcnt vmcnt(0) lgkmcnt(0)
	ds_write_b128 v208, v[68:71]
	s_waitcnt lgkmcnt(0)
	s_barrier
	ds_read_u16 v28, v177 offset:480
	v_cvt_f32_f16_e32 v70, v12
	v_cvt_f32_f16_sdwa v71, v12 dst_sel:DWORD dst_unused:UNUSED_PAD src0_sel:WORD_1
	ds_read_u16 v12, v178
	ds_read_u16 v29, v178 offset:32
	v_cvt_f32_f16_e32 v68, v13
	v_cvt_f32_f16_sdwa v69, v13 dst_sel:DWORD dst_unused:UNUSED_PAD src0_sel:WORD_1
	s_waitcnt lgkmcnt(1)
	v_perm_b32 v13, v12, v28, s51
	ds_read_u16 v12, v176
	ds_read_u16 v28, v176 offset:32
	ds_read_u16 v46, v177 offset:240
	;; [unrolled: 1-line block ×7, first 2 shown]
	s_waitcnt lgkmcnt(5)
	v_perm_b32 v12, v46, v12, s51
	s_nop 1
	v_mfma_f32_16x16x16f16 v[68:71], v[12:13], v[6:7], v[68:71]
	s_nop 7
	s_nop 2
	v_cvt_f16_f32_e32 v12, v68
	v_cvt_f16_f32_e32 v13, v69
	;; [unrolled: 1-line block ×4, first 2 shown]
	v_cvt_f32_f16_e32 v68, v12
	v_cvt_f32_f16_e32 v69, v13
	s_waitcnt lgkmcnt(0)
	v_perm_b32 v13, v75, v74, s51
	v_perm_b32 v12, v73, v72, s51
	v_cvt_f32_f16_e32 v70, v46
	v_cvt_f32_f16_e32 v71, v65
	ds_read_u16 v72, v176 offset:7680
	ds_read_u16 v73, v177 offset:7920
	ds_read_u16 v74, v180 offset:480
	ds_read_u16 v75, v178 offset:7680
	v_mfma_f32_16x16x16f16 v[68:71], v[12:13], v[10:11], v[68:71]
	s_nop 7
	s_nop 2
	v_cvt_f16_f32_e32 v12, v68
	v_cvt_f16_f32_e32 v13, v69
	;; [unrolled: 1-line block ×4, first 2 shown]
	v_cvt_f32_f16_e32 v68, v12
	v_cvt_f32_f16_e32 v69, v13
	s_waitcnt lgkmcnt(0)
	v_perm_b32 v13, v75, v74, s51
	v_perm_b32 v12, v73, v72, s51
	v_cvt_f32_f16_e32 v70, v46
	v_cvt_f32_f16_e32 v71, v65
	ds_read_u16 v72, v176 offset:11520
	ds_read_u16 v73, v177 offset:11760
	;; [unrolled: 1-line block ×4, first 2 shown]
	v_mfma_f32_16x16x16f16 v[68:71], v[12:13], v[4:5], v[68:71]
	s_nop 7
	s_nop 2
	v_cvt_f16_f32_e32 v12, v68
	v_cvt_f16_f32_e32 v13, v69
	;; [unrolled: 1-line block ×4, first 2 shown]
	v_cvt_f32_f16_e32 v68, v12
	v_cvt_f32_f16_e32 v69, v13
	s_waitcnt lgkmcnt(0)
	v_perm_b32 v13, v75, v74, s51
	v_perm_b32 v12, v73, v72, s51
	v_cvt_f32_f16_e32 v70, v46
	v_cvt_f32_f16_e32 v71, v65
	s_nop 1
	v_mfma_f32_16x16x16f16 v[68:71], v[12:13], v[2:3], v[68:71]
	s_nop 7
	s_nop 2
	v_cvt_f16_f32_e32 v12, v68
	v_cvt_f16_f32_e32 v13, v69
	;; [unrolled: 1-line block ×4, first 2 shown]
	v_cvt_f32_f16_e32 v68, v15
	v_pack_b32_f16 v12, v12, v13
	v_cvt_f32_f16_sdwa v69, v15 dst_sel:DWORD dst_unused:UNUSED_PAD src0_sel:WORD_1
	v_pack_b32_f16 v13, v46, v65
	ds_read_u16 v46, v182 offset:480
	v_cvt_f32_f16_e32 v70, v14
	v_cvt_f32_f16_sdwa v71, v14 dst_sel:DWORD dst_unused:UNUSED_PAD src0_sel:WORD_1
	v_perm_b32 v14, v47, v28, s51
	s_waitcnt lgkmcnt(0)
	v_perm_b32 v15, v29, v46, s51
	ds_read_u16 v46, v176 offset:3872
	ds_read_u16 v47, v177 offset:4112
	ds_read_u16 v65, v183 offset:480
	ds_read_u16 v72, v178 offset:3872
	v_mfma_f32_16x16x16f16 v[68:71], v[14:15], v[6:7], v[68:71]
	s_nop 7
	s_nop 2
	v_cvt_f16_f32_e32 v14, v68
	v_cvt_f16_f32_e32 v15, v69
	v_cvt_f16_f32_e32 v28, v70
	v_cvt_f16_f32_e32 v29, v71
	v_cvt_f32_f16_e32 v68, v14
	v_cvt_f32_f16_e32 v69, v15
	s_waitcnt lgkmcnt(0)
	v_perm_b32 v15, v72, v65, s51
	v_perm_b32 v14, v47, v46, s51
	v_cvt_f32_f16_e32 v70, v28
	v_cvt_f32_f16_e32 v71, v29
	ds_read_u16 v46, v176 offset:7712
	ds_read_u16 v47, v177 offset:7952
	ds_read_u16 v65, v184 offset:480
	ds_read_u16 v72, v178 offset:7712
	v_mfma_f32_16x16x16f16 v[68:71], v[14:15], v[10:11], v[68:71]
	s_nop 7
	s_nop 2
	v_cvt_f16_f32_e32 v14, v68
	v_cvt_f16_f32_e32 v15, v69
	v_cvt_f16_f32_e32 v28, v70
	v_cvt_f16_f32_e32 v29, v71
	v_cvt_f32_f16_e32 v68, v14
	v_cvt_f32_f16_e32 v69, v15
	s_waitcnt lgkmcnt(0)
	v_perm_b32 v15, v72, v65, s51
	v_perm_b32 v14, v47, v46, s51
	v_cvt_f32_f16_e32 v70, v28
	v_cvt_f32_f16_e32 v71, v29
	;; [unrolled: 18-line block ×3, first 2 shown]
	s_nop 1
	v_mfma_f32_16x16x16f16 v[68:71], v[14:15], v[2:3], v[68:71]
	s_nop 7
	s_nop 2
	v_cvt_f16_f32_e32 v14, v68
	v_cvt_f16_f32_e32 v15, v69
	;; [unrolled: 1-line block ×4, first 2 shown]
	v_cvt_f32_f16_e32 v68, v17
	v_pack_b32_f16 v14, v14, v15
	v_cvt_f32_f16_sdwa v69, v17 dst_sel:DWORD dst_unused:UNUSED_PAD src0_sel:WORD_1
	v_pack_b32_f16 v15, v28, v29
	ds_read_u16 v28, v176 offset:64
	ds_read_u16 v29, v177 offset:304
	;; [unrolled: 1-line block ×4, first 2 shown]
	v_cvt_f32_f16_e32 v70, v16
	v_cvt_f32_f16_sdwa v71, v16 dst_sel:DWORD dst_unused:UNUSED_PAD src0_sel:WORD_1
	s_waitcnt lgkmcnt(2)
	v_perm_b32 v16, v29, v28, s51
	s_waitcnt lgkmcnt(0)
	v_perm_b32 v17, v47, v46, s51
	ds_read_u16 v46, v176 offset:3904
	ds_read_u16 v47, v177 offset:4144
	ds_read_u16 v65, v187 offset:480
	ds_read_u16 v72, v178 offset:3904
	v_mfma_f32_16x16x16f16 v[68:71], v[16:17], v[6:7], v[68:71]
	s_nop 7
	s_nop 2
	v_cvt_f16_f32_e32 v16, v68
	v_cvt_f16_f32_e32 v17, v69
	v_cvt_f16_f32_e32 v28, v70
	v_cvt_f16_f32_e32 v29, v71
	v_cvt_f32_f16_e32 v68, v16
	v_cvt_f32_f16_e32 v69, v17
	s_waitcnt lgkmcnt(0)
	v_perm_b32 v17, v72, v65, s51
	v_perm_b32 v16, v47, v46, s51
	v_cvt_f32_f16_e32 v70, v28
	v_cvt_f32_f16_e32 v71, v29
	ds_read_u16 v46, v176 offset:7744
	ds_read_u16 v47, v177 offset:7984
	ds_read_u16 v65, v188 offset:480
	ds_read_u16 v72, v178 offset:7744
	v_mfma_f32_16x16x16f16 v[68:71], v[16:17], v[10:11], v[68:71]
	s_nop 7
	s_nop 2
	v_cvt_f16_f32_e32 v16, v68
	v_cvt_f16_f32_e32 v17, v69
	v_cvt_f16_f32_e32 v28, v70
	v_cvt_f16_f32_e32 v29, v71
	v_cvt_f32_f16_e32 v68, v16
	v_cvt_f32_f16_e32 v69, v17
	s_waitcnt lgkmcnt(0)
	v_perm_b32 v17, v72, v65, s51
	v_perm_b32 v16, v47, v46, s51
	v_cvt_f32_f16_e32 v70, v28
	v_cvt_f32_f16_e32 v71, v29
	;; [unrolled: 18-line block ×3, first 2 shown]
	s_nop 1
	v_mfma_f32_16x16x16f16 v[68:71], v[16:17], v[2:3], v[68:71]
	s_nop 7
	s_nop 2
	v_cvt_f16_f32_e32 v16, v68
	v_cvt_f16_f32_e32 v17, v69
	;; [unrolled: 1-line block ×4, first 2 shown]
	v_cvt_f32_f16_e32 v68, v19
	v_pack_b32_f16 v16, v16, v17
	v_cvt_f32_f16_sdwa v69, v19 dst_sel:DWORD dst_unused:UNUSED_PAD src0_sel:WORD_1
	v_pack_b32_f16 v17, v28, v29
	ds_read_u16 v28, v176 offset:96
	ds_read_u16 v29, v177 offset:336
	;; [unrolled: 1-line block ×4, first 2 shown]
	v_cvt_f32_f16_e32 v70, v18
	v_cvt_f32_f16_sdwa v71, v18 dst_sel:DWORD dst_unused:UNUSED_PAD src0_sel:WORD_1
	s_waitcnt lgkmcnt(2)
	v_perm_b32 v18, v29, v28, s51
	s_waitcnt lgkmcnt(0)
	v_perm_b32 v19, v47, v46, s51
	ds_read_u16 v46, v176 offset:3936
	ds_read_u16 v47, v177 offset:4176
	ds_read_u16 v65, v191 offset:480
	ds_read_u16 v72, v178 offset:3936
	v_mfma_f32_16x16x16f16 v[68:71], v[18:19], v[6:7], v[68:71]
	s_nop 7
	s_nop 2
	v_cvt_f16_f32_e32 v18, v68
	v_cvt_f16_f32_e32 v19, v69
	v_cvt_f16_f32_e32 v28, v70
	v_cvt_f16_f32_e32 v29, v71
	v_cvt_f32_f16_e32 v68, v18
	v_cvt_f32_f16_e32 v69, v19
	s_waitcnt lgkmcnt(0)
	v_perm_b32 v19, v72, v65, s51
	v_perm_b32 v18, v47, v46, s51
	v_cvt_f32_f16_e32 v70, v28
	v_cvt_f32_f16_e32 v71, v29
	ds_read_u16 v46, v176 offset:7776
	ds_read_u16 v47, v177 offset:8016
	ds_read_u16 v65, v192 offset:480
	ds_read_u16 v72, v178 offset:7776
	v_mfma_f32_16x16x16f16 v[68:71], v[18:19], v[10:11], v[68:71]
	s_nop 7
	s_nop 2
	v_cvt_f16_f32_e32 v18, v68
	v_cvt_f16_f32_e32 v19, v69
	v_cvt_f16_f32_e32 v28, v70
	v_cvt_f16_f32_e32 v29, v71
	v_cvt_f32_f16_e32 v68, v18
	v_cvt_f32_f16_e32 v69, v19
	s_waitcnt lgkmcnt(0)
	v_perm_b32 v19, v72, v65, s51
	v_perm_b32 v18, v47, v46, s51
	v_cvt_f32_f16_e32 v70, v28
	v_cvt_f32_f16_e32 v71, v29
	;; [unrolled: 18-line block ×3, first 2 shown]
	s_nop 1
	v_mfma_f32_16x16x16f16 v[68:71], v[18:19], v[2:3], v[68:71]
	s_nop 7
	s_nop 2
	v_cvt_f16_f32_e32 v18, v68
	v_cvt_f16_f32_e32 v19, v69
	;; [unrolled: 1-line block ×4, first 2 shown]
	v_cvt_f32_f16_e32 v68, v21
	v_pack_b32_f16 v18, v18, v19
	v_cvt_f32_f16_sdwa v69, v21 dst_sel:DWORD dst_unused:UNUSED_PAD src0_sel:WORD_1
	v_pack_b32_f16 v19, v28, v29
	ds_read_u16 v28, v176 offset:128
	ds_read_u16 v29, v177 offset:368
	;; [unrolled: 1-line block ×4, first 2 shown]
	v_cvt_f32_f16_e32 v70, v20
	v_cvt_f32_f16_sdwa v71, v20 dst_sel:DWORD dst_unused:UNUSED_PAD src0_sel:WORD_1
	s_waitcnt lgkmcnt(2)
	v_perm_b32 v20, v29, v28, s51
	s_waitcnt lgkmcnt(0)
	v_perm_b32 v21, v47, v46, s51
	ds_read_u16 v46, v176 offset:3968
	ds_read_u16 v47, v177 offset:4208
	ds_read_u16 v65, v195 offset:480
	ds_read_u16 v72, v178 offset:3968
	v_mfma_f32_16x16x16f16 v[68:71], v[20:21], v[6:7], v[68:71]
	s_nop 7
	s_nop 2
	v_cvt_f16_f32_e32 v20, v68
	v_cvt_f16_f32_e32 v21, v69
	v_cvt_f16_f32_e32 v28, v70
	v_cvt_f16_f32_e32 v29, v71
	v_cvt_f32_f16_e32 v68, v20
	v_cvt_f32_f16_e32 v69, v21
	s_waitcnt lgkmcnt(0)
	v_perm_b32 v21, v72, v65, s51
	v_perm_b32 v20, v47, v46, s51
	v_cvt_f32_f16_e32 v70, v28
	v_cvt_f32_f16_e32 v71, v29
	ds_read_u16 v46, v176 offset:7808
	ds_read_u16 v47, v177 offset:8048
	ds_read_u16 v65, v196 offset:480
	ds_read_u16 v72, v178 offset:7808
	v_mfma_f32_16x16x16f16 v[68:71], v[20:21], v[10:11], v[68:71]
	s_nop 7
	s_nop 2
	v_cvt_f16_f32_e32 v20, v68
	v_cvt_f16_f32_e32 v21, v69
	v_cvt_f16_f32_e32 v28, v70
	v_cvt_f16_f32_e32 v29, v71
	v_cvt_f32_f16_e32 v68, v20
	v_cvt_f32_f16_e32 v69, v21
	s_waitcnt lgkmcnt(0)
	v_perm_b32 v21, v72, v65, s51
	v_perm_b32 v20, v47, v46, s51
	v_cvt_f32_f16_e32 v70, v28
	v_cvt_f32_f16_e32 v71, v29
	;; [unrolled: 18-line block ×3, first 2 shown]
	s_nop 1
	v_mfma_f32_16x16x16f16 v[68:71], v[20:21], v[2:3], v[68:71]
	s_nop 7
	s_nop 2
	v_cvt_f16_f32_e32 v20, v68
	v_cvt_f16_f32_e32 v21, v69
	v_cvt_f16_f32_e32 v28, v70
	v_cvt_f16_f32_e32 v29, v71
	v_cvt_f32_f16_e32 v68, v23
	v_pack_b32_f16 v20, v20, v21
	v_cvt_f32_f16_sdwa v69, v23 dst_sel:DWORD dst_unused:UNUSED_PAD src0_sel:WORD_1
	v_pack_b32_f16 v21, v28, v29
	ds_read_u16 v28, v176 offset:160
	ds_read_u16 v29, v177 offset:400
	;; [unrolled: 1-line block ×4, first 2 shown]
	v_cvt_f32_f16_e32 v70, v22
	v_cvt_f32_f16_sdwa v71, v22 dst_sel:DWORD dst_unused:UNUSED_PAD src0_sel:WORD_1
	s_waitcnt lgkmcnt(2)
	v_perm_b32 v22, v29, v28, s51
	s_waitcnt lgkmcnt(0)
	v_perm_b32 v23, v47, v46, s51
	ds_read_u16 v46, v176 offset:4000
	ds_read_u16 v47, v177 offset:4240
	ds_read_u16 v65, v199 offset:480
	ds_read_u16 v72, v178 offset:4000
	v_mfma_f32_16x16x16f16 v[68:71], v[22:23], v[6:7], v[68:71]
	s_nop 7
	s_nop 2
	v_cvt_f16_f32_e32 v22, v68
	v_cvt_f16_f32_e32 v23, v69
	v_cvt_f16_f32_e32 v28, v70
	v_cvt_f16_f32_e32 v29, v71
	v_cvt_f32_f16_e32 v68, v22
	v_cvt_f32_f16_e32 v69, v23
	s_waitcnt lgkmcnt(0)
	v_perm_b32 v23, v72, v65, s51
	v_perm_b32 v22, v47, v46, s51
	v_cvt_f32_f16_e32 v70, v28
	v_cvt_f32_f16_e32 v71, v29
	ds_read_u16 v46, v176 offset:7840
	ds_read_u16 v47, v177 offset:8080
	ds_read_u16 v65, v200 offset:480
	ds_read_u16 v72, v178 offset:7840
	v_mfma_f32_16x16x16f16 v[68:71], v[22:23], v[10:11], v[68:71]
	s_nop 7
	s_nop 2
	v_cvt_f16_f32_e32 v22, v68
	v_cvt_f16_f32_e32 v23, v69
	v_cvt_f16_f32_e32 v28, v70
	v_cvt_f16_f32_e32 v29, v71
	v_cvt_f32_f16_e32 v68, v22
	v_cvt_f32_f16_e32 v69, v23
	s_waitcnt lgkmcnt(0)
	v_perm_b32 v23, v72, v65, s51
	v_perm_b32 v22, v47, v46, s51
	v_cvt_f32_f16_e32 v70, v28
	v_cvt_f32_f16_e32 v71, v29
	;; [unrolled: 18-line block ×3, first 2 shown]
	s_nop 1
	v_mfma_f32_16x16x16f16 v[68:71], v[22:23], v[2:3], v[68:71]
	s_nop 7
	s_nop 2
	v_cvt_f16_f32_e32 v22, v68
	v_cvt_f16_f32_e32 v23, v69
	;; [unrolled: 1-line block ×4, first 2 shown]
	v_cvt_f32_f16_e32 v68, v27
	v_pack_b32_f16 v22, v22, v23
	v_cvt_f32_f16_sdwa v69, v27 dst_sel:DWORD dst_unused:UNUSED_PAD src0_sel:WORD_1
	v_pack_b32_f16 v23, v28, v29
	ds_read_u16 v28, v176 offset:192
	ds_read_u16 v46, v177 offset:432
	;; [unrolled: 1-line block ×4, first 2 shown]
	v_cvt_f32_f16_e32 v70, v25
	v_cvt_f32_f16_sdwa v71, v25 dst_sel:DWORD dst_unused:UNUSED_PAD src0_sel:WORD_1
	s_waitcnt lgkmcnt(2)
	v_perm_b32 v28, v46, v28, s51
	s_waitcnt lgkmcnt(0)
	v_perm_b32 v29, v47, v29, s51
	s_nop 1
	v_mfma_f32_16x16x16f16 v[68:71], v[28:29], v[6:7], v[68:71]
	ds_read_u16 v28, v176 offset:4032
	ds_read_u16 v29, v177 offset:4272
	;; [unrolled: 1-line block ×4, first 2 shown]
	s_nop 6
	v_cvt_f16_f32_e32 v6, v68
	v_cvt_f16_f32_e32 v7, v69
	;; [unrolled: 1-line block ×4, first 2 shown]
	v_cvt_f32_f16_e32 v68, v6
	v_cvt_f32_f16_e32 v69, v7
	s_waitcnt lgkmcnt(0)
	v_perm_b32 v7, v47, v46, s51
	v_perm_b32 v6, v29, v28, s51
	v_cvt_f32_f16_e32 v70, v25
	v_cvt_f32_f16_e32 v71, v27
	ds_read_u16 v25, v176 offset:7872
	ds_read_u16 v27, v177 offset:8112
	;; [unrolled: 1-line block ×4, first 2 shown]
	v_mfma_f32_16x16x16f16 v[68:71], v[6:7], v[10:11], v[68:71]
	s_nop 7
	s_nop 2
	v_cvt_f16_f32_e32 v6, v68
	v_cvt_f16_f32_e32 v7, v69
	;; [unrolled: 1-line block ×4, first 2 shown]
	v_cvt_f32_f16_e32 v68, v6
	v_cvt_f32_f16_e32 v69, v7
	s_waitcnt lgkmcnt(0)
	v_perm_b32 v7, v29, v28, s51
	v_perm_b32 v6, v27, v25, s51
	v_cvt_f32_f16_e32 v70, v10
	v_cvt_f32_f16_e32 v71, v11
	s_nop 1
	v_mfma_f32_16x16x16f16 v[68:71], v[6:7], v[4:5], v[68:71]
	ds_read_u16 v4, v176 offset:11712
	ds_read_u16 v11, v177 offset:11952
	;; [unrolled: 1-line block ×4, first 2 shown]
	s_waitcnt lgkmcnt(0)
	s_barrier
	v_perm_b32 v4, v11, v4, s51
	s_nop 3
	v_cvt_f16_f32_e32 v5, v68
	v_cvt_f16_f32_e32 v6, v69
	;; [unrolled: 1-line block ×4, first 2 shown]
	v_cvt_f32_f16_e32 v68, v5
	v_perm_b32 v5, v27, v25, s51
	v_cvt_f32_f16_e32 v69, v6
	v_cvt_f32_f16_e32 v70, v7
	;; [unrolled: 1-line block ×3, first 2 shown]
	s_nop 1
	v_mfma_f32_16x16x16f16 v[2:5], v[4:5], v[2:3], v[68:71]
	s_nop 7
	s_nop 2
	v_cvt_f16_f32_e32 v2, v2
	v_cvt_f16_f32_e32 v3, v3
	;; [unrolled: 1-line block ×4, first 2 shown]
	v_pack_b32_f16 v2, v2, v3
	v_pack_b32_f16 v3, v4, v5
	ds_bpermute_b32 v4, v26, v24
	s_waitcnt lgkmcnt(0)
	v_add_f32_e32 v4, v24, v4
	ds_bpermute_b32 v5, v9, v4
	s_waitcnt lgkmcnt(0)
	v_add_f32_e32 v9, v4, v5
	s_cbranch_scc0 .LBB19_127
; %bb.126:                              ;   in Loop: Header=BB19_13 Depth=1
	global_load_dword v5, v122, s[76:77]
	v_max_f32_e32 v4, v8, v8
	s_mov_b64 s[42:43], 0
	s_waitcnt vmcnt(0)
	v_max_f32_e32 v6, v5, v5
	v_max_f32_e32 v4, v4, v6
	v_sub_f32_e32 v6, v8, v4
	v_sub_f32_e32 v5, v5, v4
	v_mul_f32_e32 v7, 0x3fb8aa3b, v6
	v_mul_f32_e32 v10, 0x3fb8aa3b, v5
	v_fma_f32 v11, v6, s48, -v7
	v_rndne_f32_e32 v24, v7
	v_fma_f32 v25, v5, s48, -v10
	v_rndne_f32_e32 v26, v10
	v_fmac_f32_e32 v11, 0x32a5705f, v6
	v_sub_f32_e32 v7, v7, v24
	v_fmac_f32_e32 v25, 0x32a5705f, v5
	v_sub_f32_e32 v10, v10, v26
	v_add_f32_e32 v7, v7, v11
	v_cvt_i32_f32_e32 v24, v24
	v_add_f32_e32 v10, v10, v25
	v_exp_f32_e32 v7, v7
	v_cvt_i32_f32_e32 v26, v26
	v_exp_f32_e32 v10, v10
	v_cmp_ngt_f32_e32 vcc, s50, v6
	v_ldexp_f32 v7, v7, v24
	v_cndmask_b32_e32 v7, 0, v7, vcc
	v_ldexp_f32 v10, v10, v26
	v_cmp_ngt_f32_e32 vcc, s50, v5
	v_cndmask_b32_e32 v10, 0, v10, vcc
	v_cmp_nlt_f32_e32 vcc, s49, v6
	v_cndmask_b32_e32 v7, v45, v7, vcc
	v_cmp_le_f32_e32 vcc, s88, v6
	v_cndmask_b32_e32 v6, 0, v7, vcc
	v_cvt_f16_f32_e32 v46, v6
	v_cmp_nlt_f32_e32 vcc, s49, v5
	v_cndmask_b32_e32 v5, v45, v10, vcc
	v_fmac_f32_e32 v5, v9, v6
	v_pk_mul_f16 v6, v46, v12 op_sel_hi:[0,1]
	v_pk_mul_f16 v7, v46, v13 op_sel_hi:[0,1]
	;; [unrolled: 1-line block ×14, first 2 shown]
	s_branch .LBB19_128
.LBB19_127:                             ;   in Loop: Header=BB19_13 Depth=1
	s_mov_b64 s[42:43], -1
                                        ; implicit-def: $vgpr4_vgpr5
                                        ; implicit-def: $vgpr70_vgpr71
                                        ; implicit-def: $vgpr6_vgpr7
                                        ; implicit-def: $vgpr10_vgpr11
                                        ; implicit-def: $vgpr24_vgpr25
                                        ; implicit-def: $vgpr26_vgpr27
                                        ; implicit-def: $vgpr28_vgpr29
                                        ; implicit-def: $vgpr68_vgpr69
.LBB19_128:                             ;   in Loop: Header=BB19_13 Depth=1
	v_readlane_b32 s67, v254, 25
	s_andn2_b64 vcc, exec, s[42:43]
	s_cbranch_vccnz .LBB19_130
; %bb.129:                              ;   in Loop: Header=BB19_13 Depth=1
	v_pk_mov_b32 v[68:69], v[22:23], v[22:23] op_sel:[0,1]
	v_pk_mov_b32 v[28:29], v[20:21], v[20:21] op_sel:[0,1]
	;; [unrolled: 1-line block ×8, first 2 shown]
.LBB19_130:                             ;   in Loop: Header=BB19_13 Depth=1
	s_barrier
	s_mov_b64 s[42:43], exec
	v_readlane_b32 s44, v254, 8
	v_readlane_b32 s45, v254, 9
	s_and_b64 s[44:45], s[42:43], s[44:45]
	s_mov_b64 exec, s[44:45]
	s_cbranch_execz .LBB19_132
; %bb.131:                              ;   in Loop: Header=BB19_13 Depth=1
	buffer_load_dword v2, off, s[0:3], 0 offset:28 ; 4-byte Folded Reload
	buffer_load_dword v3, off, s[0:3], 0 offset:32 ; 4-byte Folded Reload
	s_waitcnt vmcnt(0)
	global_store_dwordx2 v[2:3], v[4:5], off
.LBB19_132:                             ;   in Loop: Header=BB19_13 Depth=1
	s_or_b64 exec, exec, s[42:43]
	v_mov_b32_e32 v2, 50
	ds_write2_b32 v126, v6, v7 offset1:1
	ds_write2_b32 v126, v10, v11 offset0:8 offset1:9
	ds_write2_b32 v126, v24, v25 offset0:16 offset1:17
	;; [unrolled: 1-line block ×6, first 2 shown]
	s_waitcnt lgkmcnt(0)
	s_barrier
	s_mov_b64 s[42:43], exec
	v_readlane_b32 s44, v255, 7
	v_readlane_b32 s45, v255, 8
	s_and_b64 s[44:45], s[42:43], s[44:45]
	s_mov_b64 exec, s[44:45]
	s_cbranch_execz .LBB19_134
; %bb.133:                              ;   in Loop: Header=BB19_13 Depth=1
	ds_read_b32 v4, v217
	v_readlane_b32 s44, v254, 10
	v_mad_u64_u32 v[2:3], s[44:45], v108, s44, v[32:33]
	v_ashrrev_i32_e32 v3, 31, v2
	s_waitcnt lgkmcnt(0)
	v_cvt_f32_f16_sdwa v5, v4 dst_sel:DWORD dst_unused:UNUSED_PAD src0_sel:WORD_1
	v_cvt_f32_f16_e32 v4, v4
	v_readlane_b32 s44, v254, 29
	v_lshlrev_b64 v[2:3], 3, v[2:3]
	v_mov_b32_e32 v6, s44
	v_readlane_b32 s44, v254, 28
	v_add_co_u32_e32 v2, vcc, s44, v2
	v_addc_co_u32_e32 v3, vcc, v6, v3, vcc
	v_pk_add_f32 v[4:5], v[4:5], 0 op_sel_hi:[1,0]
	global_store_dwordx2 v[2:3], v[4:5], off
	v_mov_b32_e32 v2, 0
.LBB19_134:                             ;   in Loop: Header=BB19_13 Depth=1
	s_or_b64 exec, exec, s[42:43]
	v_cmp_gt_i32_e32 vcc, 50, v2
	s_mov_b64 s[44:45], -1
	s_and_saveexec_b64 s[42:43], vcc
; %bb.135:                              ;   in Loop: Header=BB19_13 Depth=1
	v_cmp_eq_u32_e32 vcc, 0, v2
	s_orn2_b64 s[44:45], vcc, exec
; %bb.136:                              ;   in Loop: Header=BB19_13 Depth=1
	s_or_b64 exec, exec, s[42:43]
	s_and_saveexec_b64 s[42:43], s[44:45]
	s_cbranch_execz .LBB19_169
; %bb.137:                              ;   in Loop: Header=BB19_13 Depth=1
	v_mov_b32_e32 v2, 50
	s_mov_b64 s[44:45], exec
	v_readlane_b32 s54, v255, 9
	v_readlane_b32 s55, v255, 10
	s_and_b64 s[54:55], s[44:45], s[54:55]
	s_mov_b64 exec, s[54:55]
	s_cbranch_execz .LBB19_139
; %bb.138:                              ;   in Loop: Header=BB19_13 Depth=1
	ds_read_b32 v4, v217 offset:1920
	v_readlane_b32 s54, v254, 10
	v_mad_u64_u32 v[2:3], s[54:55], v107, s54, v[32:33]
	v_ashrrev_i32_e32 v3, 31, v2
	s_waitcnt lgkmcnt(0)
	v_cvt_f32_f16_sdwa v5, v4 dst_sel:DWORD dst_unused:UNUSED_PAD src0_sel:WORD_1
	v_cvt_f32_f16_e32 v4, v4
	v_readlane_b32 s54, v254, 29
	v_lshlrev_b64 v[2:3], 3, v[2:3]
	v_mov_b32_e32 v6, s54
	v_readlane_b32 s54, v254, 28
	v_add_co_u32_e32 v2, vcc, s54, v2
	v_addc_co_u32_e32 v3, vcc, v6, v3, vcc
	v_pk_add_f32 v[4:5], v[4:5], 0 op_sel_hi:[1,0]
	global_store_dwordx2 v[2:3], v[4:5], off
	v_mov_b32_e32 v2, 0
.LBB19_139:                             ;   in Loop: Header=BB19_13 Depth=1
	s_or_b64 exec, exec, s[44:45]
	v_cmp_gt_i32_e32 vcc, 50, v2
	s_mov_b64 s[44:45], -1
	s_and_saveexec_b64 s[54:55], vcc
; %bb.140:                              ;   in Loop: Header=BB19_13 Depth=1
	v_cmp_eq_u32_e32 vcc, 0, v2
	s_orn2_b64 s[44:45], vcc, exec
; %bb.141:                              ;   in Loop: Header=BB19_13 Depth=1
	s_or_b64 exec, exec, s[54:55]
	s_and_b64 exec, exec, s[44:45]
	s_cbranch_execz .LBB19_169
; %bb.142:                              ;   in Loop: Header=BB19_13 Depth=1
	v_mov_b32_e32 v2, 50
	s_mov_b64 s[44:45], exec
	v_readlane_b32 s54, v255, 11
	v_readlane_b32 s55, v255, 12
	s_and_b64 s[54:55], s[44:45], s[54:55]
	s_mov_b64 exec, s[54:55]
	s_cbranch_execz .LBB19_144
; %bb.143:                              ;   in Loop: Header=BB19_13 Depth=1
	buffer_load_dword v2, off, s[0:3], 0 offset:112 ; 4-byte Folded Reload
	v_readlane_b32 s54, v254, 10
	s_waitcnt vmcnt(0)
	ds_read_b32 v4, v2
	v_mad_u64_u32 v[2:3], s[54:55], v106, s54, v[32:33]
	v_ashrrev_i32_e32 v3, 31, v2
	v_readlane_b32 s54, v254, 29
	s_waitcnt lgkmcnt(0)
	v_cvt_f32_f16_sdwa v5, v4 dst_sel:DWORD dst_unused:UNUSED_PAD src0_sel:WORD_1
	v_cvt_f32_f16_e32 v4, v4
	v_lshlrev_b64 v[2:3], 3, v[2:3]
	v_mov_b32_e32 v6, s54
	v_readlane_b32 s54, v254, 28
	v_add_co_u32_e32 v2, vcc, s54, v2
	v_addc_co_u32_e32 v3, vcc, v6, v3, vcc
	v_pk_add_f32 v[4:5], v[4:5], 0 op_sel_hi:[1,0]
	global_store_dwordx2 v[2:3], v[4:5], off
	v_mov_b32_e32 v2, 0
.LBB19_144:                             ;   in Loop: Header=BB19_13 Depth=1
	s_or_b64 exec, exec, s[44:45]
	v_cmp_gt_i32_e32 vcc, 50, v2
	s_mov_b64 s[44:45], -1
	s_and_saveexec_b64 s[54:55], vcc
; %bb.145:                              ;   in Loop: Header=BB19_13 Depth=1
	v_cmp_eq_u32_e32 vcc, 0, v2
	s_orn2_b64 s[44:45], vcc, exec
; %bb.146:                              ;   in Loop: Header=BB19_13 Depth=1
	s_or_b64 exec, exec, s[54:55]
	s_and_b64 exec, exec, s[44:45]
	s_cbranch_execz .LBB19_169
; %bb.147:                              ;   in Loop: Header=BB19_13 Depth=1
	v_mov_b32_e32 v2, 50
	s_mov_b64 s[44:45], exec
	v_readlane_b32 s54, v255, 13
	v_readlane_b32 s55, v255, 14
	s_and_b64 s[54:55], s[44:45], s[54:55]
	s_mov_b64 exec, s[54:55]
	s_cbranch_execz .LBB19_149
; %bb.148:                              ;   in Loop: Header=BB19_13 Depth=1
	ds_read_b32 v4, v217 offset:5760
	v_readlane_b32 s54, v254, 10
	v_mad_u64_u32 v[2:3], s[54:55], v105, s54, v[32:33]
	v_ashrrev_i32_e32 v3, 31, v2
	s_waitcnt lgkmcnt(0)
	v_cvt_f32_f16_sdwa v5, v4 dst_sel:DWORD dst_unused:UNUSED_PAD src0_sel:WORD_1
	v_cvt_f32_f16_e32 v4, v4
	v_readlane_b32 s54, v254, 29
	v_lshlrev_b64 v[2:3], 3, v[2:3]
	v_mov_b32_e32 v6, s54
	v_readlane_b32 s54, v254, 28
	v_add_co_u32_e32 v2, vcc, s54, v2
	v_addc_co_u32_e32 v3, vcc, v6, v3, vcc
	v_pk_add_f32 v[4:5], v[4:5], 0 op_sel_hi:[1,0]
	global_store_dwordx2 v[2:3], v[4:5], off
	v_mov_b32_e32 v2, 0
.LBB19_149:                             ;   in Loop: Header=BB19_13 Depth=1
	s_or_b64 exec, exec, s[44:45]
	v_cmp_gt_i32_e32 vcc, 50, v2
	s_mov_b64 s[44:45], -1
	s_and_saveexec_b64 s[54:55], vcc
; %bb.150:                              ;   in Loop: Header=BB19_13 Depth=1
	v_cmp_eq_u32_e32 vcc, 0, v2
	s_orn2_b64 s[44:45], vcc, exec
; %bb.151:                              ;   in Loop: Header=BB19_13 Depth=1
	s_or_b64 exec, exec, s[54:55]
	s_and_b64 exec, exec, s[44:45]
	s_cbranch_execz .LBB19_169
; %bb.152:                              ;   in Loop: Header=BB19_13 Depth=1
	v_mov_b32_e32 v2, 50
	s_mov_b64 s[44:45], exec
	v_readlane_b32 s54, v255, 15
	v_readlane_b32 s55, v255, 16
	s_and_b64 s[54:55], s[44:45], s[54:55]
	s_mov_b64 exec, s[54:55]
	s_cbranch_execz .LBB19_154
; %bb.153:                              ;   in Loop: Header=BB19_13 Depth=1
	buffer_load_dword v2, off, s[0:3], 0 offset:144 ; 4-byte Folded Reload
	v_readlane_b32 s54, v254, 10
	s_waitcnt vmcnt(0)
	ds_read_b32 v4, v2
	v_mad_u64_u32 v[2:3], s[54:55], v104, s54, v[32:33]
	v_ashrrev_i32_e32 v3, 31, v2
	v_readlane_b32 s54, v254, 29
	s_waitcnt lgkmcnt(0)
	v_cvt_f32_f16_sdwa v5, v4 dst_sel:DWORD dst_unused:UNUSED_PAD src0_sel:WORD_1
	v_cvt_f32_f16_e32 v4, v4
	v_lshlrev_b64 v[2:3], 3, v[2:3]
	v_mov_b32_e32 v6, s54
	v_readlane_b32 s54, v254, 28
	v_add_co_u32_e32 v2, vcc, s54, v2
	v_addc_co_u32_e32 v3, vcc, v6, v3, vcc
	v_pk_add_f32 v[4:5], v[4:5], 0 op_sel_hi:[1,0]
	global_store_dwordx2 v[2:3], v[4:5], off
	v_mov_b32_e32 v2, 0
.LBB19_154:                             ;   in Loop: Header=BB19_13 Depth=1
	s_or_b64 exec, exec, s[44:45]
	v_cmp_gt_i32_e32 vcc, 50, v2
	s_mov_b64 s[44:45], -1
	s_and_saveexec_b64 s[54:55], vcc
; %bb.155:                              ;   in Loop: Header=BB19_13 Depth=1
	v_cmp_eq_u32_e32 vcc, 0, v2
	s_orn2_b64 s[44:45], vcc, exec
; %bb.156:                              ;   in Loop: Header=BB19_13 Depth=1
	s_or_b64 exec, exec, s[54:55]
	s_and_b64 exec, exec, s[44:45]
	s_cbranch_execz .LBB19_169
; %bb.157:                              ;   in Loop: Header=BB19_13 Depth=1
	v_mov_b32_e32 v2, 50
	s_mov_b64 s[44:45], exec
	v_readlane_b32 s54, v255, 17
	v_readlane_b32 s55, v255, 18
	s_and_b64 s[54:55], s[44:45], s[54:55]
	s_mov_b64 exec, s[54:55]
	s_cbranch_execz .LBB19_159
; %bb.158:                              ;   in Loop: Header=BB19_13 Depth=1
	ds_read_b32 v4, v217 offset:9600
	v_readlane_b32 s54, v254, 10
	v_mad_u64_u32 v[2:3], s[54:55], v43, s54, v[32:33]
	v_ashrrev_i32_e32 v3, 31, v2
	s_waitcnt lgkmcnt(0)
	v_cvt_f32_f16_sdwa v5, v4 dst_sel:DWORD dst_unused:UNUSED_PAD src0_sel:WORD_1
	v_cvt_f32_f16_e32 v4, v4
	v_readlane_b32 s54, v254, 29
	v_lshlrev_b64 v[2:3], 3, v[2:3]
	v_mov_b32_e32 v6, s54
	v_readlane_b32 s54, v254, 28
	v_add_co_u32_e32 v2, vcc, s54, v2
	v_addc_co_u32_e32 v3, vcc, v6, v3, vcc
	v_pk_add_f32 v[4:5], v[4:5], 0 op_sel_hi:[1,0]
	global_store_dwordx2 v[2:3], v[4:5], off
	v_mov_b32_e32 v2, 0
.LBB19_159:                             ;   in Loop: Header=BB19_13 Depth=1
	s_or_b64 exec, exec, s[44:45]
	v_cmp_gt_i32_e32 vcc, 50, v2
	s_mov_b64 s[44:45], -1
	s_and_saveexec_b64 s[54:55], vcc
; %bb.160:                              ;   in Loop: Header=BB19_13 Depth=1
	v_cmp_eq_u32_e32 vcc, 0, v2
	s_orn2_b64 s[44:45], vcc, exec
; %bb.161:                              ;   in Loop: Header=BB19_13 Depth=1
	s_or_b64 exec, exec, s[54:55]
	s_and_b64 exec, exec, s[44:45]
	s_cbranch_execz .LBB19_169
; %bb.162:                              ;   in Loop: Header=BB19_13 Depth=1
	v_mov_b32_e32 v2, 50
	s_mov_b64 s[44:45], exec
	v_readlane_b32 s54, v255, 19
	v_readlane_b32 s55, v255, 20
	s_and_b64 s[54:55], s[44:45], s[54:55]
	s_mov_b64 exec, s[54:55]
	s_cbranch_execz .LBB19_164
; %bb.163:                              ;   in Loop: Header=BB19_13 Depth=1
	buffer_load_dword v2, off, s[0:3], 0 offset:156 ; 4-byte Folded Reload
	v_readlane_b32 s54, v254, 10
	s_waitcnt vmcnt(0)
	ds_read_b32 v4, v2
	v_mad_u64_u32 v[2:3], s[54:55], v39, s54, v[32:33]
	v_ashrrev_i32_e32 v3, 31, v2
	v_readlane_b32 s54, v254, 29
	s_waitcnt lgkmcnt(0)
	v_cvt_f32_f16_sdwa v5, v4 dst_sel:DWORD dst_unused:UNUSED_PAD src0_sel:WORD_1
	v_cvt_f32_f16_e32 v4, v4
	v_lshlrev_b64 v[2:3], 3, v[2:3]
	v_mov_b32_e32 v6, s54
	v_readlane_b32 s54, v254, 28
	v_add_co_u32_e32 v2, vcc, s54, v2
	v_addc_co_u32_e32 v3, vcc, v6, v3, vcc
	v_pk_add_f32 v[4:5], v[4:5], 0 op_sel_hi:[1,0]
	global_store_dwordx2 v[2:3], v[4:5], off
	v_mov_b32_e32 v2, 0
.LBB19_164:                             ;   in Loop: Header=BB19_13 Depth=1
	s_or_b64 exec, exec, s[44:45]
	v_cmp_gt_i32_e32 vcc, 50, v2
	s_mov_b64 s[44:45], -1
	s_and_saveexec_b64 s[54:55], vcc
; %bb.165:                              ;   in Loop: Header=BB19_13 Depth=1
	v_cmp_eq_u32_e32 vcc, 0, v2
	s_orn2_b64 s[44:45], vcc, exec
; %bb.166:                              ;   in Loop: Header=BB19_13 Depth=1
	s_or_b64 exec, exec, s[54:55]
	s_and_b64 exec, exec, s[44:45]
	s_cbranch_execz .LBB19_169
; %bb.167:                              ;   in Loop: Header=BB19_13 Depth=1
	v_readlane_b32 s44, v255, 21
	v_readlane_b32 s45, v255, 22
	s_and_b64 exec, exec, s[44:45]
	s_cbranch_execz .LBB19_169
; %bb.168:                              ;   in Loop: Header=BB19_13 Depth=1
	ds_read_b32 v4, v217 offset:13440
	v_readlane_b32 s44, v254, 10
	v_mad_u64_u32 v[2:3], s[44:45], v35, s44, v[32:33]
	v_ashrrev_i32_e32 v3, 31, v2
	s_waitcnt lgkmcnt(0)
	v_cvt_f32_f16_sdwa v5, v4 dst_sel:DWORD dst_unused:UNUSED_PAD src0_sel:WORD_1
	v_cvt_f32_f16_e32 v4, v4
	v_readlane_b32 s44, v254, 29
	v_lshlrev_b64 v[2:3], 3, v[2:3]
	v_mov_b32_e32 v6, s44
	v_readlane_b32 s44, v254, 28
	v_add_co_u32_e32 v2, vcc, s44, v2
	v_addc_co_u32_e32 v3, vcc, v6, v3, vcc
	v_pk_add_f32 v[4:5], v[4:5], 0 op_sel_hi:[1,0]
	global_store_dwordx2 v[2:3], v[4:5], off
.LBB19_169:                             ;   in Loop: Header=BB19_13 Depth=1
	s_or_b64 exec, exec, s[42:43]
	v_mov_b32_e32 v2, 50
	s_mov_b64 s[42:43], exec
	v_readlane_b32 s44, v255, 23
	v_readlane_b32 s45, v255, 24
	s_and_b64 s[44:45], s[42:43], s[44:45]
	s_mov_b64 exec, s[44:45]
	s_cbranch_execz .LBB19_171
; %bb.170:                              ;   in Loop: Header=BB19_13 Depth=1
	ds_read_b32 v4, v225 offset:128
	v_readlane_b32 s44, v254, 10
	v_mul_lo_u32 v2, v41, s44
	v_ashrrev_i32_e32 v3, 31, v2
	v_add_co_u32_e32 v2, vcc, v2, v34
	s_waitcnt lgkmcnt(0)
	v_cvt_f32_f16_sdwa v5, v4 dst_sel:DWORD dst_unused:UNUSED_PAD src0_sel:WORD_1
	v_cvt_f32_f16_e32 v4, v4
	v_addc_co_u32_e32 v3, vcc, 0, v3, vcc
	v_readlane_b32 s44, v254, 29
	v_lshlrev_b64 v[2:3], 3, v[2:3]
	v_mov_b32_e32 v6, s44
	v_readlane_b32 s44, v254, 28
	v_add_co_u32_e32 v2, vcc, s44, v2
	v_addc_co_u32_e32 v3, vcc, v6, v3, vcc
	v_pk_add_f32 v[4:5], v[4:5], 0 op_sel_hi:[1,0]
	global_store_dwordx2 v[2:3], v[4:5], off offset:256
	v_mov_b32_e32 v2, 0
.LBB19_171:                             ;   in Loop: Header=BB19_13 Depth=1
	s_or_b64 exec, exec, s[42:43]
	v_cmp_gt_i32_e32 vcc, 50, v2
	s_mov_b64 s[44:45], -1
	s_and_saveexec_b64 s[42:43], vcc
; %bb.172:                              ;   in Loop: Header=BB19_13 Depth=1
	v_cmp_eq_u32_e32 vcc, 0, v2
	s_orn2_b64 s[44:45], vcc, exec
; %bb.173:                              ;   in Loop: Header=BB19_13 Depth=1
	s_or_b64 exec, exec, s[42:43]
	s_and_saveexec_b64 s[42:43], s[44:45]
	s_cbranch_execz .LBB19_186
; %bb.174:                              ;   in Loop: Header=BB19_13 Depth=1
	v_mov_b32_e32 v2, 50
	s_mov_b64 s[44:45], exec
	v_readlane_b32 s54, v255, 25
	v_readlane_b32 s55, v255, 26
	s_and_b64 s[54:55], s[44:45], s[54:55]
	s_mov_b64 exec, s[54:55]
	s_cbranch_execz .LBB19_176
; %bb.175:                              ;   in Loop: Header=BB19_13 Depth=1
	buffer_load_dword v3, off, s[0:3], 0 offset:36 ; 4-byte Folded Reload
	v_readlane_b32 s54, v254, 10
	v_mul_lo_u32 v2, v37, s54
	v_readlane_b32 s54, v254, 29
	v_mov_b32_e32 v6, s54
	v_readlane_b32 s54, v254, 28
	s_waitcnt vmcnt(0)
	ds_read_b32 v4, v3 offset:128
	v_ashrrev_i32_e32 v3, 31, v2
	v_add_co_u32_e32 v2, vcc, v2, v34
	v_addc_co_u32_e32 v3, vcc, 0, v3, vcc
	s_waitcnt lgkmcnt(0)
	v_cvt_f32_f16_sdwa v5, v4 dst_sel:DWORD dst_unused:UNUSED_PAD src0_sel:WORD_1
	v_cvt_f32_f16_e32 v4, v4
	v_lshlrev_b64 v[2:3], 3, v[2:3]
	v_add_co_u32_e32 v2, vcc, s54, v2
	v_addc_co_u32_e32 v3, vcc, v6, v3, vcc
	v_pk_add_f32 v[4:5], v[4:5], 0 op_sel_hi:[1,0]
	global_store_dwordx2 v[2:3], v[4:5], off offset:256
	v_mov_b32_e32 v2, 0
.LBB19_176:                             ;   in Loop: Header=BB19_13 Depth=1
	s_or_b64 exec, exec, s[44:45]
	v_cmp_gt_i32_e32 vcc, 50, v2
	s_mov_b64 s[44:45], -1
	s_and_saveexec_b64 s[54:55], vcc
; %bb.177:                              ;   in Loop: Header=BB19_13 Depth=1
	v_cmp_eq_u32_e32 vcc, 0, v2
	s_orn2_b64 s[44:45], vcc, exec
; %bb.178:                              ;   in Loop: Header=BB19_13 Depth=1
	s_or_b64 exec, exec, s[54:55]
	s_and_b64 exec, exec, s[44:45]
	s_cbranch_execz .LBB19_186
; %bb.179:                              ;   in Loop: Header=BB19_13 Depth=1
	v_mov_b32_e32 v2, 50
	s_mov_b64 s[44:45], exec
	v_readlane_b32 s54, v255, 27
	v_readlane_b32 s55, v255, 28
	s_and_b64 s[54:55], s[44:45], s[54:55]
	s_mov_b64 exec, s[54:55]
	s_cbranch_execz .LBB19_181
; %bb.180:                              ;   in Loop: Header=BB19_13 Depth=1
	buffer_load_dword v3, off, s[0:3], 0 offset:116 ; 4-byte Folded Reload
	v_readlane_b32 s54, v254, 10
	v_mul_lo_u32 v2, v33, s54
	v_readlane_b32 s54, v254, 29
	v_mov_b32_e32 v6, s54
	v_readlane_b32 s54, v254, 28
	s_waitcnt vmcnt(0)
	ds_read_b32 v4, v3 offset:128
	v_ashrrev_i32_e32 v3, 31, v2
	v_add_co_u32_e32 v2, vcc, v2, v34
	v_addc_co_u32_e32 v3, vcc, 0, v3, vcc
	s_waitcnt lgkmcnt(0)
	v_cvt_f32_f16_sdwa v5, v4 dst_sel:DWORD dst_unused:UNUSED_PAD src0_sel:WORD_1
	v_cvt_f32_f16_e32 v4, v4
	v_lshlrev_b64 v[2:3], 3, v[2:3]
	v_add_co_u32_e32 v2, vcc, s54, v2
	v_addc_co_u32_e32 v3, vcc, v6, v3, vcc
	v_pk_add_f32 v[4:5], v[4:5], 0 op_sel_hi:[1,0]
	global_store_dwordx2 v[2:3], v[4:5], off offset:256
	v_mov_b32_e32 v2, 0
.LBB19_181:                             ;   in Loop: Header=BB19_13 Depth=1
	s_or_b64 exec, exec, s[44:45]
	v_cmp_gt_i32_e32 vcc, 50, v2
	s_mov_b64 s[44:45], -1
	s_and_saveexec_b64 s[54:55], vcc
; %bb.182:                              ;   in Loop: Header=BB19_13 Depth=1
	v_cmp_eq_u32_e32 vcc, 0, v2
	s_orn2_b64 s[44:45], vcc, exec
; %bb.183:                              ;   in Loop: Header=BB19_13 Depth=1
	s_or_b64 exec, exec, s[54:55]
	s_and_b64 exec, exec, s[44:45]
	s_cbranch_execz .LBB19_186
; %bb.184:                              ;   in Loop: Header=BB19_13 Depth=1
	v_readlane_b32 s44, v255, 29
	v_readlane_b32 s45, v255, 30
	s_and_b64 exec, exec, s[44:45]
	s_cbranch_execz .LBB19_186
; %bb.185:                              ;   in Loop: Header=BB19_13 Depth=1
	buffer_load_dword v2, off, s[0:3], 0 offset:128 ; 4-byte Folded Reload
	v_readlane_b32 s44, v254, 10
	v_mul_lo_u32 v1, v1, s44
	v_ashrrev_i32_e32 v3, 31, v1
	v_readlane_b32 s44, v254, 29
	s_waitcnt vmcnt(0)
	ds_read_b32 v4, v2 offset:128
	v_add_co_u32_e32 v2, vcc, v1, v34
	v_addc_co_u32_e32 v3, vcc, 0, v3, vcc
	s_waitcnt lgkmcnt(0)
	v_cvt_f32_f16_sdwa v5, v4 dst_sel:DWORD dst_unused:UNUSED_PAD src0_sel:WORD_1
	v_cvt_f32_f16_e32 v4, v4
	v_lshlrev_b64 v[2:3], 3, v[2:3]
	v_mov_b32_e32 v1, s44
	v_readlane_b32 s44, v254, 28
	v_add_co_u32_e32 v2, vcc, s44, v2
	v_addc_co_u32_e32 v3, vcc, v1, v3, vcc
	v_pk_add_f32 v[4:5], v[4:5], 0 op_sel_hi:[1,0]
	global_store_dwordx2 v[2:3], v[4:5], off offset:256
.LBB19_186:                             ;   in Loop: Header=BB19_13 Depth=1
	s_or_b64 exec, exec, s[42:43]
	v_mov_b32_e32 v1, 50
	s_mov_b64 s[42:43], exec
	v_readlane_b32 s44, v255, 31
	v_readlane_b32 s45, v255, 32
	s_and_b64 s[44:45], s[42:43], s[44:45]
	s_mov_b64 exec, s[44:45]
	s_cbranch_execz .LBB19_188
; %bb.187:                              ;   in Loop: Header=BB19_13 Depth=1
	ds_read_b32 v4, v229 offset:192
	v_readlane_b32 s44, v254, 10
	v_mul_lo_u32 v1, v31, s44
	v_ashrrev_i32_e32 v3, 31, v1
	v_add_co_u32_e32 v2, vcc, v1, v36
	s_waitcnt lgkmcnt(0)
	v_cvt_f32_f16_sdwa v5, v4 dst_sel:DWORD dst_unused:UNUSED_PAD src0_sel:WORD_1
	v_cvt_f32_f16_e32 v4, v4
	v_addc_co_u32_e32 v3, vcc, 0, v3, vcc
	v_readlane_b32 s44, v254, 29
	v_lshlrev_b64 v[2:3], 3, v[2:3]
	v_mov_b32_e32 v1, s44
	v_readlane_b32 s44, v254, 28
	v_add_co_u32_e32 v2, vcc, s44, v2
	v_addc_co_u32_e32 v3, vcc, v1, v3, vcc
	v_pk_add_f32 v[4:5], v[4:5], 0 op_sel_hi:[1,0]
	v_mov_b32_e32 v1, 0
	global_store_dwordx2 v[2:3], v[4:5], off offset:384
.LBB19_188:                             ;   in Loop: Header=BB19_13 Depth=1
	s_or_b64 exec, exec, s[42:43]
	v_cmp_gt_i32_e32 vcc, 50, v1
	s_mov_b64 s[56:57], -1
	s_and_saveexec_b64 s[42:43], vcc
; %bb.189:                              ;   in Loop: Header=BB19_13 Depth=1
	v_cmp_eq_u32_e32 vcc, 0, v1
	s_orn2_b64 s[56:57], vcc, exec
; %bb.190:                              ;   in Loop: Header=BB19_13 Depth=1
	s_or_b64 exec, exec, s[42:43]
	s_mov_b64 s[42:43], 0
	s_mov_b64 s[54:55], 0
                                        ; implicit-def: $vgpr2_vgpr3
	s_and_saveexec_b64 s[44:45], s[56:57]
	s_cbranch_execz .LBB19_194
; %bb.191:                              ;   in Loop: Header=BB19_13 Depth=1
                                        ; implicit-def: $vgpr2_vgpr3
	s_mov_b64 s[56:57], exec
	v_readlane_b32 s58, v255, 33
	v_readlane_b32 s59, v255, 34
	s_and_b64 s[58:59], s[56:57], s[58:59]
	s_xor_b64 s[56:57], s[58:59], s[56:57]
	s_mov_b64 exec, s[58:59]
	s_cbranch_execz .LBB19_193
; %bb.192:                              ;   in Loop: Header=BB19_13 Depth=1
	ds_read_b32 v1, v230 offset:192
	s_mov_b64 s[54:55], exec
	s_waitcnt lgkmcnt(0)
	v_cvt_f32_f16_sdwa v3, v1 dst_sel:DWORD dst_unused:UNUSED_PAD src0_sel:WORD_1
	v_cvt_f32_f16_e32 v2, v1
	v_pk_add_f32 v[2:3], v[2:3], 0 op_sel_hi:[1,0]
.LBB19_193:                             ;   in Loop: Header=BB19_13 Depth=1
	s_or_b64 exec, exec, s[56:57]
	s_and_b64 s[54:55], s[54:55], exec
.LBB19_194:                             ;   in Loop: Header=BB19_13 Depth=1
	s_or_b64 exec, exec, s[44:45]
	s_and_b64 vcc, exec, s[42:43]
	s_cbranch_vccz .LBB19_99
.LBB19_195:                             ;   in Loop: Header=BB19_13 Depth=1
	v_readlane_b32 s42, v254, 42
	s_lshl_b32 s44, s42, 6
	v_add_u32_e32 v248, s44, v123
	v_readlane_b32 s56, v253, 7
	v_cmp_gt_i32_e64 s[42:43], s56, v248
	v_writelane_b32 v254, s42, 43
	v_writelane_b32 v254, s43, 44
	v_cmp_le_i32_e32 vcc, s56, v248
	v_readlane_b32 s57, v253, 8
	v_readlane_b32 s58, v253, 9
	v_readlane_b32 s59, v253, 10
	s_and_saveexec_b64 s[42:43], vcc
	s_xor_b64 s[42:43], exec, s[42:43]
	s_cbranch_execz .LBB19_197
; %bb.196:                              ;   in Loop: Header=BB19_13 Depth=1
	ds_write_b32 v217, v122
.LBB19_197:                             ;   in Loop: Header=BB19_13 Depth=1
	s_andn2_saveexec_b64 s[42:43], s[42:43]
	s_cbranch_execz .LBB19_199
; %bb.198:                              ;   in Loop: Header=BB19_13 Depth=1
	v_mad_u64_u32 v[0:1], s[56:57], v248, s67, v[32:33]
	v_ashrrev_i32_e32 v1, 31, v0
	v_readlane_b32 s45, v254, 35
	v_lshlrev_b64 v[0:1], 3, v[0:1]
	v_mov_b32_e32 v2, s45
	v_readlane_b32 s45, v254, 34
	v_add_co_u32_e32 v0, vcc, s45, v0
	v_addc_co_u32_e32 v1, vcc, v2, v1, vcc
	global_load_dwordx2 v[0:1], v[0:1], off
	s_waitcnt vmcnt(0)
	v_cvt_f16_f32_e32 v0, v0
	v_cvt_f16_f32_e32 v1, v1
	v_pack_b32_f16 v0, v0, v1
	v_pk_mul_f16 v0, v121, v0
	ds_write_b32 v217, v0
.LBB19_199:                             ;   in Loop: Header=BB19_13 Depth=1
	s_or_b64 exec, exec, s[42:43]
	v_add_u32_e32 v247, s44, v218
	v_readlane_b32 s56, v253, 7
	v_cmp_gt_i32_e64 s[42:43], s56, v247
	v_writelane_b32 v254, s42, 45
	v_writelane_b32 v254, s43, 46
	v_cmp_le_i32_e32 vcc, s56, v247
	v_readlane_b32 s57, v253, 8
	v_readlane_b32 s58, v253, 9
	v_readlane_b32 s59, v253, 10
	s_and_saveexec_b64 s[42:43], vcc
	s_xor_b64 s[42:43], exec, s[42:43]
	s_cbranch_execz .LBB19_201
; %bb.200:                              ;   in Loop: Header=BB19_13 Depth=1
	ds_write_b32 v217, v122 offset:1920
.LBB19_201:                             ;   in Loop: Header=BB19_13 Depth=1
	s_andn2_saveexec_b64 s[42:43], s[42:43]
	s_cbranch_execz .LBB19_203
; %bb.202:                              ;   in Loop: Header=BB19_13 Depth=1
	v_mad_u64_u32 v[0:1], s[56:57], v247, s67, v[32:33]
	v_ashrrev_i32_e32 v1, 31, v0
	v_readlane_b32 s45, v254, 35
	v_lshlrev_b64 v[0:1], 3, v[0:1]
	v_mov_b32_e32 v2, s45
	v_readlane_b32 s45, v254, 34
	v_add_co_u32_e32 v0, vcc, s45, v0
	v_addc_co_u32_e32 v1, vcc, v2, v1, vcc
	global_load_dwordx2 v[0:1], v[0:1], off
	s_waitcnt vmcnt(0)
	v_cvt_f16_f32_e32 v0, v0
	v_cvt_f16_f32_e32 v1, v1
	v_pack_b32_f16 v0, v0, v1
	v_pk_mul_f16 v0, v121, v0
	ds_write_b32 v217, v0 offset:1920
.LBB19_203:                             ;   in Loop: Header=BB19_13 Depth=1
	s_or_b64 exec, exec, s[42:43]
	v_add_u32_e32 v241, s44, v219
	v_readlane_b32 s56, v253, 7
	v_cmp_gt_i32_e64 s[42:43], s56, v241
	v_writelane_b32 v254, s42, 47
	v_writelane_b32 v254, s43, 48
	v_cmp_le_i32_e32 vcc, s56, v241
	v_readlane_b32 s57, v253, 8
	v_readlane_b32 s58, v253, 9
	v_readlane_b32 s59, v253, 10
	s_and_saveexec_b64 s[42:43], vcc
	s_xor_b64 s[42:43], exec, s[42:43]
	s_cbranch_execz .LBB19_205
; %bb.204:                              ;   in Loop: Header=BB19_13 Depth=1
	ds_write_b32 v217, v122 offset:3840
.LBB19_205:                             ;   in Loop: Header=BB19_13 Depth=1
	s_andn2_saveexec_b64 s[42:43], s[42:43]
	s_cbranch_execz .LBB19_207
; %bb.206:                              ;   in Loop: Header=BB19_13 Depth=1
	v_mad_u64_u32 v[0:1], s[56:57], v241, s67, v[32:33]
	v_ashrrev_i32_e32 v1, 31, v0
	v_readlane_b32 s45, v254, 35
	v_lshlrev_b64 v[0:1], 3, v[0:1]
	v_mov_b32_e32 v2, s45
	v_readlane_b32 s45, v254, 34
	v_add_co_u32_e32 v0, vcc, s45, v0
	v_addc_co_u32_e32 v1, vcc, v2, v1, vcc
	global_load_dwordx2 v[0:1], v[0:1], off
	s_waitcnt vmcnt(0)
	v_cvt_f16_f32_e32 v0, v0
	v_cvt_f16_f32_e32 v1, v1
	v_pack_b32_f16 v0, v0, v1
	v_pk_mul_f16 v0, v121, v0
	ds_write_b32 v217, v0 offset:3840
.LBB19_207:                             ;   in Loop: Header=BB19_13 Depth=1
	;; [unrolled: 35-line block ×7, first 2 shown]
	s_or_b64 exec, exec, s[42:43]
	v_add_u32_e32 v81, s44, v124
	v_readlane_b32 s56, v253, 7
	v_cmp_gt_i32_e64 s[42:43], s56, v81
	v_writelane_b32 v254, s42, 59
	v_writelane_b32 v254, s43, 60
	v_cmp_le_i32_e32 vcc, s56, v81
	v_readlane_b32 s57, v253, 8
	v_readlane_b32 s58, v253, 9
	v_readlane_b32 s59, v253, 10
	s_and_saveexec_b64 s[42:43], vcc
	s_xor_b64 s[42:43], exec, s[42:43]
	s_cbranch_execz .LBB19_229
; %bb.228:                              ;   in Loop: Header=BB19_13 Depth=1
	ds_write_b32 v225, v122 offset:128
.LBB19_229:                             ;   in Loop: Header=BB19_13 Depth=1
	s_andn2_saveexec_b64 s[42:43], s[42:43]
	s_cbranch_execz .LBB19_231
; %bb.230:                              ;   in Loop: Header=BB19_13 Depth=1
	v_mul_lo_u32 v0, v81, s67
	v_ashrrev_i32_e32 v1, 31, v0
	v_add_co_u32_e32 v0, vcc, v0, v34
	v_addc_co_u32_e32 v1, vcc, 0, v1, vcc
	v_readlane_b32 s45, v254, 35
	v_lshlrev_b64 v[0:1], 3, v[0:1]
	v_mov_b32_e32 v2, s45
	v_readlane_b32 s45, v254, 34
	v_add_co_u32_e32 v0, vcc, s45, v0
	v_addc_co_u32_e32 v1, vcc, v2, v1, vcc
	global_load_dwordx2 v[0:1], v[0:1], off offset:256
	s_waitcnt vmcnt(0)
	v_cvt_f16_f32_e32 v0, v0
	v_cvt_f16_f32_e32 v1, v1
	v_pack_b32_f16 v0, v0, v1
	v_pk_mul_f16 v0, v121, v0
	ds_write_b32 v225, v0 offset:128
.LBB19_231:                             ;   in Loop: Header=BB19_13 Depth=1
	s_or_b64 exec, exec, s[42:43]
	v_add_u32_e32 v79, s44, v226
	v_readlane_b32 s56, v253, 7
	v_cmp_gt_i32_e64 s[42:43], s56, v79
	v_writelane_b32 v254, s42, 61
	v_writelane_b32 v254, s43, 62
	v_cmp_le_i32_e32 vcc, s56, v79
	v_readlane_b32 s57, v253, 8
	v_readlane_b32 s58, v253, 9
	v_readlane_b32 s59, v253, 10
	s_and_saveexec_b64 s[42:43], vcc
	s_xor_b64 s[42:43], exec, s[42:43]
	s_cbranch_execz .LBB19_233
; %bb.232:                              ;   in Loop: Header=BB19_13 Depth=1
	ds_write_b32 v225, v122 offset:3968
.LBB19_233:                             ;   in Loop: Header=BB19_13 Depth=1
	s_andn2_saveexec_b64 s[42:43], s[42:43]
	s_cbranch_execz .LBB19_235
; %bb.234:                              ;   in Loop: Header=BB19_13 Depth=1
	v_mul_lo_u32 v0, v79, s67
	v_ashrrev_i32_e32 v1, 31, v0
	v_add_co_u32_e32 v0, vcc, v0, v34
	v_addc_co_u32_e32 v1, vcc, 0, v1, vcc
	v_readlane_b32 s45, v254, 35
	v_lshlrev_b64 v[0:1], 3, v[0:1]
	v_mov_b32_e32 v2, s45
	v_readlane_b32 s45, v254, 34
	v_add_co_u32_e32 v0, vcc, s45, v0
	v_addc_co_u32_e32 v1, vcc, v2, v1, vcc
	global_load_dwordx2 v[0:1], v[0:1], off offset:256
	s_waitcnt vmcnt(0)
	v_cvt_f16_f32_e32 v0, v0
	v_cvt_f16_f32_e32 v1, v1
	v_pack_b32_f16 v0, v0, v1
	v_pk_mul_f16 v0, v121, v0
	ds_write_b32 v225, v0 offset:3968
.LBB19_235:                             ;   in Loop: Header=BB19_13 Depth=1
	;; [unrolled: 37-line block ×6, first 2 shown]
	s_or_b64 exec, exec, s[42:43]
	s_waitcnt lgkmcnt(0)
	s_barrier
	ds_read2_b64 v[10:13], v126 offset1:4
	ds_read2_b64 v[6:9], v126 offset0:8 offset1:12
	ds_read2_b64 v[2:5], v126 offset0:16 offset1:20
	ds_read_b64 v[68:69], v126 offset:192
	v_readlane_b32 s42, v253, 62
	s_mov_b32 s45, 0
	s_cmp_lt_i32 s42, 2
	v_mov_b32_e32 v246, 0
	v_cmp_ne_u64_e64 s[72:73], 0, v[66:67]
	s_waitcnt lgkmcnt(0)
	s_barrier
	s_cbranch_scc1 .LBB19_270
; %bb.252:                              ;   in Loop: Header=BB19_13 Depth=1
	s_add_i32 s45, s42, -1
	v_add_u32_e32 v1, s44, v120
	v_readlane_b32 s42, v253, 17
	v_mul_hi_u32 v14, s42, v1
	v_readlane_b32 s43, v253, 18
	v_add_u32_e32 v14, v1, v14
	v_lshrrev_b32_e32 v14, s43, v14
	v_readlane_b32 s56, v253, 7
	v_mul_lo_u32 v14, v14, s56
	v_sub_u32_e32 v14, v1, v14
	v_add_u32_e32 v1, 4, v120
	v_add_u32_e32 v1, s44, v1
	v_mul_hi_u32 v15, s42, v1
	v_add_u32_e32 v15, v1, v15
	v_lshrrev_b32_e32 v15, s43, v15
	v_mul_lo_u32 v15, v15, s56
	v_sub_u32_e32 v15, v1, v15
	v_add_u32_e32 v1, 8, v120
	v_add_u32_e32 v1, s44, v1
	v_mul_hi_u32 v16, s42, v1
	v_add_u32_e32 v16, v1, v16
	v_lshrrev_b32_e32 v16, s43, v16
	;; [unrolled: 7-line block ×10, first 2 shown]
	v_mul_lo_u32 v24, v24, s56
	v_sub_u32_e32 v24, v1, v24
	v_mov_b32_e32 v1, v148
	v_add_u32_e32 v1, s44, v1
	v_mul_hi_u32 v25, s42, v1
	v_add_u32_e32 v25, v1, v25
	v_lshrrev_b32_e32 v25, s43, v25
	v_mul_lo_u32 v25, v25, s56
	v_sub_u32_e32 v25, v1, v25
	v_mov_b32_e32 v1, v150
	v_add_u32_e32 v1, s44, v1
	v_mul_hi_u32 v26, s42, v1
	v_add_u32_e32 v26, v1, v26
	v_lshrrev_b32_e32 v26, s43, v26
	;; [unrolled: 7-line block ×5, first 2 shown]
	v_mul_lo_u32 v29, v29, s56
	v_sub_u32_e32 v29, v1, v29
	v_and_b32_e32 v1, 64, v245
	v_add_u32_e32 v1, 64, v1
	v_xor_b32_e32 v31, 32, v245
	v_cmp_lt_i32_e32 vcc, v31, v1
	v_cndmask_b32_e32 v31, v245, v31, vcc
	v_lshlrev_b32_e32 v249, 2, v31
	v_xor_b32_e32 v31, 16, v245
	v_cmp_lt_i32_e32 vcc, v31, v1
	v_cndmask_b32_e32 v1, v245, v31, vcc
	v_lshlrev_b32_e32 v250, 2, v1
	buffer_load_dword v1, off, s[0:3], 0 offset:44 ; 4-byte Folded Reload
	buffer_load_dword v31, off, s[0:3], 0 offset:52 ; 4-byte Folded Reload
	;; [unrolled: 1-line block ×3, first 2 shown]
	v_readlane_b32 s42, v254, 31
	v_mov_b32_e32 v35, s42
	v_readlane_b32 s42, v254, 30
	v_mov_b32_e32 v242, 0
	v_mov_b32_e32 v70, v64
	;; [unrolled: 1-line block ×17, first 2 shown]
	v_readlane_b32 s57, v253, 8
	v_readlane_b32 s58, v253, 9
	;; [unrolled: 1-line block ×3, first 2 shown]
	buffer_load_dword v33, off, s[0:3], 0 offset:60 ; 4-byte Folded Reload
	buffer_load_dword v41, off, s[0:3], 0 offset:92 ; 4-byte Folded Reload
	;; [unrolled: 1-line block ×4, first 2 shown]
	s_waitcnt vmcnt(6)
	v_add_co_u32_e32 v72, vcc, s42, v1
	buffer_load_dword v1, off, s[0:3], 0 offset:48 ; 4-byte Folded Reload
	s_waitcnt vmcnt(0)
	v_addc_co_u32_e32 v1, vcc, v1, v35, vcc
	v_add_co_u32_e32 v74, vcc, s42, v31
	buffer_load_dword v31, off, s[0:3], 0 offset:56 ; 4-byte Folded Reload
	s_waitcnt vmcnt(0)
	v_addc_co_u32_e32 v31, vcc, v31, v35, vcc
	;; [unrolled: 4-line block ×3, first 2 shown]
	v_add_co_u32_e32 v78, vcc, s42, v37
	buffer_load_dword v37, off, s[0:3], 0 offset:72 ; 4-byte Folded Reload
	v_readlane_b32 s42, v254, 37
	v_mov_b32_e32 v43, s42
	v_readlane_b32 s42, v254, 36
	s_waitcnt vmcnt(0)
	v_addc_co_u32_e32 v35, vcc, v37, v35, vcc
	buffer_load_dword v37, off, s[0:3], 0 offset:76 ; 4-byte Folded Reload
	s_waitcnt vmcnt(0)
	v_add_co_u32_e32 v80, vcc, s42, v37
	buffer_load_dword v37, off, s[0:3], 0 offset:80 ; 4-byte Folded Reload
	s_waitcnt vmcnt(0)
	v_addc_co_u32_e32 v37, vcc, v37, v43, vcc
	v_add_co_u32_e32 v82, vcc, s42, v39
	buffer_load_dword v39, off, s[0:3], 0 offset:88 ; 4-byte Folded Reload
	s_waitcnt vmcnt(0)
	v_addc_co_u32_e32 v39, vcc, v39, v43, vcc
	;; [unrolled: 4-line block ×3, first 2 shown]
	v_add_co_u32_e32 v86, vcc, s42, v46
	buffer_load_dword v46, off, s[0:3], 0 offset:104 ; 4-byte Folded Reload
	v_readlane_b32 s42, v254, 21
	v_readlane_b32 s43, v254, 22
	s_mov_b32 s56, s42
	v_mad_i64_i32 v[88:89], s[42:43], s56, v17, v[66:67]
	v_mad_i64_i32 v[90:91], s[42:43], s56, v16, v[66:67]
	;; [unrolled: 1-line block ×16, first 2 shown]
	s_mov_b32 s56, s45
	s_waitcnt vmcnt(0)
	v_addc_co_u32_e32 v43, vcc, v46, v43, vcc
	v_mov_b32_e32 v46, 0
	v_cndmask_b32_e64 v14, 0, 1, s[72:73]
	v_cmp_ne_u32_e64 s[74:75], 1, v14
	s_andn2_b64 vcc, exec, s[72:73]
	s_cbranch_vccnz .LBB19_262
.LBB19_253:                             ;   in Loop: Header=BB19_13 Depth=1
                                        ; implicit-def: $sgpr57
	s_and_saveexec_b64 s[42:43], s[6:7]
	s_xor_b64 s[42:43], exec, s[42:43]
	s_cbranch_execz .LBB19_255
; %bb.254:                              ;   in Loop: Header=BB19_13 Depth=1
	ds_write_b16 v127, v122 offset:15360
	ds_write_b16 v129, v122 offset:15360
	;; [unrolled: 1-line block ×4, first 2 shown]
	s_mov_b32 s57, 0
.LBB19_255:                             ;   in Loop: Header=BB19_13 Depth=1
	s_or_saveexec_b64 s[42:43], s[42:43]
	v_mov_b32_e32 v14, s57
	v_mov_b32_e32 v15, s57
	;; [unrolled: 1-line block ×4, first 2 shown]
	s_xor_b64 exec, exec, s[42:43]
	s_cbranch_execz .LBB19_257
; %bb.256:                              ;   in Loop: Header=BB19_13 Depth=1
	v_add_co_u32_e32 v14, vcc, v94, v38
	v_addc_co_u32_e32 v15, vcc, 0, v95, vcc
	flat_load_ushort v16, v[14:15]
	v_add_co_u32_e32 v14, vcc, v92, v38
	v_addc_co_u32_e32 v15, vcc, 0, v93, vcc
	flat_load_ushort v17, v[14:15]
	v_add_co_u32_e32 v14, vcc, v90, v38
	v_addc_co_u32_e32 v15, vcc, 0, v91, vcc
	flat_load_ushort v18, v[14:15]
	v_add_co_u32_e32 v14, vcc, v88, v38
	v_addc_co_u32_e32 v15, vcc, 0, v89, vcc
	flat_load_ushort v14, v[14:15]
	s_waitcnt vmcnt(0) lgkmcnt(0)
	ds_write_b16 v127, v16 offset:15360
	ds_write_b16 v129, v17 offset:15360
	;; [unrolled: 1-line block ×4, first 2 shown]
	v_add_co_u32_e32 v14, vcc, v102, v38
	v_addc_co_u32_e32 v15, vcc, 0, v103, vcc
	v_add_co_u32_e32 v16, vcc, v100, v38
	v_addc_co_u32_e32 v17, vcc, 0, v101, vcc
	flat_load_ushort v14, v[14:15]
	s_nop 0
	flat_load_ushort v15, v[16:17]
	v_add_co_u32_e32 v16, vcc, v98, v38
	v_addc_co_u32_e32 v17, vcc, 0, v99, vcc
	v_add_co_u32_e32 v18, vcc, v96, v38
	v_addc_co_u32_e32 v19, vcc, 0, v97, vcc
	flat_load_ushort v16, v[16:17]
	s_nop 0
	flat_load_ushort v17, v[18:19]
.LBB19_257:                             ;   in Loop: Header=BB19_13 Depth=1
	s_or_b64 exec, exec, s[42:43]
	s_waitcnt vmcnt(0) lgkmcnt(0)
	ds_write_b16 v135, v14 offset:15360
	ds_write_b16 v137, v15 offset:15360
	;; [unrolled: 1-line block ×4, first 2 shown]
                                        ; implicit-def: $sgpr57
	s_and_saveexec_b64 s[42:43], s[6:7]
	s_xor_b64 s[42:43], exec, s[42:43]
	s_cbranch_execz .LBB19_259
; %bb.258:                              ;   in Loop: Header=BB19_13 Depth=1
	ds_write_b16 v143, v122 offset:15360
	ds_write_b16 v145, v122 offset:15360
	;; [unrolled: 1-line block ×4, first 2 shown]
	s_mov_b32 s57, 0
.LBB19_259:                             ;   in Loop: Header=BB19_13 Depth=1
	s_or_saveexec_b64 s[42:43], s[42:43]
	v_mov_b32_e32 v14, s57
	v_mov_b32_e32 v15, s57
	;; [unrolled: 1-line block ×4, first 2 shown]
	s_xor_b64 exec, exec, s[42:43]
	s_cbranch_execz .LBB19_261
; %bb.260:                              ;   in Loop: Header=BB19_13 Depth=1
	v_add_co_u32_e32 v14, vcc, v110, v38
	v_addc_co_u32_e32 v15, vcc, 0, v111, vcc
	flat_load_ushort v16, v[14:15]
	v_add_co_u32_e32 v14, vcc, v108, v38
	v_addc_co_u32_e32 v15, vcc, 0, v109, vcc
	flat_load_ushort v17, v[14:15]
	;; [unrolled: 3-line block ×4, first 2 shown]
	s_waitcnt vmcnt(0) lgkmcnt(0)
	ds_write_b16 v143, v16 offset:15360
	ds_write_b16 v145, v17 offset:15360
	ds_write_b16 v147, v18 offset:15360
	ds_write_b16 v149, v14 offset:15360
	v_add_co_u32_e32 v14, vcc, v118, v38
	v_addc_co_u32_e32 v15, vcc, 0, v119, vcc
	v_add_co_u32_e32 v16, vcc, v116, v38
	v_addc_co_u32_e32 v17, vcc, 0, v117, vcc
	flat_load_ushort v14, v[14:15]
	s_nop 0
	flat_load_ushort v15, v[16:17]
	v_add_co_u32_e32 v16, vcc, v114, v38
	v_addc_co_u32_e32 v17, vcc, 0, v115, vcc
	v_add_co_u32_e32 v18, vcc, v112, v38
	v_addc_co_u32_e32 v19, vcc, 0, v113, vcc
	flat_load_ushort v16, v[16:17]
	s_nop 0
	flat_load_ushort v17, v[18:19]
.LBB19_261:                             ;   in Loop: Header=BB19_13 Depth=1
	s_or_b64 exec, exec, s[42:43]
	s_waitcnt vmcnt(0) lgkmcnt(0)
	ds_write_b16 v151, v14 offset:15360
	ds_write_b16 v153, v15 offset:15360
	;; [unrolled: 1-line block ×4, first 2 shown]
.LBB19_262:                             ;   Parent Loop BB19_13 Depth=1
                                        ; =>  This Inner Loop Header: Depth=2
	buffer_store_dword v122, off, s[0:3], 0
	buffer_store_dword v122, off, s[0:3], 0 offset:4
	buffer_store_dword v122, off, s[0:3], 0 offset:8
	;; [unrolled: 1-line block ×3, first 2 shown]
	s_and_saveexec_b64 s[42:43], s[64:65]
	s_cbranch_execz .LBB19_264
; %bb.263:                              ;   in Loop: Header=BB19_262 Depth=2
	v_mov_b32_e32 v15, s66
	v_add_co_u32_e32 v14, vcc, s47, v80
	v_addc_co_u32_e32 v15, vcc, v37, v15, vcc
	global_load_dwordx4 v[14:17], v[14:15], off
	s_waitcnt vmcnt(0)
	ds_write_b128 v159, v[14:17]
.LBB19_264:                             ;   in Loop: Header=BB19_262 Depth=2
	s_or_b64 exec, exec, s[42:43]
	v_add_co_u32_e32 v14, vcc, s47, v82
	v_mov_b32_e32 v18, s66
	v_addc_co_u32_e32 v15, vcc, v39, v18, vcc
	v_mov_b32_e32 v19, s69
	v_mov_b32_e32 v20, s68
	v_cndmask_b32_e64 v15, v19, v15, s[10:11]
	v_cndmask_b32_e64 v14, v20, v14, s[10:11]
	flat_load_dwordx4 v[14:17], v[14:15]
	v_add_u32_e32 v22, 0x800, v162
	v_add_u32_e32 v65, 0x1800, v162
	s_waitcnt vmcnt(0) lgkmcnt(0)
	ds_write_b128 v206, v[14:17]
	v_add_co_u32_e32 v14, vcc, s47, v84
	v_addc_co_u32_e32 v15, vcc, v41, v18, vcc
	v_cndmask_b32_e64 v15, v19, v15, s[12:13]
	v_cndmask_b32_e64 v14, v20, v14, s[12:13]
	flat_load_dwordx4 v[14:17], v[14:15]
	s_waitcnt vmcnt(0) lgkmcnt(0)
	ds_write_b128 v207, v[14:17]
	v_add_co_u32_e32 v14, vcc, s47, v86
	v_addc_co_u32_e32 v15, vcc, v43, v18, vcc
	v_cndmask_b32_e64 v15, v19, v15, s[14:15]
	v_cndmask_b32_e64 v14, v20, v14, s[14:15]
	flat_load_dwordx4 v[14:17], v[14:15]
	s_and_b64 vcc, exec, s[74:75]
	s_waitcnt vmcnt(0) lgkmcnt(0)
	ds_write_b128 v208, v[14:17]
	s_waitcnt lgkmcnt(0)
	s_barrier
	ds_read2_b64 v[14:17], v162 offset1:4
	s_waitcnt lgkmcnt(0)
	v_mfma_f32_16x16x16f16 v[18:21], v[14:15], v[10:11], 0
	v_mfma_f32_16x16x16f16 v[14:17], v[16:17], v[12:13], v[18:21]
	s_nop 7
	s_nop 1
	ds_read2_b64 v[18:21], v162 offset0:8 offset1:12
	s_waitcnt lgkmcnt(0)
	v_mfma_f32_16x16x16f16 v[14:17], v[18:19], v[6:7], v[14:17]
	v_mfma_f32_16x16x16f16 v[14:17], v[20:21], v[8:9], v[14:17]
	ds_read2_b64 v[18:21], v162 offset0:16 offset1:20
	s_waitcnt lgkmcnt(0)
	v_mfma_f32_16x16x16f16 v[14:17], v[18:19], v[2:3], v[14:17]
	ds_read_b64 v[18:19], v162 offset:192
	v_mfma_f32_16x16x16f16 v[14:17], v[20:21], v[4:5], v[14:17]
	s_waitcnt lgkmcnt(0)
	v_mfma_f32_16x16x16f16 v[26:29], v[18:19], v[68:69], v[14:17]
	s_nop 7
	s_nop 0
	ds_read2_b64 v[14:17], v22 offset0:224 offset1:228
	s_waitcnt lgkmcnt(0)
	v_mfma_f32_16x16x16f16 v[18:21], v[14:15], v[10:11], 0
	v_mfma_f32_16x16x16f16 v[14:17], v[16:17], v[12:13], v[18:21]
	s_nop 7
	s_nop 1
	ds_read2_b64 v[18:21], v22 offset0:232 offset1:236
	s_waitcnt lgkmcnt(0)
	v_mfma_f32_16x16x16f16 v[14:17], v[18:19], v[6:7], v[14:17]
	v_mfma_f32_16x16x16f16 v[14:17], v[20:21], v[8:9], v[14:17]
	ds_read2_b64 v[18:21], v22 offset0:240 offset1:244
	s_waitcnt lgkmcnt(0)
	v_mfma_f32_16x16x16f16 v[14:17], v[18:19], v[2:3], v[14:17]
	ds_read_b64 v[18:19], v162 offset:4032
	v_mfma_f32_16x16x16f16 v[14:17], v[20:21], v[4:5], v[14:17]
	s_waitcnt lgkmcnt(0)
	v_mfma_f32_16x16x16f16 v[18:21], v[18:19], v[68:69], v[14:17]
	s_nop 7
	s_nop 0
	ds_read2_b64 v[14:17], v65 offset0:192 offset1:196
	s_waitcnt lgkmcnt(0)
	v_mfma_f32_16x16x16f16 v[22:25], v[14:15], v[10:11], 0
	v_mfma_f32_16x16x16f16 v[14:17], v[16:17], v[12:13], v[22:25]
	s_nop 7
	s_nop 1
	ds_read2_b64 v[22:25], v65 offset0:200 offset1:204
	s_waitcnt lgkmcnt(0)
	v_mfma_f32_16x16x16f16 v[14:17], v[22:23], v[6:7], v[14:17]
	v_mfma_f32_16x16x16f16 v[14:17], v[24:25], v[8:9], v[14:17]
	ds_read2_b64 v[22:25], v65 offset0:208 offset1:212
	v_add_u32_e32 v65, 0x2800, v162
	s_waitcnt lgkmcnt(0)
	v_mfma_f32_16x16x16f16 v[14:17], v[22:23], v[2:3], v[14:17]
	ds_read_b64 v[22:23], v162 offset:7872
	v_mfma_f32_16x16x16f16 v[14:17], v[24:25], v[4:5], v[14:17]
	s_waitcnt lgkmcnt(0)
	v_mfma_f32_16x16x16f16 v[14:17], v[22:23], v[68:69], v[14:17]
	ds_read2_b64 v[22:25], v65 offset0:160 offset1:164
	s_waitcnt lgkmcnt(0)
	v_mfma_f32_16x16x16f16 v[210:213], v[22:23], v[10:11], 0
	v_mfma_f32_16x16x16f16 v[22:25], v[24:25], v[12:13], v[210:213]
	s_nop 7
	s_nop 1
	ds_read2_b64 v[210:213], v65 offset0:168 offset1:172
	s_waitcnt lgkmcnt(0)
	v_mfma_f32_16x16x16f16 v[22:25], v[210:211], v[6:7], v[22:25]
	v_mfma_f32_16x16x16f16 v[22:25], v[212:213], v[8:9], v[22:25]
	ds_read2_b64 v[210:213], v65 offset0:176 offset1:180
	s_waitcnt lgkmcnt(0)
	v_mfma_f32_16x16x16f16 v[22:25], v[210:211], v[2:3], v[22:25]
	ds_read_b64 v[210:211], v162 offset:11712
	s_waitcnt lgkmcnt(0)
	s_barrier
	v_mfma_f32_16x16x16f16 v[22:25], v[212:213], v[4:5], v[22:25]
	v_mfma_f32_16x16x16f16 v[22:25], v[210:211], v[68:69], v[22:25]
	s_cbranch_vccnz .LBB19_266
; %bb.265:                              ;   in Loop: Header=BB19_262 Depth=2
	ds_read_b32 v65, v164 offset:15360
	v_add_u32_e32 v130, 0x3c00, v167
	s_waitcnt lgkmcnt(0)
	v_cvt_f32_f16_sdwa v211, v65 dst_sel:DWORD dst_unused:UNUSED_PAD src0_sel:WORD_1
	v_cvt_f32_f16_e32 v210, v65
	ds_read_b32 v65, v165 offset:15360
	v_pk_fma_f32 v[26:27], v[70:71], v[210:211], v[26:27]
	ds_read2_b32 v[210:211], v130 offset1:1
	s_waitcnt lgkmcnt(1)
	v_cvt_f32_f16_sdwa v213, v65 dst_sel:DWORD dst_unused:UNUSED_PAD src0_sel:WORD_1
	v_cvt_f32_f16_e32 v212, v65
	v_mov_b32_e32 v65, v64
	v_add_u32_e32 v130, 0x3c00, v170
	v_pk_fma_f32 v[28:29], v[64:65], v[212:213], v[28:29]
	s_waitcnt lgkmcnt(0)
	v_cvt_f32_f16_e32 v212, v210
	v_cvt_f32_f16_sdwa v213, v210 dst_sel:DWORD dst_unused:UNUSED_PAD src0_sel:WORD_1
	v_cvt_f32_f16_e32 v210, v211
	v_cvt_f32_f16_sdwa v211, v211 dst_sel:DWORD dst_unused:UNUSED_PAD src0_sel:WORD_1
	v_pk_fma_f32 v[18:19], v[70:71], v[212:213], v[18:19]
	v_pk_fma_f32 v[20:21], v[64:65], v[210:211], v[20:21]
	ds_read2_b32 v[210:211], v130 offset1:1
	v_add_u32_e32 v130, 0x3c00, v173
	s_waitcnt lgkmcnt(0)
	v_cvt_f32_f16_e32 v212, v210
	v_cvt_f32_f16_sdwa v213, v210 dst_sel:DWORD dst_unused:UNUSED_PAD src0_sel:WORD_1
	v_cvt_f32_f16_e32 v210, v211
	v_cvt_f32_f16_sdwa v211, v211 dst_sel:DWORD dst_unused:UNUSED_PAD src0_sel:WORD_1
	v_pk_fma_f32 v[14:15], v[70:71], v[212:213], v[14:15]
	v_pk_fma_f32 v[16:17], v[64:65], v[210:211], v[16:17]
	ds_read2_b32 v[210:211], v130 offset1:1
	s_waitcnt lgkmcnt(0)
	v_cvt_f32_f16_e32 v212, v210
	v_cvt_f32_f16_sdwa v213, v210 dst_sel:DWORD dst_unused:UNUSED_PAD src0_sel:WORD_1
	v_cvt_f32_f16_e32 v210, v211
	v_cvt_f32_f16_sdwa v211, v211 dst_sel:DWORD dst_unused:UNUSED_PAD src0_sel:WORD_1
	v_pk_fma_f32 v[22:23], v[70:71], v[212:213], v[22:23]
	v_pk_fma_f32 v[24:25], v[64:65], v[210:211], v[24:25]
.LBB19_266:                             ;   in Loop: Header=BB19_262 Depth=2
	v_add_f32_e32 v65, 0x40051340, v26
	v_max_f32_e32 v130, v128, v128
	v_max_f32_e32 v65, v130, v65
	v_cndmask_b32_e64 v65, v128, v65, s[16:17]
	v_add_f32_e32 v130, 0x40051340, v27
	v_max_f32_e32 v65, v65, v65
	v_max_f32_e32 v65, v65, v130
	v_cndmask_b32_e64 v65, v128, v65, s[16:17]
	;; [unrolled: 4-line block ×16, first 2 shown]
	ds_bpermute_b32 v130, v249, v65
	v_max_f32_e32 v65, v65, v65
	buffer_store_dword v122, off, s[0:3], 0
	buffer_store_dword v122, off, s[0:3], 0 offset:4
	buffer_store_dword v122, off, s[0:3], 0 offset:8
	;; [unrolled: 1-line block ×3, first 2 shown]
	s_waitcnt lgkmcnt(0)
	v_max_f32_e32 v130, v130, v130
	v_max_f32_e32 v65, v65, v130
	ds_bpermute_b32 v130, v250, v65
	s_and_saveexec_b64 s[42:43], s[64:65]
	s_cbranch_execz .LBB19_268
; %bb.267:                              ;   in Loop: Header=BB19_262 Depth=2
	v_mov_b32_e32 v211, s46
	v_add_co_u32_e32 v210, vcc, s70, v72
	v_addc_co_u32_e32 v211, vcc, v1, v211, vcc
	global_load_dwordx4 v[210:213], v[210:211], off
	s_waitcnt vmcnt(0)
	ds_write_b128 v159, v[210:213]
.LBB19_268:                             ;   in Loop: Header=BB19_262 Depth=2
	s_or_b64 exec, exec, s[42:43]
	s_waitcnt lgkmcnt(0)
	v_max_f32_e32 v130, v130, v130
	v_max_f32_e32 v65, v65, v65
	;; [unrolled: 1-line block ×3, first 2 shown]
	v_sub_f32_e32 v26, v26, v65
	v_mul_f32_e32 v130, 0x3fb8aa3b, v26
	v_fma_f32 v210, v26, s48, -v130
	v_rndne_f32_e32 v211, v130
	v_fmac_f32_e32 v210, 0x32a5705f, v26
	v_sub_f32_e32 v130, v130, v211
	v_add_f32_e32 v130, v130, v210
	v_exp_f32_e32 v130, v130
	v_cvt_i32_f32_e32 v210, v211
	v_sub_f32_e32 v27, v27, v65
	v_cmp_ngt_f32_e32 vcc, s50, v26
	v_cndmask_b32_e64 v28, v28, v28, s[16:17]
	v_ldexp_f32 v130, v130, v210
	v_mul_f32_e32 v210, 0x3fb8aa3b, v27
	v_fma_f32 v211, v27, s48, -v210
	v_rndne_f32_e32 v212, v210
	v_fmac_f32_e32 v211, 0x32a5705f, v27
	v_sub_f32_e32 v210, v210, v212
	v_add_f32_e32 v210, v210, v211
	v_exp_f32_e32 v210, v210
	v_cvt_i32_f32_e32 v211, v212
	v_cndmask_b32_e32 v130, 0, v130, vcc
	v_cmp_nlt_f32_e32 vcc, s49, v26
	v_cndmask_b32_e32 v130, v45, v130, vcc
	v_ldexp_f32 v210, v210, v211
	v_cmp_ngt_f32_e32 vcc, s50, v27
	v_cndmask_b32_e32 v210, 0, v210, vcc
	v_cmp_nlt_f32_e32 vcc, s49, v27
	v_cndmask_b32_e32 v210, v45, v210, vcc
	v_mov_b32_e32 v27, s71
	v_cndmask_b32_e64 v26, 0, v130, s[16:17]
	v_add_f32_e32 v130, v130, v210
	v_cndmask_b32_e64 v210, v27, v210, s[16:17]
	v_sub_f32_e32 v27, v28, v65
	v_mul_f32_e32 v28, 0x3fb8aa3b, v27
	v_fma_f32 v211, v27, s48, -v28
	v_rndne_f32_e32 v212, v28
	v_fmac_f32_e32 v211, 0x32a5705f, v27
	v_sub_f32_e32 v28, v28, v212
	v_add_f32_e32 v28, v28, v211
	v_exp_f32_e32 v28, v28
	v_cvt_i32_f32_e32 v211, v212
	v_cmp_ngt_f32_e32 vcc, s50, v27
	v_cndmask_b32_e64 v29, v29, v29, s[16:17]
	v_sub_f32_e32 v18, v18, v65
	v_ldexp_f32 v28, v28, v211
	v_cndmask_b32_e32 v28, 0, v28, vcc
	v_cmp_nlt_f32_e32 vcc, s49, v27
	v_cndmask_b32_e32 v27, v45, v28, vcc
	v_mov_b32_e32 v28, s71
	v_add_f32_e32 v130, v130, v27
	v_cndmask_b32_e64 v211, v28, v27, s[16:17]
	v_sub_f32_e32 v27, v29, v65
	v_mul_f32_e32 v28, 0x3fb8aa3b, v27
	v_fma_f32 v29, v27, s48, -v28
	v_rndne_f32_e32 v212, v28
	v_fmac_f32_e32 v29, 0x32a5705f, v27
	v_sub_f32_e32 v28, v28, v212
	v_add_f32_e32 v28, v28, v29
	v_exp_f32_e32 v28, v28
	v_cvt_i32_f32_e32 v29, v212
	v_cmp_ngt_f32_e32 vcc, s50, v27
	v_cndmask_b32_e64 v19, v19, v19, s[18:19]
	v_sub_f32_e32 v19, v19, v65
	v_ldexp_f32 v28, v28, v29
	v_cndmask_b32_e32 v28, 0, v28, vcc
	v_cmp_nlt_f32_e32 vcc, s49, v27
	v_cndmask_b32_e32 v212, v45, v28, vcc
	v_mul_f32_e32 v28, 0x3fb8aa3b, v18
	v_add_f32_e32 v27, v130, v212
	v_fma_f32 v29, v18, s48, -v28
	v_rndne_f32_e32 v130, v28
	v_fmac_f32_e32 v29, 0x32a5705f, v18
	v_sub_f32_e32 v28, v28, v130
	v_add_f32_e32 v28, v28, v29
	v_exp_f32_e32 v28, v28
	v_cvt_i32_f32_e32 v29, v130
	v_cmp_ngt_f32_e32 vcc, s50, v18
	v_cndmask_b32_e64 v27, 0, v27, s[16:17]
	v_cndmask_b32_e64 v20, v20, v20, s[18:19]
	v_ldexp_f32 v28, v28, v29
	v_cndmask_b32_e32 v28, 0, v28, vcc
	v_cmp_nlt_f32_e32 vcc, s49, v18
	v_cndmask_b32_e32 v28, v45, v28, vcc
	v_add_f32_e32 v29, v28, v27
	v_mov_b32_e32 v18, s71
	v_cndmask_b32_e64 v130, v18, v28, s[18:19]
	v_cndmask_b32_e64 v18, v27, v29, s[18:19]
	v_mul_f32_e32 v27, 0x3fb8aa3b, v19
	v_fma_f32 v28, v19, s48, -v27
	v_rndne_f32_e32 v29, v27
	v_fmac_f32_e32 v28, 0x32a5705f, v19
	v_sub_f32_e32 v27, v27, v29
	v_add_f32_e32 v27, v27, v28
	v_exp_f32_e32 v27, v27
	v_cvt_i32_f32_e32 v28, v29
	v_cmp_ngt_f32_e32 vcc, s50, v19
	v_cndmask_b32_e64 v21, v21, v21, s[18:19]
	v_sub_f32_e32 v21, v21, v65
	v_ldexp_f32 v27, v27, v28
	v_cndmask_b32_e32 v27, 0, v27, vcc
	v_cmp_nlt_f32_e32 vcc, s49, v19
	v_cndmask_b32_e32 v27, v45, v27, vcc
	v_add_f32_e32 v28, v27, v18
	v_mov_b32_e32 v19, s71
	v_cndmask_b32_e64 v19, v19, v27, s[20:21]
	v_cndmask_b32_e64 v27, v18, v28, s[20:21]
	v_sub_f32_e32 v18, v20, v65
	v_mul_f32_e32 v20, 0x3fb8aa3b, v18
	v_fma_f32 v28, v18, s48, -v20
	v_rndne_f32_e32 v29, v20
	v_fmac_f32_e32 v28, 0x32a5705f, v18
	v_sub_f32_e32 v20, v20, v29
	v_add_f32_e32 v20, v20, v28
	v_exp_f32_e32 v20, v20
	v_cvt_i32_f32_e32 v28, v29
	v_cmp_ngt_f32_e32 vcc, s50, v18
	v_sub_f32_e32 v14, v14, v65
	v_cndmask_b32_e64 v15, v15, v15, s[26:27]
	v_ldexp_f32 v20, v20, v28
	v_cndmask_b32_e32 v20, 0, v20, vcc
	v_cmp_nlt_f32_e32 vcc, s49, v18
	v_cndmask_b32_e32 v20, v45, v20, vcc
	v_add_f32_e32 v28, v20, v27
	v_mov_b32_e32 v18, s71
	v_cndmask_b32_e64 v20, v18, v20, s[22:23]
	v_cndmask_b32_e64 v18, v27, v28, s[22:23]
	v_mul_f32_e32 v27, 0x3fb8aa3b, v21
	v_fma_f32 v28, v21, s48, -v27
	v_rndne_f32_e32 v29, v27
	v_fmac_f32_e32 v28, 0x32a5705f, v21
	v_sub_f32_e32 v27, v27, v29
	v_add_f32_e32 v27, v27, v28
	v_exp_f32_e32 v27, v27
	v_cvt_i32_f32_e32 v28, v29
	v_cmp_ngt_f32_e32 vcc, s50, v21
	v_sub_f32_e32 v15, v15, v65
	v_cndmask_b32_e64 v16, v16, v16, s[26:27]
	v_ldexp_f32 v27, v27, v28
	v_cndmask_b32_e32 v27, 0, v27, vcc
	v_cmp_nlt_f32_e32 vcc, s49, v21
	v_cndmask_b32_e32 v21, v45, v27, vcc
	v_add_f32_e32 v27, v21, v18
	v_cndmask_b32_e64 v18, v18, v27, s[24:25]
	v_mul_f32_e32 v27, 0x3fb8aa3b, v14
	v_fma_f32 v28, v14, s48, -v27
	v_rndne_f32_e32 v29, v27
	v_fmac_f32_e32 v28, 0x32a5705f, v14
	v_sub_f32_e32 v27, v27, v29
	v_add_f32_e32 v27, v27, v28
	v_exp_f32_e32 v27, v27
	v_cvt_i32_f32_e32 v28, v29
	v_cmp_ngt_f32_e32 vcc, s50, v14
	v_cndmask_b32_e64 v17, v17, v17, s[26:27]
	v_cndmask_b32_e64 v23, v23, v23, s[4:5]
	v_ldexp_f32 v27, v27, v28
	v_cndmask_b32_e32 v27, 0, v27, vcc
	v_cmp_nlt_f32_e32 vcc, s49, v14
	v_cndmask_b32_e32 v27, v45, v27, vcc
	v_add_f32_e32 v28, v27, v18
	v_mov_b32_e32 v14, s71
	v_cndmask_b32_e64 v213, v14, v27, s[26:27]
	v_cndmask_b32_e64 v14, v18, v28, s[26:27]
	v_mul_f32_e32 v18, 0x3fb8aa3b, v15
	v_fma_f32 v27, v15, s48, -v18
	v_rndne_f32_e32 v28, v18
	v_fmac_f32_e32 v27, 0x32a5705f, v15
	v_sub_f32_e32 v18, v18, v28
	v_add_f32_e32 v18, v18, v27
	v_exp_f32_e32 v18, v18
	v_cvt_i32_f32_e32 v27, v28
	v_cmp_ngt_f32_e32 vcc, s50, v15
	v_cndmask_b32_e64 v24, v24, v24, s[4:5]
	v_cndmask_b32_e64 v25, v25, v25, s[4:5]
	v_ldexp_f32 v18, v18, v27
	v_cndmask_b32_e32 v18, 0, v18, vcc
	v_cmp_nlt_f32_e32 vcc, s49, v15
	v_cndmask_b32_e32 v18, v45, v18, vcc
	v_add_f32_e32 v27, v18, v14
	v_mov_b32_e32 v15, s71
	v_cndmask_b32_e64 v18, v15, v18, s[28:29]
	v_cndmask_b32_e64 v15, v14, v27, s[28:29]
	v_sub_f32_e32 v14, v16, v65
	v_mul_f32_e32 v16, 0x3fb8aa3b, v14
	v_fma_f32 v27, v14, s48, -v16
	v_rndne_f32_e32 v28, v16
	v_fmac_f32_e32 v27, 0x32a5705f, v14
	v_sub_f32_e32 v16, v16, v28
	v_add_f32_e32 v16, v16, v27
	v_exp_f32_e32 v16, v16
	v_cvt_i32_f32_e32 v27, v28
	v_cmp_ngt_f32_e32 vcc, s50, v14
	v_cvt_f16_f32_e32 v19, v19
	s_add_i32 s56, s56, -1
	v_ldexp_f32 v16, v16, v27
	v_cndmask_b32_e32 v16, 0, v16, vcc
	v_cmp_nlt_f32_e32 vcc, s49, v14
	v_cndmask_b32_e32 v16, v45, v16, vcc
	v_add_f32_e32 v27, v16, v15
	v_mov_b32_e32 v14, s71
	v_cndmask_b32_e64 v140, v14, v16, s[30:31]
	v_cndmask_b32_e64 v14, v15, v27, s[30:31]
	v_sub_f32_e32 v15, v17, v65
	v_mul_f32_e32 v16, 0x3fb8aa3b, v15
	v_fma_f32 v17, v15, s48, -v16
	v_rndne_f32_e32 v27, v16
	v_fmac_f32_e32 v17, 0x32a5705f, v15
	v_sub_f32_e32 v16, v16, v27
	v_add_f32_e32 v16, v16, v17
	v_exp_f32_e32 v16, v16
	v_cvt_i32_f32_e32 v17, v27
	v_cmp_ngt_f32_e32 vcc, s50, v15
	s_cmp_lg_u32 s56, 0
	v_ldexp_f32 v16, v16, v17
	v_cndmask_b32_e32 v16, 0, v16, vcc
	v_cmp_nlt_f32_e32 vcc, s49, v15
	v_cndmask_b32_e32 v16, v45, v16, vcc
	v_add_f32_e32 v15, v16, v14
	v_cndmask_b32_e64 v15, v14, v15, s[34:35]
	v_sub_f32_e32 v14, v22, v65
	v_mul_f32_e32 v17, 0x3fb8aa3b, v14
	v_fma_f32 v22, v14, s48, -v17
	v_rndne_f32_e32 v27, v17
	v_fmac_f32_e32 v22, 0x32a5705f, v14
	v_sub_f32_e32 v17, v17, v27
	v_add_f32_e32 v17, v17, v22
	v_exp_f32_e32 v17, v17
	v_cvt_i32_f32_e32 v22, v27
	v_cmp_ngt_f32_e32 vcc, s50, v14
	v_ldexp_f32 v17, v17, v22
	v_cndmask_b32_e32 v17, 0, v17, vcc
	v_cmp_nlt_f32_e32 vcc, s49, v14
	v_cndmask_b32_e32 v17, v45, v17, vcc
	v_add_f32_e32 v22, v17, v15
	v_mov_b32_e32 v14, s71
	v_cndmask_b32_e64 v17, v14, v17, s[4:5]
	v_cndmask_b32_e64 v14, v15, v22, s[4:5]
	v_sub_f32_e32 v15, v23, v65
	v_mul_f32_e32 v22, 0x3fb8aa3b, v15
	v_fma_f32 v23, v15, s48, -v22
	v_rndne_f32_e32 v27, v22
	v_fmac_f32_e32 v23, 0x32a5705f, v15
	v_sub_f32_e32 v22, v22, v27
	v_add_f32_e32 v22, v22, v23
	v_exp_f32_e32 v22, v22
	v_cvt_i32_f32_e32 v23, v27
	v_cmp_ngt_f32_e32 vcc, s50, v15
	v_ldexp_f32 v22, v22, v23
	v_cndmask_b32_e32 v22, 0, v22, vcc
	v_cmp_nlt_f32_e32 vcc, s49, v15
	v_cndmask_b32_e32 v22, v45, v22, vcc
	v_add_f32_e32 v23, v22, v14
	v_mov_b32_e32 v15, s71
	v_cndmask_b32_e64 v142, v15, v22, s[36:37]
	;; [unrolled: 18-line block ×3, first 2 shown]
	v_cndmask_b32_e64 v14, v15, v23, s[38:39]
	v_sub_f32_e32 v15, v25, v65
	v_mul_f32_e32 v22, 0x3fb8aa3b, v15
	v_fma_f32 v23, v15, s48, -v22
	v_rndne_f32_e32 v24, v22
	v_fmac_f32_e32 v23, 0x32a5705f, v15
	v_sub_f32_e32 v22, v22, v24
	v_add_f32_e32 v22, v22, v23
	v_exp_f32_e32 v22, v22
	v_cvt_i32_f32_e32 v23, v24
	v_cmp_ngt_f32_e32 vcc, s50, v15
	v_ldexp_f32 v22, v22, v23
	v_cndmask_b32_e32 v22, 0, v22, vcc
	v_cmp_nlt_f32_e32 vcc, s49, v15
	v_cndmask_b32_e32 v146, v45, v22, vcc
	v_add_f32_e32 v15, v146, v14
	v_cndmask_b32_e64 v22, v14, v15, s[40:41]
	v_sub_f32_e32 v14, v128, v65
	v_mul_f32_e32 v15, 0x3fb8aa3b, v14
	v_fma_f32 v23, v14, s48, -v15
	v_rndne_f32_e32 v24, v15
	v_fmac_f32_e32 v23, 0x32a5705f, v14
	v_sub_f32_e32 v15, v15, v24
	v_add_f32_e32 v15, v15, v23
	v_exp_f32_e32 v15, v15
	v_cvt_i32_f32_e32 v23, v24
	v_cmp_ngt_f32_e32 vcc, s50, v14
	v_ldexp_f32 v15, v15, v23
	v_cndmask_b32_e32 v15, 0, v15, vcc
	v_cmp_nlt_f32_e32 vcc, s49, v14
	v_cndmask_b32_e32 v15, v45, v15, vcc
	v_cmp_le_f32_e32 vcc, s88, v14
	v_cndmask_b32_e32 v14, 0, v15, vcc
	v_fmac_f32_e32 v22, v47, v14
	v_cvt_f16_f32_e32 v14, v14
	v_mov_b32_e32 v15, s71
	v_cndmask_b32_e64 v21, v15, v21, s[24:25]
	v_cndmask_b32_e64 v212, v15, v212, s[16:17]
	v_pk_mul_f16 v252, v14, v252 op_sel_hi:[0,1]
	v_pk_mul_f16 v251, v14, v251 op_sel_hi:[0,1]
	;; [unrolled: 1-line block ×14, first 2 shown]
	v_cndmask_b32_e64 v46, v15, v146, s[40:41]
	v_cndmask_b32_e64 v146, v15, v16, s[34:35]
	v_cvt_f16_f32_e32 v14, v17
	v_cvt_f16_f32_e32 v15, v142
	;; [unrolled: 1-line block ×5, first 2 shown]
	v_pack_b32_f16 v14, v14, v15
	v_cvt_f16_f32_e32 v15, v144
	v_mov_b32_e32 v46, s46
	v_pack_b32_f16 v15, v15, v16
	v_cvt_f16_f32_e32 v16, v213
	v_pack_b32_f16 v16, v16, v17
	v_cvt_f16_f32_e32 v17, v140
	v_mov_b32_e32 v140, s69
	v_pack_b32_f16 v17, v17, v18
	v_cvt_f16_f32_e32 v18, v130
	v_pack_b32_f16 v18, v18, v19
	v_cvt_f16_f32_e32 v19, v20
	v_cvt_f16_f32_e32 v20, v21
	;; [unrolled: 1-line block ×3, first 2 shown]
	v_pack_b32_f16 v19, v19, v20
	v_cvt_f16_f32_e32 v20, v26
	v_cvt_f16_f32_e32 v26, v212
	v_pack_b32_f16 v20, v20, v21
	v_cvt_f16_f32_e32 v21, v211
	v_pack_b32_f16 v21, v21, v26
	v_add_co_u32_e32 v26, vcc, s70, v74
	v_addc_co_u32_e32 v130, vcc, v31, v46, vcc
	v_cndmask_b32_e64 v211, v140, v130, s[10:11]
	v_mov_b32_e32 v130, s68
	v_cndmask_b32_e64 v210, v130, v26, s[10:11]
	flat_load_dwordx4 v[210:213], v[210:211]
	v_add_co_u32_e32 v26, vcc, s70, v76
	v_addc_co_u32_e32 v142, vcc, v33, v46, vcc
	s_waitcnt vmcnt(0) lgkmcnt(0)
	ds_write_b128 v206, v[210:213]
	v_cndmask_b32_e64 v211, v140, v142, s[12:13]
	v_cndmask_b32_e64 v210, v130, v26, s[12:13]
	flat_load_dwordx4 v[210:213], v[210:211]
	v_add_co_u32_e32 v26, vcc, s70, v78
	v_addc_co_u32_e32 v46, vcc, v35, v46, vcc
	v_add_co_u32_e32 v72, vcc, s8, v72
	s_waitcnt vmcnt(0) lgkmcnt(0)
	ds_write_b128 v207, v[210:213]
	v_cndmask_b32_e64 v211, v140, v46, s[14:15]
	v_cndmask_b32_e64 v210, v130, v26, s[14:15]
	flat_load_dwordx4 v[210:213], v[210:211]
	s_waitcnt vmcnt(0) lgkmcnt(0)
	ds_write_b128 v208, v[210:213]
	s_waitcnt lgkmcnt(0)
	s_barrier
	ds_read_u16 v26, v177 offset:480
	ds_read_u16 v46, v178
	ds_read_u16 v130, v178 offset:32
	v_cvt_f32_f16_e32 v210, v252
	v_cvt_f32_f16_sdwa v211, v252 dst_sel:DWORD dst_unused:UNUSED_PAD src0_sel:WORD_1
	v_cvt_f32_f16_e32 v212, v251
	s_waitcnt lgkmcnt(1)
	v_perm_b32 v243, v46, v26, s51
	ds_read_u16 v26, v176
	ds_read_u16 v46, v176 offset:32
	ds_read_u16 v140, v177 offset:240
	;; [unrolled: 1-line block ×3, first 2 shown]
	v_cvt_f32_f16_sdwa v213, v251 dst_sel:DWORD dst_unused:UNUSED_PAD src0_sel:WORD_1
	ds_read_u16 v231, v176 offset:3840
	ds_read_u16 v232, v177 offset:4080
	ds_read_u16 v236, v179 offset:480
	ds_read_u16 v240, v178 offset:3840
	s_waitcnt lgkmcnt(5)
	v_perm_b32 v242, v140, v26, s51
	s_nop 1
	v_mfma_f32_16x16x16f16 v[210:213], v[242:243], v[20:21], v[210:213]
	s_waitcnt lgkmcnt(0)
	v_perm_b32 v243, v240, v236, s51
	v_perm_b32 v242, v232, v231, s51
	ds_read_u16 v231, v176 offset:7680
	ds_read_u16 v232, v177 offset:7920
	;; [unrolled: 1-line block ×4, first 2 shown]
	s_nop 3
	v_cvt_f16_f32_e32 v26, v210
	v_cvt_f16_f32_e32 v140, v211
	;; [unrolled: 1-line block ×4, first 2 shown]
	v_cvt_f32_f16_e32 v210, v26
	v_cvt_f32_f16_e32 v211, v140
	;; [unrolled: 1-line block ×4, first 2 shown]
	s_nop 1
	v_mfma_f32_16x16x16f16 v[210:213], v[242:243], v[18:19], v[210:213]
	s_waitcnt lgkmcnt(0)
	v_perm_b32 v243, v240, v236, s51
	v_perm_b32 v242, v232, v231, s51
	ds_read_u16 v231, v176 offset:11520
	ds_read_u16 v232, v177 offset:11760
	ds_read_u16 v236, v181 offset:480
	ds_read_u16 v240, v178 offset:11520
	s_nop 3
	v_cvt_f16_f32_e32 v26, v210
	v_cvt_f16_f32_e32 v140, v211
	;; [unrolled: 1-line block ×4, first 2 shown]
	v_cvt_f32_f16_e32 v210, v26
	v_cvt_f32_f16_e32 v211, v140
	v_cvt_f32_f16_e32 v212, v144
	v_cvt_f32_f16_e32 v213, v146
	s_nop 1
	v_mfma_f32_16x16x16f16 v[210:213], v[242:243], v[16:17], v[210:213]
	s_waitcnt lgkmcnt(0)
	v_perm_b32 v243, v240, v236, s51
	v_perm_b32 v242, v232, v231, s51
	;; [unrolled: 1-line block ×3, first 2 shown]
	s_nop 6
	v_cvt_f16_f32_e32 v26, v210
	v_cvt_f16_f32_e32 v140, v211
	;; [unrolled: 1-line block ×4, first 2 shown]
	v_cvt_f32_f16_e32 v210, v26
	v_cvt_f32_f16_e32 v211, v140
	;; [unrolled: 1-line block ×4, first 2 shown]
	s_nop 1
	v_mfma_f32_16x16x16f16 v[210:213], v[242:243], v[14:15], v[210:213]
	s_nop 7
	s_nop 2
	v_cvt_f16_f32_e32 v26, v210
	v_cvt_f16_f32_e32 v140, v211
	;; [unrolled: 1-line block ×4, first 2 shown]
	v_cvt_f32_f16_e32 v212, v233
	v_pack_b32_f16 v252, v26, v140
	ds_read_u16 v26, v182 offset:480
	v_cvt_f32_f16_sdwa v213, v233 dst_sel:DWORD dst_unused:UNUSED_PAD src0_sel:WORD_1
	v_cvt_f32_f16_e32 v210, v128
	v_cvt_f32_f16_sdwa v211, v128 dst_sel:DWORD dst_unused:UNUSED_PAD src0_sel:WORD_1
	v_pack_b32_f16 v251, v144, v146
	s_waitcnt lgkmcnt(0)
	v_perm_b32 v233, v130, v26, s51
	ds_read_u16 v140, v176 offset:3872
	ds_read_u16 v142, v177 offset:4112
	ds_read_u16 v144, v183 offset:480
	ds_read_u16 v146, v178 offset:3872
	v_mfma_f32_16x16x16f16 v[210:213], v[232:233], v[20:21], v[210:213]
	s_waitcnt lgkmcnt(0)
	v_perm_b32 v233, v146, v144, s51
	v_perm_b32 v232, v142, v140, s51
	ds_read_u16 v140, v176 offset:7712
	ds_read_u16 v142, v177 offset:7952
	;; [unrolled: 1-line block ×4, first 2 shown]
	s_nop 3
	v_cvt_f16_f32_e32 v26, v210
	v_cvt_f16_f32_e32 v46, v211
	;; [unrolled: 1-line block ×4, first 2 shown]
	v_cvt_f32_f16_e32 v210, v26
	v_cvt_f32_f16_e32 v211, v46
	;; [unrolled: 1-line block ×4, first 2 shown]
	s_nop 1
	v_mfma_f32_16x16x16f16 v[210:213], v[232:233], v[18:19], v[210:213]
	s_waitcnt lgkmcnt(0)
	v_perm_b32 v233, v146, v144, s51
	v_perm_b32 v232, v142, v140, s51
	ds_read_u16 v140, v176 offset:11552
	ds_read_u16 v142, v177 offset:11792
	;; [unrolled: 1-line block ×4, first 2 shown]
	s_nop 3
	v_cvt_f16_f32_e32 v26, v210
	v_cvt_f16_f32_e32 v46, v211
	v_cvt_f16_f32_e32 v128, v212
	v_cvt_f16_f32_e32 v130, v213
	v_cvt_f32_f16_e32 v210, v26
	v_cvt_f32_f16_e32 v211, v46
	v_cvt_f32_f16_e32 v212, v128
	v_cvt_f32_f16_e32 v213, v130
	s_nop 1
	v_mfma_f32_16x16x16f16 v[210:213], v[232:233], v[16:17], v[210:213]
	s_waitcnt lgkmcnt(0)
	v_perm_b32 v233, v146, v144, s51
	v_perm_b32 v232, v142, v140, s51
	s_nop 7
	v_cvt_f16_f32_e32 v26, v210
	v_cvt_f16_f32_e32 v46, v211
	;; [unrolled: 1-line block ×4, first 2 shown]
	v_cvt_f32_f16_e32 v210, v26
	v_cvt_f32_f16_e32 v211, v46
	;; [unrolled: 1-line block ×4, first 2 shown]
	s_nop 1
	v_mfma_f32_16x16x16f16 v[210:213], v[232:233], v[14:15], v[210:213]
	s_nop 7
	s_nop 2
	v_cvt_f16_f32_e32 v26, v210
	v_cvt_f16_f32_e32 v46, v211
	;; [unrolled: 1-line block ×4, first 2 shown]
	v_cvt_f32_f16_e32 v210, v244
	v_pack_b32_f16 v233, v26, v46
	v_cvt_f32_f16_sdwa v211, v244 dst_sel:DWORD dst_unused:UNUSED_PAD src0_sel:WORD_1
	v_pack_b32_f16 v240, v128, v130
	ds_read_u16 v26, v176 offset:64
	ds_read_u16 v46, v177 offset:304
	;; [unrolled: 1-line block ×4, first 2 shown]
	v_cvt_f32_f16_e32 v212, v239
	v_cvt_f32_f16_sdwa v213, v239 dst_sel:DWORD dst_unused:UNUSED_PAD src0_sel:WORD_1
	s_waitcnt lgkmcnt(2)
	v_perm_b32 v242, v46, v26, s51
	ds_read_u16 v140, v176 offset:3904
	ds_read_u16 v142, v177 offset:4144
	;; [unrolled: 1-line block ×4, first 2 shown]
	s_waitcnt lgkmcnt(4)
	v_perm_b32 v243, v130, v128, s51
	s_nop 1
	v_mfma_f32_16x16x16f16 v[210:213], v[242:243], v[20:21], v[210:213]
	s_waitcnt lgkmcnt(0)
	v_perm_b32 v243, v146, v144, s51
	v_perm_b32 v242, v142, v140, s51
	ds_read_u16 v140, v176 offset:7744
	ds_read_u16 v142, v177 offset:7984
	;; [unrolled: 1-line block ×4, first 2 shown]
	s_nop 3
	v_cvt_f16_f32_e32 v26, v210
	v_cvt_f16_f32_e32 v46, v211
	;; [unrolled: 1-line block ×4, first 2 shown]
	v_cvt_f32_f16_e32 v210, v26
	v_cvt_f32_f16_e32 v211, v46
	;; [unrolled: 1-line block ×4, first 2 shown]
	s_nop 1
	v_mfma_f32_16x16x16f16 v[210:213], v[242:243], v[18:19], v[210:213]
	s_waitcnt lgkmcnt(0)
	v_perm_b32 v243, v146, v144, s51
	v_perm_b32 v242, v142, v140, s51
	ds_read_u16 v140, v176 offset:11584
	ds_read_u16 v142, v177 offset:11824
	;; [unrolled: 1-line block ×4, first 2 shown]
	s_nop 3
	v_cvt_f16_f32_e32 v26, v210
	v_cvt_f16_f32_e32 v46, v211
	;; [unrolled: 1-line block ×4, first 2 shown]
	v_cvt_f32_f16_e32 v210, v26
	v_cvt_f32_f16_e32 v211, v46
	;; [unrolled: 1-line block ×4, first 2 shown]
	s_nop 1
	v_mfma_f32_16x16x16f16 v[210:213], v[242:243], v[16:17], v[210:213]
	s_waitcnt lgkmcnt(0)
	v_perm_b32 v243, v146, v144, s51
	v_perm_b32 v242, v142, v140, s51
	s_nop 7
	v_cvt_f16_f32_e32 v26, v210
	v_cvt_f16_f32_e32 v46, v211
	;; [unrolled: 1-line block ×4, first 2 shown]
	v_cvt_f32_f16_e32 v210, v26
	v_cvt_f32_f16_e32 v211, v46
	;; [unrolled: 1-line block ×4, first 2 shown]
	s_nop 1
	v_mfma_f32_16x16x16f16 v[210:213], v[242:243], v[14:15], v[210:213]
	s_nop 7
	s_nop 2
	v_cvt_f16_f32_e32 v26, v210
	v_cvt_f16_f32_e32 v46, v211
	;; [unrolled: 1-line block ×4, first 2 shown]
	v_cvt_f32_f16_e32 v212, v47
	v_pack_b32_f16 v244, v26, v46
	v_cvt_f32_f16_sdwa v213, v47 dst_sel:DWORD dst_unused:UNUSED_PAD src0_sel:WORD_1
	v_pack_b32_f16 v239, v128, v130
	ds_read_u16 v26, v176 offset:96
	ds_read_u16 v46, v177 offset:336
	;; [unrolled: 1-line block ×4, first 2 shown]
	v_cvt_f32_f16_e32 v210, v238
	v_cvt_f32_f16_sdwa v211, v238 dst_sel:DWORD dst_unused:UNUSED_PAD src0_sel:WORD_1
	s_waitcnt lgkmcnt(2)
	v_perm_b32 v46, v46, v26, s51
	s_waitcnt lgkmcnt(0)
	v_perm_b32 v47, v130, v128, s51
	ds_read_u16 v130, v176 offset:3936
	ds_read_u16 v140, v177 offset:4176
	ds_read_u16 v142, v191 offset:480
	ds_read_u16 v144, v178 offset:3936
	v_mfma_f32_16x16x16f16 v[210:213], v[46:47], v[20:21], v[210:213]
	s_nop 7
	s_nop 2
	v_cvt_f16_f32_e32 v46, v211
	v_cvt_f16_f32_e32 v47, v212
	v_cvt_f16_f32_e32 v26, v210
	v_cvt_f16_f32_e32 v128, v213
	v_cvt_f32_f16_e32 v211, v46
	v_cvt_f32_f16_e32 v212, v47
	s_waitcnt lgkmcnt(0)
	v_perm_b32 v47, v144, v142, s51
	v_perm_b32 v46, v140, v130, s51
	v_cvt_f32_f16_e32 v210, v26
	v_cvt_f32_f16_e32 v213, v128
	ds_read_u16 v130, v176 offset:7776
	ds_read_u16 v140, v177 offset:8016
	ds_read_u16 v142, v192 offset:480
	ds_read_u16 v144, v178 offset:7776
	v_mfma_f32_16x16x16f16 v[210:213], v[46:47], v[18:19], v[210:213]
	s_nop 7
	s_nop 2
	v_cvt_f16_f32_e32 v46, v211
	v_cvt_f16_f32_e32 v47, v212
	v_cvt_f16_f32_e32 v26, v210
	v_cvt_f16_f32_e32 v128, v213
	v_cvt_f32_f16_e32 v211, v46
	v_cvt_f32_f16_e32 v212, v47
	s_waitcnt lgkmcnt(0)
	v_perm_b32 v47, v144, v142, s51
	v_perm_b32 v46, v140, v130, s51
	v_cvt_f32_f16_e32 v210, v26
	v_cvt_f32_f16_e32 v213, v128
	;; [unrolled: 18-line block ×3, first 2 shown]
	s_nop 1
	v_mfma_f32_16x16x16f16 v[210:213], v[46:47], v[14:15], v[210:213]
	s_nop 7
	s_nop 2
	v_cvt_f16_f32_e32 v26, v210
	v_cvt_f16_f32_e32 v46, v211
	;; [unrolled: 1-line block ×4, first 2 shown]
	v_cvt_f32_f16_e32 v210, v29
	v_pack_b32_f16 v238, v26, v46
	v_cvt_f32_f16_sdwa v211, v29 dst_sel:DWORD dst_unused:UNUSED_PAD src0_sel:WORD_1
	v_pack_b32_f16 v232, v47, v128
	ds_read_u16 v26, v176 offset:128
	ds_read_u16 v46, v177 offset:368
	;; [unrolled: 1-line block ×4, first 2 shown]
	v_cvt_f32_f16_e32 v212, v28
	v_cvt_f32_f16_sdwa v213, v28 dst_sel:DWORD dst_unused:UNUSED_PAD src0_sel:WORD_1
	s_waitcnt lgkmcnt(2)
	v_perm_b32 v28, v46, v26, s51
	s_waitcnt lgkmcnt(0)
	v_perm_b32 v29, v128, v47, s51
	ds_read_u16 v47, v176 offset:3968
	ds_read_u16 v128, v177 offset:4208
	ds_read_u16 v130, v195 offset:480
	ds_read_u16 v140, v178 offset:3968
	v_mfma_f32_16x16x16f16 v[210:213], v[28:29], v[20:21], v[210:213]
	s_nop 7
	s_nop 2
	v_cvt_f16_f32_e32 v28, v211
	v_cvt_f16_f32_e32 v29, v212
	v_cvt_f16_f32_e32 v26, v210
	v_cvt_f16_f32_e32 v46, v213
	v_cvt_f32_f16_e32 v211, v28
	v_cvt_f32_f16_e32 v212, v29
	s_waitcnt lgkmcnt(0)
	v_perm_b32 v29, v140, v130, s51
	v_perm_b32 v28, v128, v47, s51
	v_cvt_f32_f16_e32 v210, v26
	v_cvt_f32_f16_e32 v213, v46
	ds_read_u16 v47, v176 offset:7808
	ds_read_u16 v128, v177 offset:8048
	ds_read_u16 v130, v196 offset:480
	ds_read_u16 v140, v178 offset:7808
	v_mfma_f32_16x16x16f16 v[210:213], v[28:29], v[18:19], v[210:213]
	s_nop 7
	s_nop 2
	v_cvt_f16_f32_e32 v28, v211
	v_cvt_f16_f32_e32 v29, v212
	v_cvt_f16_f32_e32 v26, v210
	v_cvt_f16_f32_e32 v46, v213
	v_cvt_f32_f16_e32 v211, v28
	v_cvt_f32_f16_e32 v212, v29
	s_waitcnt lgkmcnt(0)
	v_perm_b32 v29, v140, v130, s51
	v_perm_b32 v28, v128, v47, s51
	v_cvt_f32_f16_e32 v210, v26
	v_cvt_f32_f16_e32 v213, v46
	;; [unrolled: 18-line block ×3, first 2 shown]
	s_nop 1
	v_mfma_f32_16x16x16f16 v[210:213], v[28:29], v[14:15], v[210:213]
	s_nop 7
	s_nop 2
	v_cvt_f16_f32_e32 v29, v212
	v_cvt_f16_f32_e32 v46, v213
	;; [unrolled: 1-line block ×4, first 2 shown]
	v_pack_b32_f16 v243, v29, v46
	ds_read_u16 v46, v176 offset:160
	ds_read_u16 v128, v177 offset:400
	;; [unrolled: 1-line block ×4, first 2 shown]
	v_pack_b32_f16 v236, v26, v28
	v_cvt_f32_f16_e32 v26, v27
	s_waitcnt lgkmcnt(2)
	v_perm_b32 v46, v128, v46, s51
	v_cvt_f32_f16_sdwa v27, v27 dst_sel:DWORD dst_unused:UNUSED_PAD src0_sel:WORD_1
	s_waitcnt lgkmcnt(0)
	v_perm_b32 v47, v130, v47, s51
	v_cvt_f32_f16_e32 v28, v25
	v_cvt_f32_f16_sdwa v29, v25 dst_sel:DWORD dst_unused:UNUSED_PAD src0_sel:WORD_1
	s_nop 1
	v_mfma_f32_16x16x16f16 v[26:29], v[46:47], v[20:21], v[26:29]
	ds_read_u16 v46, v176 offset:4000
	ds_read_u16 v128, v177 offset:4240
	ds_read_u16 v47, v199 offset:480
	ds_read_u16 v130, v178 offset:4000
	s_waitcnt lgkmcnt(2)
	v_perm_b32 v46, v128, v46, s51
	s_waitcnt lgkmcnt(0)
	v_perm_b32 v47, v130, v47, s51
	s_nop 2
	v_cvt_f16_f32_e32 v25, v26
	v_cvt_f16_f32_e32 v27, v27
	v_cvt_f16_f32_e32 v28, v28
	v_cvt_f16_f32_e32 v29, v29
	v_cvt_f32_f16_e32 v26, v25
	v_cvt_f32_f16_e32 v27, v27
	v_cvt_f32_f16_e32 v28, v28
	v_cvt_f32_f16_e32 v29, v29
	s_nop 1
	v_mfma_f32_16x16x16f16 v[26:29], v[46:47], v[18:19], v[26:29]
	ds_read_u16 v46, v176 offset:7840
	ds_read_u16 v128, v177 offset:8080
	ds_read_u16 v47, v200 offset:480
	ds_read_u16 v130, v178 offset:7840
	s_waitcnt lgkmcnt(2)
	v_perm_b32 v46, v128, v46, s51
	s_waitcnt lgkmcnt(0)
	v_perm_b32 v47, v130, v47, s51
	s_nop 2
	v_cvt_f16_f32_e32 v25, v26
	v_cvt_f16_f32_e32 v27, v27
	v_cvt_f16_f32_e32 v28, v28
	v_cvt_f16_f32_e32 v29, v29
	v_cvt_f32_f16_e32 v26, v25
	v_cvt_f32_f16_e32 v27, v27
	v_cvt_f32_f16_e32 v28, v28
	v_cvt_f32_f16_e32 v29, v29
	;; [unrolled: 19-line block ×3, first 2 shown]
	s_nop 1
	v_mfma_f32_16x16x16f16 v[26:29], v[46:47], v[14:15], v[26:29]
	s_nop 7
	s_nop 2
	v_cvt_f16_f32_e32 v25, v26
	v_cvt_f16_f32_e32 v26, v27
	;; [unrolled: 1-line block ×4, first 2 shown]
	v_cvt_f32_f16_sdwa v29, v23 dst_sel:DWORD dst_unused:UNUSED_PAD src0_sel:WORD_1
	v_pack_b32_f16 v242, v25, v26
	ds_read_u16 v46, v176 offset:192
	ds_read_u16 v47, v177 offset:432
	;; [unrolled: 1-line block ×4, first 2 shown]
	v_pack_b32_f16 v231, v27, v28
	v_cvt_f32_f16_e32 v26, v24
	v_cvt_f32_f16_sdwa v27, v24 dst_sel:DWORD dst_unused:UNUSED_PAD src0_sel:WORD_1
	s_waitcnt lgkmcnt(2)
	v_perm_b32 v24, v47, v46, s51
	s_waitcnt lgkmcnt(0)
	v_perm_b32 v25, v128, v25, s51
	v_cvt_f32_f16_e32 v28, v23
	s_nop 1
	v_mfma_f32_16x16x16f16 v[24:27], v[24:25], v[20:21], v[26:29]
	s_nop 6
	ds_read_u16 v28, v176 offset:4032
	ds_read_u16 v29, v177 offset:4272
	ds_read_u16 v46, v203 offset:480
	ds_read_u16 v47, v178 offset:4032
	v_cvt_f16_f32_e32 v20, v24
	v_cvt_f16_f32_e32 v21, v25
	;; [unrolled: 1-line block ×4, first 2 shown]
	v_cvt_f32_f16_e32 v24, v20
	v_cvt_f32_f16_e32 v25, v21
	s_waitcnt lgkmcnt(0)
	v_perm_b32 v21, v47, v46, s51
	v_perm_b32 v20, v29, v28, s51
	v_cvt_f32_f16_e32 v26, v23
	v_cvt_f32_f16_e32 v27, v27
	s_nop 1
	v_mfma_f32_16x16x16f16 v[18:21], v[20:21], v[18:19], v[24:27]
	ds_read_u16 v23, v176 offset:7872
	s_nop 5
	ds_read_u16 v24, v177 offset:8112
	ds_read_u16 v25, v204 offset:480
	;; [unrolled: 1-line block ×3, first 2 shown]
	s_waitcnt lgkmcnt(2)
	v_perm_b32 v24, v24, v23, s51
	s_waitcnt lgkmcnt(0)
	v_perm_b32 v25, v26, v25, s51
	v_cvt_f16_f32_e32 v18, v18
	v_cvt_f16_f32_e32 v19, v19
	;; [unrolled: 1-line block ×4, first 2 shown]
	v_cvt_f32_f16_e32 v18, v18
	v_cvt_f32_f16_e32 v19, v19
	;; [unrolled: 1-line block ×4, first 2 shown]
	s_nop 1
	v_mfma_f32_16x16x16f16 v[18:21], v[24:25], v[16:17], v[18:21]
	s_nop 7
	s_nop 2
	v_cvt_f16_f32_e32 v17, v18
	v_cvt_f16_f32_e32 v18, v19
	;; [unrolled: 1-line block ×4, first 2 shown]
	ds_read_u16 v16, v176 offset:11712
	ds_read_u16 v21, v177 offset:11952
	;; [unrolled: 1-line block ×4, first 2 shown]
	v_cvt_f32_f16_e32 v26, v17
	v_cvt_f32_f16_e32 v27, v18
	s_waitcnt lgkmcnt(2)
	v_perm_b32 v16, v21, v16, s51
	v_cvt_f32_f16_e32 v28, v19
	s_waitcnt lgkmcnt(0)
	v_perm_b32 v17, v24, v23, s51
	v_cvt_f32_f16_e32 v29, v20
	s_barrier
	s_nop 0
	v_mfma_f32_16x16x16f16 v[14:17], v[16:17], v[14:15], v[26:29]
	s_nop 7
	s_nop 2
	v_cvt_f16_f32_e32 v14, v14
	v_cvt_f16_f32_e32 v15, v15
	;; [unrolled: 1-line block ×4, first 2 shown]
	v_pack_b32_f16 v46, v14, v15
	v_mov_b32_e32 v14, s9
	v_addc_co_u32_e32 v1, vcc, v1, v14, vcc
	v_add_co_u32_e32 v74, vcc, s8, v74
	v_addc_co_u32_e32 v31, vcc, v31, v14, vcc
	v_add_co_u32_e32 v76, vcc, s8, v76
	;; [unrolled: 2-line block ×4, first 2 shown]
	v_mov_b32_e32 v14, s53
	v_addc_co_u32_e32 v37, vcc, v37, v14, vcc
	v_add_co_u32_e32 v82, vcc, s52, v82
	v_addc_co_u32_e32 v39, vcc, v39, v14, vcc
	v_add_co_u32_e32 v84, vcc, s52, v84
	v_addc_co_u32_e32 v41, vcc, v41, v14, vcc
	v_add_co_u32_e32 v86, vcc, s52, v86
	v_addc_co_u32_e32 v43, vcc, v43, v14, vcc
	v_add_co_u32_e32 v88, vcc, s33, v88
	v_addc_co_u32_e32 v89, vcc, 0, v89, vcc
	v_add_co_u32_e32 v90, vcc, s33, v90
	v_addc_co_u32_e32 v91, vcc, 0, v91, vcc
	v_add_co_u32_e32 v92, vcc, s33, v92
	v_addc_co_u32_e32 v93, vcc, 0, v93, vcc
	v_add_co_u32_e32 v94, vcc, s33, v94
	v_addc_co_u32_e32 v95, vcc, 0, v95, vcc
	v_add_co_u32_e32 v96, vcc, s33, v96
	v_addc_co_u32_e32 v97, vcc, 0, v97, vcc
	v_add_co_u32_e32 v98, vcc, s33, v98
	v_addc_co_u32_e32 v99, vcc, 0, v99, vcc
	v_add_co_u32_e32 v100, vcc, s33, v100
	v_addc_co_u32_e32 v101, vcc, 0, v101, vcc
	v_add_co_u32_e32 v102, vcc, s33, v102
	v_addc_co_u32_e32 v103, vcc, 0, v103, vcc
	v_add_co_u32_e32 v104, vcc, s33, v104
	v_addc_co_u32_e32 v105, vcc, 0, v105, vcc
	v_add_co_u32_e32 v106, vcc, s33, v106
	v_addc_co_u32_e32 v107, vcc, 0, v107, vcc
	v_add_co_u32_e32 v108, vcc, s33, v108
	v_addc_co_u32_e32 v109, vcc, 0, v109, vcc
	v_add_co_u32_e32 v110, vcc, s33, v110
	v_addc_co_u32_e32 v111, vcc, 0, v111, vcc
	v_add_co_u32_e32 v112, vcc, s33, v112
	v_addc_co_u32_e32 v113, vcc, 0, v113, vcc
	v_add_co_u32_e32 v114, vcc, 0x80, v114
	v_addc_co_u32_e32 v115, vcc, 0, v115, vcc
	v_add_co_u32_e32 v116, vcc, 0x80, v116
	v_addc_co_u32_e32 v117, vcc, 0, v117, vcc
	v_add_co_u32_e32 v118, vcc, 0x80, v118
	v_pack_b32_f16 v246, v16, v17
	v_addc_co_u32_e32 v119, vcc, 0, v119, vcc
	s_cbranch_scc0 .LBB19_271
; %bb.269:                              ;   in Loop: Header=BB19_262 Depth=2
	v_mov_b32_e32 v47, v22
	v_mov_b32_e32 v128, v65
	v_cndmask_b32_e64 v14, 0, 1, s[72:73]
	v_cmp_ne_u32_e64 s[74:75], 1, v14
	s_andn2_b64 vcc, exec, s[72:73]
	s_cbranch_vccz .LBB19_253
	s_branch .LBB19_262
.LBB19_270:                             ;   in Loop: Header=BB19_13 Depth=1
	v_mov_b32_e32 v22, 0
	v_mov_b32_e32 v65, 0xfeffffff
	;; [unrolled: 1-line block ×15, first 2 shown]
.LBB19_271:                             ;   in Loop: Header=BB19_13 Depth=1
	s_lshl_b32 s70, s45, 6
	v_readlane_b32 s42, v253, 4
	v_cmp_eq_u64_e32 vcc, 0, v[66:67]
	s_sub_i32 s66, s42, s70
	v_cmp_ne_u64_e64 s[78:79], 0, v[66:67]
	v_readlane_b32 s43, v253, 5
	s_cbranch_vccnz .LBB19_289
; %bb.272:                              ;   in Loop: Header=BB19_13 Depth=1
	v_cmp_le_i32_e32 vcc, s66, v30
                                        ; implicit-def: $sgpr45
	s_and_saveexec_b64 s[42:43], vcc
	s_xor_b64 s[42:43], exec, s[42:43]
	s_cbranch_execz .LBB19_274
; %bb.273:                              ;   in Loop: Header=BB19_13 Depth=1
	ds_write_b16 v127, v122 offset:15360
	ds_write_b16 v129, v122 offset:15360
	s_mov_b32 s45, 0
.LBB19_274:                             ;   in Loop: Header=BB19_13 Depth=1
	s_or_saveexec_b64 s[56:57], s[42:43]
	s_lshl_b64 s[42:43], s[70:71], 1
	v_mov_b32_e32 v1, s43
	v_add_co_u32_e64 v14, s[42:43], s42, v66
	v_addc_co_u32_e64 v15, s[42:43], v67, v1, s[42:43]
	v_lshlrev_b32_e32 v1, 1, v30
	v_add_co_u32_e64 v1, s[42:43], v14, v1
	v_addc_co_u32_e64 v14, s[42:43], 0, v15, s[42:43]
	v_mov_b32_e32 v15, s45
	v_mov_b32_e32 v16, s45
	s_xor_b64 exec, exec, s[56:57]
	s_cbranch_execz .LBB19_276
; %bb.275:                              ;   in Loop: Header=BB19_13 Depth=1
	v_add_u32_e32 v15, s44, v120
	v_readlane_b32 s46, v253, 17
	v_mul_hi_u32 v16, s46, v15
	v_readlane_b32 s47, v253, 18
	v_add_u32_e32 v16, v15, v16
	v_lshrrev_b32_e32 v16, s47, v16
	v_readlane_b32 s60, v253, 7
	v_mul_lo_u32 v16, v16, s60
	v_sub_u32_e32 v15, v15, v16
	v_readlane_b32 s58, v253, 56
	v_mad_i64_i32 v[16:17], s[42:43], v15, s58, 0
	v_lshlrev_b64 v[16:17], 1, v[16:17]
	v_add_co_u32_e64 v16, s[42:43], v1, v16
	v_addc_co_u32_e64 v17, s[42:43], v14, v17, s[42:43]
	flat_load_ushort v15, v[16:17]
	v_add_u32_e32 v16, 4, v120
	v_add_u32_e32 v16, s44, v16
	v_mul_hi_u32 v17, s46, v16
	v_add_u32_e32 v17, v16, v17
	v_lshrrev_b32_e32 v17, s47, v17
	v_mul_lo_u32 v17, v17, s60
	v_sub_u32_e32 v16, v16, v17
	v_mad_i64_i32 v[16:17], s[42:43], v16, s58, 0
	v_lshlrev_b64 v[16:17], 1, v[16:17]
	v_add_co_u32_e64 v16, s[42:43], v1, v16
	v_addc_co_u32_e64 v17, s[42:43], v14, v17, s[42:43]
	flat_load_ushort v16, v[16:17]
	v_readlane_b32 s61, v253, 8
	v_readlane_b32 s62, v253, 9
	;; [unrolled: 1-line block ×4, first 2 shown]
	s_waitcnt vmcnt(0) lgkmcnt(0)
	ds_write_b16 v127, v15 offset:15360
	ds_write_b16 v129, v16 offset:15360
	v_add_u32_e32 v15, 8, v120
	v_add_u32_e32 v15, s44, v15
	v_mul_hi_u32 v16, s46, v15
	v_add_u32_e32 v16, v15, v16
	v_lshrrev_b32_e32 v16, s47, v16
	v_mul_lo_u32 v16, v16, s60
	v_sub_u32_e32 v15, v15, v16
	v_mad_i64_i32 v[16:17], s[42:43], v15, s58, 0
	v_lshlrev_b64 v[16:17], 1, v[16:17]
	v_add_co_u32_e64 v16, s[42:43], v1, v16
	v_addc_co_u32_e64 v17, s[42:43], v14, v17, s[42:43]
	flat_load_ushort v15, v[16:17]
	v_add_u32_e32 v16, 12, v120
	v_add_u32_e32 v16, s44, v16
	v_mul_hi_u32 v17, s46, v16
	v_add_u32_e32 v17, v16, v17
	v_lshrrev_b32_e32 v17, s47, v17
	v_mul_lo_u32 v17, v17, s60
	v_sub_u32_e32 v16, v16, v17
	v_mad_i64_i32 v[16:17], s[42:43], v16, s58, 0
	v_lshlrev_b64 v[16:17], 1, v[16:17]
	v_add_co_u32_e64 v16, s[42:43], v1, v16
	v_addc_co_u32_e64 v17, s[42:43], v14, v17, s[42:43]
	flat_load_ushort v16, v[16:17]
.LBB19_276:                             ;   in Loop: Header=BB19_13 Depth=1
	s_or_b64 exec, exec, s[56:57]
	s_waitcnt vmcnt(0) lgkmcnt(0)
	ds_write_b16 v131, v15 offset:15360
	ds_write_b16 v133, v16 offset:15360
                                        ; implicit-def: $sgpr45
	s_and_saveexec_b64 s[42:43], vcc
	s_xor_b64 s[42:43], exec, s[42:43]
	s_cbranch_execz .LBB19_278
; %bb.277:                              ;   in Loop: Header=BB19_13 Depth=1
	ds_write_b16 v135, v122 offset:15360
	ds_write_b16 v137, v122 offset:15360
	s_mov_b32 s45, 0
.LBB19_278:                             ;   in Loop: Header=BB19_13 Depth=1
	s_or_saveexec_b64 s[56:57], s[42:43]
	v_mov_b32_e32 v15, s45
	v_mov_b32_e32 v16, s45
	s_xor_b64 exec, exec, s[56:57]
	s_cbranch_execz .LBB19_280
; %bb.279:                              ;   in Loop: Header=BB19_13 Depth=1
	v_add_u32_e32 v15, 16, v120
	v_add_u32_e32 v15, s44, v15
	v_readlane_b32 s46, v253, 17
	v_mul_hi_u32 v16, s46, v15
	v_readlane_b32 s47, v253, 18
	v_add_u32_e32 v16, v15, v16
	v_lshrrev_b32_e32 v16, s47, v16
	v_readlane_b32 s60, v253, 7
	v_mul_lo_u32 v16, v16, s60
	v_readlane_b32 s42, v253, 56
	v_sub_u32_e32 v15, v15, v16
	v_readlane_b32 s43, v253, 57
	s_mov_b32 s58, s42
	v_mad_i64_i32 v[16:17], s[42:43], v15, s58, 0
	v_lshlrev_b64 v[16:17], 1, v[16:17]
	v_add_co_u32_e64 v16, s[42:43], v1, v16
	v_addc_co_u32_e64 v17, s[42:43], v14, v17, s[42:43]
	flat_load_ushort v15, v[16:17]
	v_add_u32_e32 v16, 20, v120
	v_add_u32_e32 v16, s44, v16
	v_mul_hi_u32 v17, s46, v16
	v_add_u32_e32 v17, v16, v17
	v_lshrrev_b32_e32 v17, s47, v17
	v_mul_lo_u32 v17, v17, s60
	v_sub_u32_e32 v16, v16, v17
	v_mad_i64_i32 v[16:17], s[42:43], v16, s58, 0
	v_lshlrev_b64 v[16:17], 1, v[16:17]
	v_add_co_u32_e64 v16, s[42:43], v1, v16
	v_addc_co_u32_e64 v17, s[42:43], v14, v17, s[42:43]
	flat_load_ushort v16, v[16:17]
	v_readlane_b32 s61, v253, 8
	v_readlane_b32 s62, v253, 9
	;; [unrolled: 1-line block ×3, first 2 shown]
	s_waitcnt vmcnt(0) lgkmcnt(0)
	ds_write_b16 v135, v15 offset:15360
	ds_write_b16 v137, v16 offset:15360
	v_add_u32_e32 v15, 24, v120
	v_add_u32_e32 v15, s44, v15
	v_mul_hi_u32 v16, s46, v15
	v_add_u32_e32 v16, v15, v16
	v_lshrrev_b32_e32 v16, s47, v16
	v_mul_lo_u32 v16, v16, s60
	v_sub_u32_e32 v15, v15, v16
	v_mad_i64_i32 v[16:17], s[42:43], v15, s58, 0
	v_lshlrev_b64 v[16:17], 1, v[16:17]
	v_add_co_u32_e64 v16, s[42:43], v1, v16
	v_addc_co_u32_e64 v17, s[42:43], v14, v17, s[42:43]
	flat_load_ushort v15, v[16:17]
	v_add_u32_e32 v16, 28, v120
	v_add_u32_e32 v16, s44, v16
	v_mul_hi_u32 v17, s46, v16
	v_add_u32_e32 v17, v16, v17
	v_lshrrev_b32_e32 v17, s47, v17
	v_mul_lo_u32 v17, v17, s60
	v_sub_u32_e32 v16, v16, v17
	v_mad_i64_i32 v[16:17], s[42:43], v16, s58, 0
	v_lshlrev_b64 v[16:17], 1, v[16:17]
	v_add_co_u32_e64 v16, s[42:43], v1, v16
	v_addc_co_u32_e64 v17, s[42:43], v14, v17, s[42:43]
	flat_load_ushort v16, v[16:17]
.LBB19_280:                             ;   in Loop: Header=BB19_13 Depth=1
	s_or_b64 exec, exec, s[56:57]
	s_waitcnt vmcnt(0) lgkmcnt(0)
	ds_write_b16 v139, v15 offset:15360
	ds_write_b16 v141, v16 offset:15360
                                        ; implicit-def: $sgpr45
	s_and_saveexec_b64 s[42:43], vcc
	s_xor_b64 s[42:43], exec, s[42:43]
	s_cbranch_execz .LBB19_282
; %bb.281:                              ;   in Loop: Header=BB19_13 Depth=1
	ds_write_b16 v143, v122 offset:15360
	ds_write_b16 v145, v122 offset:15360
	s_mov_b32 s45, 0
.LBB19_282:                             ;   in Loop: Header=BB19_13 Depth=1
	s_or_saveexec_b64 s[56:57], s[42:43]
	v_mov_b32_e32 v15, s45
	v_mov_b32_e32 v16, s45
	s_xor_b64 exec, exec, s[56:57]
	s_cbranch_execz .LBB19_284
; %bb.283:                              ;   in Loop: Header=BB19_13 Depth=1
	v_add_u32_e32 v15, 32, v120
	v_add_u32_e32 v15, s44, v15
	v_readlane_b32 s46, v253, 17
	v_mul_hi_u32 v16, s46, v15
	v_readlane_b32 s47, v253, 18
	v_add_u32_e32 v16, v15, v16
	v_lshrrev_b32_e32 v16, s47, v16
	v_readlane_b32 s60, v253, 7
	v_mul_lo_u32 v16, v16, s60
	v_readlane_b32 s42, v253, 56
	v_sub_u32_e32 v15, v15, v16
	v_readlane_b32 s43, v253, 57
	s_mov_b32 s58, s42
	v_mad_i64_i32 v[16:17], s[42:43], v15, s58, 0
	v_lshlrev_b64 v[16:17], 1, v[16:17]
	v_add_co_u32_e64 v16, s[42:43], v1, v16
	v_addc_co_u32_e64 v17, s[42:43], v14, v17, s[42:43]
	flat_load_ushort v15, v[16:17]
	v_add_u32_e32 v16, 36, v120
	v_add_u32_e32 v16, s44, v16
	v_mul_hi_u32 v17, s46, v16
	v_add_u32_e32 v17, v16, v17
	v_lshrrev_b32_e32 v17, s47, v17
	v_mul_lo_u32 v17, v17, s60
	v_sub_u32_e32 v16, v16, v17
	v_mad_i64_i32 v[16:17], s[42:43], v16, s58, 0
	v_lshlrev_b64 v[16:17], 1, v[16:17]
	v_add_co_u32_e64 v16, s[42:43], v1, v16
	v_addc_co_u32_e64 v17, s[42:43], v14, v17, s[42:43]
	flat_load_ushort v16, v[16:17]
	v_readlane_b32 s61, v253, 8
	v_readlane_b32 s62, v253, 9
	;; [unrolled: 1-line block ×3, first 2 shown]
	s_waitcnt vmcnt(0) lgkmcnt(0)
	ds_write_b16 v143, v15 offset:15360
	ds_write_b16 v145, v16 offset:15360
	v_add_u32_e32 v15, 40, v120
	v_add_u32_e32 v15, s44, v15
	v_mul_hi_u32 v16, s46, v15
	v_add_u32_e32 v16, v15, v16
	v_lshrrev_b32_e32 v16, s47, v16
	v_mul_lo_u32 v16, v16, s60
	v_sub_u32_e32 v15, v15, v16
	v_mad_i64_i32 v[16:17], s[42:43], v15, s58, 0
	v_lshlrev_b64 v[16:17], 1, v[16:17]
	v_add_co_u32_e64 v16, s[42:43], v1, v16
	v_addc_co_u32_e64 v17, s[42:43], v14, v17, s[42:43]
	flat_load_ushort v15, v[16:17]
	v_mov_b32_e32 v16, v148
	v_add_u32_e32 v16, s44, v16
	v_mul_hi_u32 v17, s46, v16
	v_add_u32_e32 v17, v16, v17
	v_lshrrev_b32_e32 v17, s47, v17
	v_mul_lo_u32 v17, v17, s60
	v_sub_u32_e32 v16, v16, v17
	v_mad_i64_i32 v[16:17], s[42:43], v16, s58, 0
	v_lshlrev_b64 v[16:17], 1, v[16:17]
	v_add_co_u32_e64 v16, s[42:43], v1, v16
	v_addc_co_u32_e64 v17, s[42:43], v14, v17, s[42:43]
	flat_load_ushort v16, v[16:17]
.LBB19_284:                             ;   in Loop: Header=BB19_13 Depth=1
	s_or_b64 exec, exec, s[56:57]
	s_waitcnt vmcnt(0) lgkmcnt(0)
	ds_write_b16 v147, v15 offset:15360
	ds_write_b16 v149, v16 offset:15360
                                        ; implicit-def: $sgpr45
	s_and_saveexec_b64 s[42:43], vcc
	s_xor_b64 s[42:43], exec, s[42:43]
	s_cbranch_execz .LBB19_286
; %bb.285:                              ;   in Loop: Header=BB19_13 Depth=1
	ds_write_b16 v151, v122 offset:15360
	ds_write_b16 v153, v122 offset:15360
	s_mov_b32 s45, 0
                                        ; implicit-def: $vgpr1
                                        ; implicit-def: $vgpr14
.LBB19_286:                             ;   in Loop: Header=BB19_13 Depth=1
	s_or_saveexec_b64 s[42:43], s[42:43]
	v_mov_b32_e32 v15, s45
	v_mov_b32_e32 v16, s45
	s_xor_b64 exec, exec, s[42:43]
	s_cbranch_execz .LBB19_288
; %bb.287:                              ;   in Loop: Header=BB19_13 Depth=1
	v_mov_b32_e32 v15, v150
	v_add_u32_e32 v15, s44, v15
	v_readlane_b32 s60, v253, 17
	v_mul_hi_u32 v16, s60, v15
	v_readlane_b32 s61, v253, 18
	v_add_u32_e32 v16, v15, v16
	v_lshrrev_b32_e32 v16, s61, v16
	v_readlane_b32 s56, v253, 7
	v_readlane_b32 s58, v253, 9
	v_mul_lo_u32 v16, v16, s56
	v_readlane_b32 s46, v253, 56
	v_sub_u32_e32 v15, v15, v16
	v_readlane_b32 s47, v253, 57
	s_mov_b32 s58, s46
	v_mad_i64_i32 v[16:17], s[46:47], v15, s58, 0
	v_lshlrev_b64 v[16:17], 1, v[16:17]
	v_add_co_u32_e32 v16, vcc, v1, v16
	v_addc_co_u32_e32 v17, vcc, v14, v17, vcc
	flat_load_ushort v15, v[16:17]
	v_mov_b32_e32 v16, v152
	v_add_u32_e32 v16, s44, v16
	v_mul_hi_u32 v17, s60, v16
	v_add_u32_e32 v17, v16, v17
	v_lshrrev_b32_e32 v17, s61, v17
	v_mul_lo_u32 v17, v17, s56
	v_sub_u32_e32 v16, v16, v17
	v_mad_i64_i32 v[16:17], s[46:47], v16, s58, 0
	v_lshlrev_b64 v[16:17], 1, v[16:17]
	v_add_co_u32_e32 v16, vcc, v1, v16
	v_addc_co_u32_e32 v17, vcc, v14, v17, vcc
	flat_load_ushort v16, v[16:17]
	v_readlane_b32 s57, v253, 8
	v_readlane_b32 s59, v253, 10
	s_waitcnt vmcnt(0) lgkmcnt(0)
	ds_write_b16 v151, v15 offset:15360
	ds_write_b16 v153, v16 offset:15360
	v_mov_b32_e32 v15, v154
	v_add_u32_e32 v15, s44, v15
	v_mul_hi_u32 v16, s60, v15
	v_add_u32_e32 v16, v15, v16
	v_lshrrev_b32_e32 v16, s61, v16
	v_mul_lo_u32 v16, v16, s56
	v_sub_u32_e32 v15, v15, v16
	v_mad_i64_i32 v[16:17], s[46:47], v15, s58, 0
	v_lshlrev_b64 v[16:17], 1, v[16:17]
	v_add_co_u32_e32 v16, vcc, v1, v16
	v_addc_co_u32_e32 v17, vcc, v14, v17, vcc
	flat_load_ushort v15, v[16:17]
	v_mov_b32_e32 v16, v156
	v_add_u32_e32 v16, s44, v16
	v_mul_hi_u32 v17, s60, v16
	v_add_u32_e32 v17, v16, v17
	v_lshrrev_b32_e32 v17, s61, v17
	v_mul_lo_u32 v17, v17, s56
	v_sub_u32_e32 v16, v16, v17
	v_mad_i64_i32 v[16:17], s[44:45], v16, s58, 0
	v_lshlrev_b64 v[16:17], 1, v[16:17]
	v_add_co_u32_e32 v16, vcc, v1, v16
	v_addc_co_u32_e32 v17, vcc, v14, v17, vcc
	flat_load_ushort v16, v[16:17]
.LBB19_288:                             ;   in Loop: Header=BB19_13 Depth=1
	s_or_b64 exec, exec, s[42:43]
	s_waitcnt vmcnt(0) lgkmcnt(0)
	ds_write_b16 v155, v15 offset:15360
	ds_write_b16 v157, v16 offset:15360
.LBB19_289:                             ;   in Loop: Header=BB19_13 Depth=1
	v_readlane_b32 s44, v253, 58
	v_readlane_b32 s45, v253, 59
	s_mul_i32 s42, s70, s45
	s_mul_hi_u32 s43, s70, s44
	s_add_i32 s43, s43, s42
	s_mul_i32 s42, s70, s44
	s_lshl_b64 s[42:43], s[42:43], 2
	v_readlane_b32 s44, v254, 38
	s_add_u32 s44, s44, s42
	v_readlane_b32 s42, v254, 39
	s_addc_u32 s45, s42, s43
	buffer_store_dword v122, off, s[0:3], 0
	buffer_store_dword v122, off, s[0:3], 0 offset:4
	buffer_store_dword v122, off, s[0:3], 0 offset:8
	;; [unrolled: 1-line block ×3, first 2 shown]
	s_and_saveexec_b64 s[42:43], s[64:65]
	s_cbranch_execz .LBB19_291
; %bb.290:                              ;   in Loop: Header=BB19_13 Depth=1
	v_mov_b32_e32 v1, s45
	v_add_co_u32_e32 v14, vcc, s44, v56
	v_addc_co_u32_e32 v1, vcc, v1, v57, vcc
	v_lshlrev_b32_e32 v15, 2, v40
	v_add_co_u32_e32 v14, vcc, v14, v15
	v_addc_co_u32_e32 v1, vcc, 0, v1, vcc
	v_add_co_u32_e32 v14, vcc, 0xc0, v14
	v_addc_co_u32_e32 v1, vcc, 0, v1, vcc
	v_mov_b32_e32 v15, s69
	v_cmp_gt_i32_e32 vcc, s66, v158
	v_cndmask_b32_e32 v15, v15, v1, vcc
	v_mov_b32_e32 v1, s68
	v_cndmask_b32_e32 v14, v1, v14, vcc
	flat_load_dwordx4 v[14:17], v[14:15]
	s_waitcnt vmcnt(0) lgkmcnt(0)
	ds_write_b128 v159, v[14:17]
.LBB19_291:                             ;   in Loop: Header=BB19_13 Depth=1
	s_or_b64 exec, exec, s[42:43]
	v_mov_b32_e32 v1, s45
	v_add_co_u32_e32 v14, vcc, s44, v58
	v_addc_co_u32_e32 v1, vcc, v1, v59, vcc
	v_lshlrev_b32_e32 v29, 2, v42
	v_add_co_u32_e32 v14, vcc, v14, v29
	v_addc_co_u32_e32 v1, vcc, 0, v1, vcc
	v_add_co_u32_e32 v14, vcc, 0x80, v14
	v_addc_co_u32_e32 v1, vcc, 0, v1, vcc
	v_mov_b32_e32 v20, s69
	v_cmp_gt_i32_e64 s[76:77], s66, v160
	v_cndmask_b32_e64 v15, v20, v1, s[76:77]
	v_mov_b32_e32 v1, s68
	v_cndmask_b32_e64 v14, v1, v14, s[76:77]
	flat_load_dwordx4 v[14:17], v[14:15]
	v_mov_b32_e32 v18, s45
	v_add_co_u32_e32 v19, vcc, s44, v60
	v_lshlrev_b32_e32 v27, 2, v44
	v_addc_co_u32_e32 v18, vcc, v18, v61, vcc
	v_add_co_u32_e32 v21, vcc, v19, v27
	v_addc_co_u32_e32 v18, vcc, 0, v18, vcc
	v_cmp_gt_i32_e64 s[74:75], s66, v125
	v_cndmask_b32_e64 v19, v20, v18, s[74:75]
	v_cndmask_b32_e64 v18, v1, v21, s[74:75]
	v_cmp_gt_i32_e64 s[72:73], s66, v161
	v_add_u32_e32 v23, 0x1800, v162
	v_add_u32_e32 v24, 0x2800, v162
	s_waitcnt vmcnt(0) lgkmcnt(0)
	ds_write_b128 v206, v[14:17]
	flat_load_dwordx4 v[14:17], v[18:19]
	v_mov_b32_e32 v18, s45
	v_add_co_u32_e32 v19, vcc, s44, v62
	v_addc_co_u32_e32 v18, vcc, v18, v63, vcc
	v_add_co_u32_e32 v21, vcc, v19, v27
	v_addc_co_u32_e32 v18, vcc, 0, v18, vcc
	v_cndmask_b32_e64 v19, v20, v18, s[72:73]
	v_cndmask_b32_e64 v18, v1, v21, s[72:73]
	v_add_u32_e32 v1, 0x800, v162
	s_andn2_b64 vcc, exec, s[78:79]
	s_waitcnt vmcnt(0) lgkmcnt(0)
	ds_write_b128 v207, v[14:17]
	flat_load_dwordx4 v[14:17], v[18:19]
	s_waitcnt vmcnt(0) lgkmcnt(0)
	ds_write_b128 v208, v[14:17]
	s_waitcnt lgkmcnt(0)
	s_barrier
	ds_read2_b64 v[14:17], v162 offset1:4
	ds_read2_b64 v[88:91], v1 offset0:224 offset1:228
	ds_read2_b64 v[96:99], v23 offset0:192 offset1:196
	;; [unrolled: 1-line block ×3, first 2 shown]
	s_waitcnt lgkmcnt(3)
	v_mfma_f32_16x16x16f16 v[18:21], v[14:15], v[10:11], 0
	s_waitcnt lgkmcnt(2)
	v_mfma_f32_16x16x16f16 v[92:95], v[88:89], v[10:11], 0
	;; [unrolled: 2-line block ×4, first 2 shown]
	v_mfma_f32_16x16x16f16 v[14:17], v[16:17], v[12:13], v[18:21]
	v_mfma_f32_16x16x16f16 v[18:21], v[90:91], v[12:13], v[92:95]
	;; [unrolled: 1-line block ×3, first 2 shown]
	s_nop 5
	ds_read2_b64 v[92:95], v162 offset0:8 offset1:12
	ds_read2_b64 v[96:99], v1 offset0:232 offset1:236
	v_mfma_f32_16x16x16f16 v[10:13], v[106:107], v[12:13], v[108:111]
	ds_read2_b64 v[100:103], v23 offset0:200 offset1:204
	ds_read2_b64 v[104:107], v24 offset0:168 offset1:172
	s_waitcnt lgkmcnt(3)
	v_mfma_f32_16x16x16f16 v[14:17], v[92:93], v[6:7], v[14:17]
	s_waitcnt lgkmcnt(2)
	v_mfma_f32_16x16x16f16 v[18:21], v[96:97], v[6:7], v[18:21]
	;; [unrolled: 2-line block ×4, first 2 shown]
	v_mfma_f32_16x16x16f16 v[14:17], v[94:95], v[8:9], v[14:17]
	ds_read2_b64 v[92:95], v1 offset0:240 offset1:244
	v_mfma_f32_16x16x16f16 v[18:21], v[98:99], v[8:9], v[18:21]
	ds_read2_b64 v[96:99], v23 offset0:208 offset1:212
	v_mfma_f32_16x16x16f16 v[88:91], v[102:103], v[8:9], v[88:91]
	ds_read2_b64 v[100:103], v24 offset0:176 offset1:180
	v_mfma_f32_16x16x16f16 v[6:9], v[106:107], v[8:9], v[10:13]
	s_nop 6
	ds_read2_b64 v[10:13], v162 offset0:16 offset1:20
	s_waitcnt lgkmcnt(0)
	v_mfma_f32_16x16x16f16 v[14:17], v[10:11], v[2:3], v[14:17]
	v_mfma_f32_16x16x16f16 v[18:21], v[92:93], v[2:3], v[18:21]
	;; [unrolled: 1-line block ×8, first 2 shown]
	s_nop 6
	ds_read_b64 v[6:7], v162 offset:192
	ds_read_b64 v[8:9], v162 offset:4032
	;; [unrolled: 1-line block ×4, first 2 shown]
	s_waitcnt lgkmcnt(0)
	s_barrier
	v_mfma_f32_16x16x16f16 v[14:17], v[6:7], v[68:69], v[10:13]
	v_mfma_f32_16x16x16f16 v[10:13], v[8:9], v[68:69], v[18:21]
	;; [unrolled: 1-line block ×4, first 2 shown]
	s_cbranch_vccnz .LBB19_293
; %bb.292:                              ;   in Loop: Header=BB19_13 Depth=1
	ds_read_b32 v1, v164 offset:15360
	s_waitcnt lgkmcnt(0)
	s_nop 1
	v_cvt_f32_f16_sdwa v19, v1 dst_sel:DWORD dst_unused:UNUSED_PAD src0_sel:WORD_1
	v_cvt_f32_f16_e32 v18, v1
	ds_read_b32 v1, v165 offset:15360
	v_pk_fma_f32 v[14:15], v[64:65], v[18:19], v[14:15] op_sel_hi:[0,1,1]
	s_waitcnt lgkmcnt(0)
	v_cvt_f32_f16_sdwa v21, v1 dst_sel:DWORD dst_unused:UNUSED_PAD src0_sel:WORD_1
	v_cvt_f32_f16_e32 v20, v1
	v_add_u32_e32 v1, 0x3c00, v167
	ds_read2_b32 v[18:19], v1 offset1:1
	v_add_u32_e32 v1, 0x3c00, v170
	v_pk_fma_f32 v[16:17], v[64:65], v[20:21], v[16:17] op_sel_hi:[0,1,1]
	s_waitcnt lgkmcnt(0)
	v_cvt_f32_f16_e32 v20, v18
	v_cvt_f32_f16_sdwa v21, v18 dst_sel:DWORD dst_unused:UNUSED_PAD src0_sel:WORD_1
	v_cvt_f32_f16_e32 v18, v19
	v_cvt_f32_f16_sdwa v19, v19 dst_sel:DWORD dst_unused:UNUSED_PAD src0_sel:WORD_1
	v_pk_fma_f32 v[10:11], v[64:65], v[20:21], v[10:11] op_sel_hi:[0,1,1]
	v_pk_fma_f32 v[12:13], v[64:65], v[18:19], v[12:13] op_sel_hi:[0,1,1]
	ds_read2_b32 v[18:19], v1 offset1:1
	v_add_u32_e32 v1, 0x3c00, v173
	s_waitcnt lgkmcnt(0)
	v_cvt_f32_f16_e32 v20, v18
	v_cvt_f32_f16_sdwa v21, v18 dst_sel:DWORD dst_unused:UNUSED_PAD src0_sel:WORD_1
	v_cvt_f32_f16_e32 v18, v19
	v_cvt_f32_f16_sdwa v19, v19 dst_sel:DWORD dst_unused:UNUSED_PAD src0_sel:WORD_1
	v_pk_fma_f32 v[6:7], v[64:65], v[20:21], v[6:7] op_sel_hi:[0,1,1]
	v_pk_fma_f32 v[8:9], v[64:65], v[18:19], v[8:9] op_sel_hi:[0,1,1]
	ds_read2_b32 v[18:19], v1 offset1:1
	s_waitcnt lgkmcnt(0)
	v_cvt_f32_f16_e32 v20, v18
	v_cvt_f32_f16_sdwa v21, v18 dst_sel:DWORD dst_unused:UNUSED_PAD src0_sel:WORD_1
	v_cvt_f32_f16_e32 v18, v19
	v_cvt_f32_f16_sdwa v19, v19 dst_sel:DWORD dst_unused:UNUSED_PAD src0_sel:WORD_1
	v_pk_fma_f32 v[2:3], v[64:65], v[20:21], v[2:3] op_sel_hi:[0,1,1]
	v_pk_fma_f32 v[4:5], v[64:65], v[18:19], v[4:5] op_sel_hi:[0,1,1]
.LBB19_293:                             ;   in Loop: Header=BB19_13 Depth=1
	s_nop 6
	v_add_f32_e32 v1, 0x40051340, v14
	v_max_f32_e32 v18, v65, v65
	v_max_f32_e32 v1, v18, v1
	v_cmp_gt_u32_e64 s[62:63], s66, v163
	v_cndmask_b32_e64 v1, v65, v1, s[62:63]
	v_add_f32_e32 v18, 0x40051340, v15
	v_max_f32_e32 v19, v1, v1
	v_max_f32_e32 v18, v19, v18
	v_cmp_gt_u32_e64 s[60:61], s66, v209
	v_cndmask_b32_e64 v1, v1, v18, s[60:61]
	;; [unrolled: 5-line block ×16, first 2 shown]
	v_and_b32_e32 v18, 64, v245
	v_add_u32_e32 v20, 64, v18
	v_xor_b32_e32 v18, 32, v245
	v_cmp_lt_i32_e32 vcc, v18, v20
	v_cndmask_b32_e32 v18, v245, v18, vcc
	v_lshlrev_b32_e32 v19, 2, v18
	ds_bpermute_b32 v18, v19, v1
	v_max_f32_e32 v1, v1, v1
	v_readlane_b32 s46, v253, 60
	v_readlane_b32 s47, v253, 61
	s_mul_i32 s44, s70, s47
	s_waitcnt lgkmcnt(0)
	v_max_f32_e32 v18, v18, v18
	v_max_f32_e32 v18, v1, v18
	v_xor_b32_e32 v1, 16, v245
	v_cmp_lt_i32_e32 vcc, v1, v20
	v_cndmask_b32_e32 v1, v245, v1, vcc
	v_lshlrev_b32_e32 v1, 2, v1
	ds_bpermute_b32 v20, v1, v18
	s_mul_hi_u32 s45, s70, s46
	s_add_i32 s45, s45, s44
	s_mul_i32 s44, s70, s46
	s_lshl_b64 s[44:45], s[44:45], 2
	v_readlane_b32 s46, v254, 32
	s_add_u32 s47, s46, s44
	v_readlane_b32 s44, v254, 33
	s_addc_u32 s46, s44, s45
	buffer_store_dword v122, off, s[0:3], 0
	buffer_store_dword v122, off, s[0:3], 0 offset:4
	buffer_store_dword v122, off, s[0:3], 0 offset:8
	;; [unrolled: 1-line block ×3, first 2 shown]
	s_and_saveexec_b64 s[44:45], s[64:65]
	s_cbranch_execz .LBB19_295
; %bb.294:                              ;   in Loop: Header=BB19_13 Depth=1
	v_mov_b32_e32 v21, s46
	v_add_co_u32_e32 v23, vcc, s47, v48
	v_addc_co_u32_e32 v21, vcc, v21, v49, vcc
	v_lshlrev_b32_e32 v24, 2, v40
	v_add_co_u32_e32 v23, vcc, v23, v24
	v_addc_co_u32_e32 v21, vcc, 0, v21, vcc
	v_add_co_u32_e32 v23, vcc, 0xc0, v23
	v_addc_co_u32_e32 v21, vcc, 0, v21, vcc
	v_mov_b32_e32 v24, s69
	v_cmp_gt_i32_e32 vcc, s66, v158
	v_cndmask_b32_e32 v25, v24, v21, vcc
	v_mov_b32_e32 v21, s68
	v_cndmask_b32_e32 v24, v21, v23, vcc
	flat_load_dwordx4 v[66:69], v[24:25]
	s_waitcnt vmcnt(0) lgkmcnt(0)
	ds_write_b128 v159, v[66:69]
.LBB19_295:                             ;   in Loop: Header=BB19_13 Depth=1
	s_or_b64 exec, exec, s[44:45]
	s_waitcnt lgkmcnt(0)
	v_max_f32_e32 v20, v20, v20
	v_max_f32_e32 v18, v18, v18
	;; [unrolled: 1-line block ×3, first 2 shown]
	v_sub_f32_e32 v14, v14, v18
	v_mul_f32_e32 v20, 0x3fb8aa3b, v14
	v_fma_f32 v21, v14, s48, -v20
	v_rndne_f32_e32 v23, v20
	v_fmac_f32_e32 v21, 0x32a5705f, v14
	v_sub_f32_e32 v20, v20, v23
	v_add_f32_e32 v20, v20, v21
	v_exp_f32_e32 v20, v20
	v_cvt_i32_f32_e32 v21, v23
	v_cmp_ngt_f32_e32 vcc, s50, v14
	v_sub_f32_e32 v15, v15, v18
	v_cndmask_b32_e64 v16, v16, v16, s[60:61]
	v_ldexp_f32 v20, v20, v21
	v_cndmask_b32_e32 v20, 0, v20, vcc
	v_cmp_nlt_f32_e32 vcc, s49, v14
	v_cndmask_b32_e32 v14, v45, v20, vcc
	v_mul_f32_e32 v20, 0x3fb8aa3b, v15
	v_fma_f32 v21, v15, s48, -v20
	v_rndne_f32_e32 v23, v20
	v_fmac_f32_e32 v21, 0x32a5705f, v15
	v_sub_f32_e32 v20, v20, v23
	v_add_f32_e32 v20, v20, v21
	v_exp_f32_e32 v20, v20
	v_cvt_i32_f32_e32 v21, v23
	v_cmp_ngt_f32_e32 vcc, s50, v15
	v_cndmask_b32_e64 v14, 0, v14, s[62:63]
	v_sub_f32_e32 v16, v16, v18
	v_ldexp_f32 v20, v20, v21
	v_cndmask_b32_e32 v20, 0, v20, vcc
	v_cmp_nlt_f32_e32 vcc, s49, v15
	v_cndmask_b32_e32 v20, v45, v20, vcc
	v_mov_b32_e32 v15, s71
	v_add_f32_e32 v21, v20, v14
	v_cndmask_b32_e64 v31, v15, v20, s[60:61]
	v_mul_f32_e32 v20, 0x3fb8aa3b, v16
	v_cndmask_b32_e64 v15, v14, v21, s[60:61]
	v_fma_f32 v21, v16, s48, -v20
	v_rndne_f32_e32 v23, v20
	v_fmac_f32_e32 v21, 0x32a5705f, v16
	v_sub_f32_e32 v20, v20, v23
	v_add_f32_e32 v20, v20, v21
	v_exp_f32_e32 v20, v20
	v_cvt_i32_f32_e32 v21, v23
	v_cmp_ngt_f32_e32 vcc, s50, v16
	v_cndmask_b32_e64 v17, v17, v17, s[60:61]
	v_sub_f32_e32 v10, v10, v18
	v_ldexp_f32 v20, v20, v21
	v_cndmask_b32_e32 v20, 0, v20, vcc
	v_cmp_nlt_f32_e32 vcc, s49, v16
	v_cndmask_b32_e32 v20, v45, v20, vcc
	v_mov_b32_e32 v16, s71
	v_cndmask_b32_e64 v33, v16, v20, s[58:59]
	v_sub_f32_e32 v16, v17, v18
	v_add_f32_e32 v21, v15, v20
	v_mul_f32_e32 v17, 0x3fb8aa3b, v16
	v_cndmask_b32_e64 v15, v15, v21, s[58:59]
	v_fma_f32 v20, v16, s48, -v17
	v_rndne_f32_e32 v21, v17
	v_fmac_f32_e32 v20, 0x32a5705f, v16
	v_sub_f32_e32 v17, v17, v21
	v_add_f32_e32 v17, v17, v20
	v_exp_f32_e32 v17, v17
	v_cvt_i32_f32_e32 v20, v21
	v_cmp_ngt_f32_e32 vcc, s50, v16
	v_cndmask_b32_e64 v11, v11, v11, s[42:43]
	v_sub_f32_e32 v11, v11, v18
	v_ldexp_f32 v17, v17, v20
	v_cndmask_b32_e32 v17, 0, v17, vcc
	v_cmp_nlt_f32_e32 vcc, s49, v16
	v_cndmask_b32_e32 v35, v45, v17, vcc
	v_add_f32_e32 v16, v15, v35
	v_cndmask_b32_e64 v15, v15, v16, s[78:79]
	v_mul_f32_e32 v16, 0x3fb8aa3b, v10
	v_fma_f32 v17, v10, s48, -v16
	v_rndne_f32_e32 v20, v16
	v_fmac_f32_e32 v17, 0x32a5705f, v10
	v_sub_f32_e32 v16, v16, v20
	v_add_f32_e32 v16, v16, v17
	v_exp_f32_e32 v16, v16
	v_cvt_i32_f32_e32 v17, v20
	v_cmp_ngt_f32_e32 vcc, s50, v10
	v_cndmask_b32_e64 v12, v12, v12, s[42:43]
	v_cndmask_b32_e64 v13, v13, v13, s[42:43]
	v_ldexp_f32 v16, v16, v17
	v_cndmask_b32_e32 v16, 0, v16, vcc
	v_cmp_nlt_f32_e32 vcc, s49, v10
	v_cndmask_b32_e32 v16, v45, v16, vcc
	v_add_f32_e32 v17, v16, v15
	v_mov_b32_e32 v10, s71
	v_cndmask_b32_e64 v37, v10, v16, s[42:43]
	v_cndmask_b32_e64 v10, v15, v17, s[42:43]
	v_mul_f32_e32 v15, 0x3fb8aa3b, v11
	v_fma_f32 v16, v11, s48, -v15
	v_rndne_f32_e32 v17, v15
	v_fmac_f32_e32 v16, 0x32a5705f, v11
	v_sub_f32_e32 v15, v15, v17
	v_add_f32_e32 v15, v15, v16
	v_exp_f32_e32 v15, v15
	v_cvt_i32_f32_e32 v16, v17
	v_cmp_ngt_f32_e32 vcc, s50, v11
	v_sub_f32_e32 v6, v6, v18
	v_cndmask_b32_e64 v7, v7, v7, s[96:97]
	v_ldexp_f32 v15, v15, v16
	v_cndmask_b32_e32 v15, 0, v15, vcc
	v_cmp_nlt_f32_e32 vcc, s49, v11
	v_cndmask_b32_e32 v15, v45, v15, vcc
	v_add_f32_e32 v16, v15, v10
	v_mov_b32_e32 v11, s71
	v_cndmask_b32_e64 v39, v11, v15, s[56:57]
	v_cndmask_b32_e64 v11, v10, v16, s[56:57]
	v_sub_f32_e32 v10, v12, v18
	v_mul_f32_e32 v12, 0x3fb8aa3b, v10
	v_fma_f32 v15, v10, s48, -v12
	v_rndne_f32_e32 v16, v12
	v_fmac_f32_e32 v15, 0x32a5705f, v10
	v_sub_f32_e32 v12, v12, v16
	v_add_f32_e32 v12, v12, v15
	v_exp_f32_e32 v12, v12
	v_cvt_i32_f32_e32 v15, v16
	v_cmp_ngt_f32_e32 vcc, s50, v10
	v_sub_f32_e32 v7, v7, v18
	v_cndmask_b32_e64 v8, v8, v8, s[96:97]
	v_ldexp_f32 v12, v12, v15
	v_cndmask_b32_e32 v12, 0, v12, vcc
	v_cmp_nlt_f32_e32 vcc, s49, v10
	v_cndmask_b32_e32 v12, v45, v12, vcc
	v_add_f32_e32 v15, v12, v11
	v_mov_b32_e32 v10, s71
	v_cndmask_b32_e64 v41, v10, v12, s[98:99]
	v_cndmask_b32_e64 v10, v11, v15, s[98:99]
	v_sub_f32_e32 v11, v13, v18
	v_mul_f32_e32 v12, 0x3fb8aa3b, v11
	v_fma_f32 v13, v11, s48, -v12
	v_rndne_f32_e32 v15, v12
	v_fmac_f32_e32 v13, 0x32a5705f, v11
	v_sub_f32_e32 v12, v12, v15
	v_add_f32_e32 v12, v12, v13
	v_exp_f32_e32 v12, v12
	v_cvt_i32_f32_e32 v13, v15
	v_cmp_ngt_f32_e32 vcc, s50, v11
	v_cndmask_b32_e64 v9, v9, v9, s[96:97]
	v_sub_f32_e32 v9, v9, v18
	v_ldexp_f32 v12, v12, v13
	v_cndmask_b32_e32 v12, 0, v12, vcc
	v_cmp_nlt_f32_e32 vcc, s49, v11
	v_cndmask_b32_e32 v43, v45, v12, vcc
	v_add_f32_e32 v11, v43, v10
	v_cndmask_b32_e64 v10, v10, v11, s[80:81]
	v_mul_f32_e32 v11, 0x3fb8aa3b, v6
	v_fma_f32 v12, v6, s48, -v11
	v_rndne_f32_e32 v13, v11
	v_fmac_f32_e32 v12, 0x32a5705f, v6
	v_sub_f32_e32 v11, v11, v13
	v_add_f32_e32 v11, v11, v12
	v_exp_f32_e32 v11, v11
	v_cvt_i32_f32_e32 v12, v13
	v_cmp_ngt_f32_e32 vcc, s50, v6
	v_sub_f32_e32 v2, v2, v18
	v_cndmask_b32_e64 v3, v3, v3, s[90:91]
	v_ldexp_f32 v11, v11, v12
	v_cndmask_b32_e32 v11, 0, v11, vcc
	v_cmp_nlt_f32_e32 vcc, s49, v6
	v_cndmask_b32_e32 v11, v45, v11, vcc
	v_add_f32_e32 v12, v11, v10
	v_mov_b32_e32 v6, s71
	v_cndmask_b32_e64 v47, v6, v11, s[96:97]
	v_cndmask_b32_e64 v6, v10, v12, s[96:97]
	v_mul_f32_e32 v10, 0x3fb8aa3b, v7
	v_fma_f32 v11, v7, s48, -v10
	v_rndne_f32_e32 v12, v10
	v_fmac_f32_e32 v11, 0x32a5705f, v7
	v_sub_f32_e32 v10, v10, v12
	v_add_f32_e32 v10, v10, v11
	v_exp_f32_e32 v10, v10
	v_cvt_i32_f32_e32 v11, v12
	v_cmp_ngt_f32_e32 vcc, s50, v7
	v_sub_f32_e32 v3, v3, v18
	v_cndmask_b32_e64 v4, v4, v4, s[90:91]
	v_ldexp_f32 v10, v10, v11
	v_cndmask_b32_e32 v10, 0, v10, vcc
	v_cmp_nlt_f32_e32 vcc, s49, v7
	v_cndmask_b32_e32 v10, v45, v10, vcc
	v_add_f32_e32 v11, v10, v6
	v_mov_b32_e32 v7, s71
	v_cndmask_b32_e64 v7, v7, v10, s[94:95]
	v_cndmask_b32_e64 v10, v6, v11, s[94:95]
	v_sub_f32_e32 v6, v8, v18
	v_mul_f32_e32 v8, 0x3fb8aa3b, v6
	v_fma_f32 v11, v6, s48, -v8
	v_rndne_f32_e32 v12, v8
	v_fmac_f32_e32 v11, 0x32a5705f, v6
	v_sub_f32_e32 v8, v8, v12
	v_add_f32_e32 v8, v8, v11
	v_exp_f32_e32 v8, v8
	v_cvt_i32_f32_e32 v11, v12
	v_cmp_ngt_f32_e32 vcc, s50, v6
	v_cndmask_b32_e64 v5, v5, v5, s[90:91]
	v_readlane_b32 s42, v254, 40
	v_ldexp_f32 v8, v8, v11
	v_cndmask_b32_e32 v8, 0, v8, vcc
	v_cmp_nlt_f32_e32 vcc, s49, v6
	v_cndmask_b32_e32 v8, v45, v8, vcc
	v_add_f32_e32 v11, v8, v10
	v_mov_b32_e32 v6, s71
	v_cndmask_b32_e64 v6, v6, v8, s[92:93]
	v_cndmask_b32_e64 v8, v10, v11, s[92:93]
	v_mul_f32_e32 v10, 0x3fb8aa3b, v9
	v_fma_f32 v11, v9, s48, -v10
	v_rndne_f32_e32 v12, v10
	v_fmac_f32_e32 v11, 0x32a5705f, v9
	v_sub_f32_e32 v10, v10, v12
	v_add_f32_e32 v10, v10, v11
	v_exp_f32_e32 v10, v10
	v_cvt_i32_f32_e32 v11, v12
	v_cmp_ngt_f32_e32 vcc, s50, v9
	v_readlane_b32 s43, v254, 41
	s_cmp_lg_u64 s[42:43], 0
	v_ldexp_f32 v10, v10, v11
	v_cndmask_b32_e32 v10, 0, v10, vcc
	v_cmp_nlt_f32_e32 vcc, s49, v9
	v_cndmask_b32_e32 v9, v45, v10, vcc
	v_add_f32_e32 v10, v9, v8
	v_cndmask_b32_e64 v8, v8, v10, s[82:83]
	v_mul_f32_e32 v10, 0x3fb8aa3b, v2
	v_fma_f32 v11, v2, s48, -v10
	v_rndne_f32_e32 v12, v10
	v_fmac_f32_e32 v11, 0x32a5705f, v2
	v_sub_f32_e32 v10, v10, v12
	v_add_f32_e32 v10, v10, v11
	v_exp_f32_e32 v10, v10
	v_cvt_i32_f32_e32 v11, v12
	v_cmp_ngt_f32_e32 vcc, s50, v2
	v_ldexp_f32 v10, v10, v11
	v_cndmask_b32_e32 v10, 0, v10, vcc
	v_cmp_nlt_f32_e32 vcc, s49, v2
	v_cndmask_b32_e32 v10, v45, v10, vcc
	v_add_f32_e32 v11, v10, v8
	v_mov_b32_e32 v2, s71
	v_cndmask_b32_e64 v64, v2, v10, s[90:91]
	v_cndmask_b32_e64 v2, v8, v11, s[90:91]
	v_mul_f32_e32 v8, 0x3fb8aa3b, v3
	v_fma_f32 v10, v3, s48, -v8
	v_rndne_f32_e32 v11, v8
	v_fmac_f32_e32 v10, 0x32a5705f, v3
	v_sub_f32_e32 v8, v8, v11
	v_add_f32_e32 v8, v8, v10
	v_exp_f32_e32 v8, v8
	v_cvt_i32_f32_e32 v10, v11
	v_cmp_ngt_f32_e32 vcc, s50, v3
	v_ldexp_f32 v8, v8, v10
	v_cndmask_b32_e32 v8, 0, v8, vcc
	v_cmp_nlt_f32_e32 vcc, s49, v3
	v_cndmask_b32_e32 v8, v45, v8, vcc
	v_add_f32_e32 v10, v8, v2
	v_mov_b32_e32 v3, s71
	v_cndmask_b32_e64 v8, v3, v8, s[88:89]
	v_cndmask_b32_e64 v3, v2, v10, s[88:89]
	v_sub_f32_e32 v2, v4, v18
	v_mul_f32_e32 v4, 0x3fb8aa3b, v2
	v_fma_f32 v10, v2, s48, -v4
	v_rndne_f32_e32 v11, v4
	v_fmac_f32_e32 v10, 0x32a5705f, v2
	v_sub_f32_e32 v4, v4, v11
	v_add_f32_e32 v4, v4, v10
	v_exp_f32_e32 v4, v4
	v_cvt_i32_f32_e32 v10, v11
	v_cmp_ngt_f32_e32 vcc, s50, v2
	s_mov_b32 s88, 0xc1a00000
	v_ldexp_f32 v4, v4, v10
	v_cndmask_b32_e32 v4, 0, v4, vcc
	v_cmp_nlt_f32_e32 vcc, s49, v2
	v_cndmask_b32_e32 v4, v45, v4, vcc
	v_add_f32_e32 v10, v4, v3
	v_mov_b32_e32 v2, s71
	v_cndmask_b32_e64 v4, v2, v4, s[86:87]
	v_cndmask_b32_e64 v2, v3, v10, s[86:87]
	v_sub_f32_e32 v3, v5, v18
	v_mul_f32_e32 v5, 0x3fb8aa3b, v3
	v_fma_f32 v10, v3, s48, -v5
	v_rndne_f32_e32 v11, v5
	v_fmac_f32_e32 v10, 0x32a5705f, v3
	v_sub_f32_e32 v5, v5, v11
	v_add_f32_e32 v5, v5, v10
	v_exp_f32_e32 v5, v5
	v_cvt_i32_f32_e32 v10, v11
	v_cmp_ngt_f32_e32 vcc, s50, v3
	v_ldexp_f32 v5, v5, v10
	v_cndmask_b32_e32 v5, 0, v5, vcc
	v_cmp_nlt_f32_e32 vcc, s49, v3
	v_cndmask_b32_e32 v5, v45, v5, vcc
	v_add_f32_e32 v3, v5, v2
	v_cndmask_b32_e64 v24, v2, v3, s[84:85]
	v_sub_f32_e32 v2, v65, v18
	v_mul_f32_e32 v3, 0x3fb8aa3b, v2
	v_fma_f32 v10, v2, s48, -v3
	v_rndne_f32_e32 v11, v3
	v_fmac_f32_e32 v10, 0x32a5705f, v2
	v_sub_f32_e32 v3, v3, v11
	v_add_f32_e32 v3, v3, v10
	v_exp_f32_e32 v3, v3
	v_cvt_i32_f32_e32 v10, v11
	v_cmp_ngt_f32_e32 vcc, s50, v2
	v_ldexp_f32 v3, v3, v10
	v_cndmask_b32_e32 v3, 0, v3, vcc
	v_cmp_nlt_f32_e32 vcc, s49, v2
	v_cndmask_b32_e32 v3, v45, v3, vcc
	v_cmp_le_f32_e32 vcc, s88, v2
	v_cndmask_b32_e32 v2, 0, v3, vcc
	v_fmac_f32_e32 v24, v22, v2
	v_cvt_f16_f32_e32 v2, v2
	v_mov_b32_e32 v3, s71
	v_cndmask_b32_e64 v5, v3, v5, s[84:85]
	v_cndmask_b32_e64 v9, v3, v9, s[82:83]
	v_pk_mul_f16 v11, v2, v252 op_sel_hi:[0,1]
	v_pk_mul_f16 v10, v2, v251 op_sel_hi:[0,1]
	;; [unrolled: 1-line block ×14, first 2 shown]
	v_cndmask_b32_e64 v43, v3, v43, s[80:81]
	v_cndmask_b32_e64 v35, v3, v35, s[78:79]
	v_cvt_f16_f32_e32 v2, v64
	v_cvt_f16_f32_e32 v3, v8
	;; [unrolled: 1-line block ×3, first 2 shown]
	v_pack_b32_f16 v2, v2, v3
	v_cvt_f16_f32_e32 v3, v4
	v_cvt_f16_f32_e32 v4, v5
	;; [unrolled: 1-line block ×4, first 2 shown]
	v_pack_b32_f16 v3, v3, v4
	v_cvt_f16_f32_e32 v4, v47
	v_pack_b32_f16 v4, v4, v5
	v_cvt_f16_f32_e32 v5, v6
	v_cvt_f16_f32_e32 v6, v9
	;; [unrolled: 1-line block ×3, first 2 shown]
	v_mov_b32_e32 v31, s46
	v_pack_b32_f16 v5, v5, v6
	v_cvt_f16_f32_e32 v6, v37
	v_pack_b32_f16 v6, v6, v7
	v_cvt_f16_f32_e32 v7, v41
	;; [unrolled: 2-line block ×3, first 2 shown]
	v_cvt_f16_f32_e32 v14, v35
	v_pack_b32_f16 v8, v8, v9
	v_cvt_f16_f32_e32 v9, v33
	v_mov_b32_e32 v33, s46
	v_pack_b32_f16 v9, v9, v14
	v_add_co_u32_e32 v14, vcc, s47, v50
	v_addc_co_u32_e32 v31, vcc, v31, v51, vcc
	v_add_co_u32_e32 v14, vcc, v14, v29
	v_addc_co_u32_e32 v29, vcc, 0, v31, vcc
	;; [unrolled: 2-line block ×3, first 2 shown]
	v_mov_b32_e32 v14, s69
	v_cndmask_b32_e64 v47, v14, v29, s[76:77]
	v_mov_b32_e32 v29, s68
	v_cndmask_b32_e64 v46, v29, v31, s[76:77]
	flat_load_dwordx4 v[64:67], v[46:47]
	v_add_co_u32_e32 v31, vcc, s47, v52
	v_addc_co_u32_e32 v33, vcc, v33, v53, vcc
	v_add_co_u32_e32 v31, vcc, v31, v27
	v_addc_co_u32_e32 v33, vcc, 0, v33, vcc
	v_cndmask_b32_e64 v47, v14, v33, s[74:75]
	v_cndmask_b32_e64 v46, v29, v31, s[74:75]
	v_add_co_u32_e32 v31, vcc, s47, v54
	v_mov_b32_e32 v33, s46
	v_addc_co_u32_e32 v33, vcc, v33, v55, vcc
	v_add_co_u32_e32 v27, vcc, v31, v27
	v_addc_co_u32_e32 v31, vcc, 0, v33, vcc
	s_waitcnt vmcnt(0) lgkmcnt(0)
	ds_write_b128 v206, v[64:67]
	flat_load_dwordx4 v[64:67], v[46:47]
	v_cndmask_b32_e64 v47, v14, v31, s[72:73]
	v_cndmask_b32_e64 v46, v29, v27, s[72:73]
	s_waitcnt vmcnt(0) lgkmcnt(0)
	ds_write_b128 v207, v[64:67]
	flat_load_dwordx4 v[64:67], v[46:47]
	s_waitcnt vmcnt(0) lgkmcnt(0)
	ds_write_b128 v208, v[64:67]
	s_waitcnt lgkmcnt(0)
	s_barrier
	ds_read_u16 v14, v177 offset:480
	v_cvt_f32_f16_e32 v66, v10
	v_cvt_f32_f16_sdwa v67, v10 dst_sel:DWORD dst_unused:UNUSED_PAD src0_sel:WORD_1
	ds_read_u16 v10, v178
	ds_read_u16 v27, v178 offset:32
	v_cvt_f32_f16_e32 v64, v11
	v_cvt_f32_f16_sdwa v65, v11 dst_sel:DWORD dst_unused:UNUSED_PAD src0_sel:WORD_1
	s_waitcnt lgkmcnt(1)
	v_perm_b32 v11, v10, v14, s51
	ds_read_u16 v10, v176
	ds_read_u16 v14, v176 offset:32
	ds_read_u16 v29, v177 offset:240
	;; [unrolled: 1-line block ×7, first 2 shown]
	s_waitcnt lgkmcnt(5)
	v_perm_b32 v10, v29, v10, s51
	s_nop 1
	v_mfma_f32_16x16x16f16 v[64:67], v[10:11], v[8:9], v[64:67]
	s_nop 7
	s_nop 2
	v_cvt_f16_f32_e32 v10, v64
	v_cvt_f16_f32_e32 v11, v65
	;; [unrolled: 1-line block ×4, first 2 shown]
	v_cvt_f32_f16_e32 v64, v10
	v_cvt_f32_f16_e32 v65, v11
	s_waitcnt lgkmcnt(0)
	v_perm_b32 v11, v41, v39, s51
	v_perm_b32 v10, v37, v35, s51
	v_cvt_f32_f16_e32 v66, v29
	v_cvt_f32_f16_e32 v67, v33
	ds_read_u16 v35, v176 offset:7680
	ds_read_u16 v37, v177 offset:7920
	;; [unrolled: 1-line block ×4, first 2 shown]
	v_mfma_f32_16x16x16f16 v[64:67], v[10:11], v[6:7], v[64:67]
	s_nop 7
	s_nop 2
	v_cvt_f16_f32_e32 v10, v64
	v_cvt_f16_f32_e32 v11, v65
	;; [unrolled: 1-line block ×4, first 2 shown]
	v_cvt_f32_f16_e32 v64, v10
	v_cvt_f32_f16_e32 v65, v11
	s_waitcnt lgkmcnt(0)
	v_perm_b32 v11, v41, v39, s51
	v_perm_b32 v10, v37, v35, s51
	v_cvt_f32_f16_e32 v66, v29
	v_cvt_f32_f16_e32 v67, v33
	ds_read_u16 v35, v176 offset:11520
	ds_read_u16 v37, v177 offset:11760
	;; [unrolled: 1-line block ×4, first 2 shown]
	v_mfma_f32_16x16x16f16 v[64:67], v[10:11], v[4:5], v[64:67]
	s_nop 7
	s_nop 2
	v_cvt_f16_f32_e32 v10, v64
	v_cvt_f16_f32_e32 v11, v65
	;; [unrolled: 1-line block ×4, first 2 shown]
	v_cvt_f32_f16_e32 v64, v10
	v_cvt_f32_f16_e32 v65, v11
	s_waitcnt lgkmcnt(0)
	v_perm_b32 v11, v41, v39, s51
	v_perm_b32 v10, v37, v35, s51
	v_cvt_f32_f16_e32 v66, v29
	v_cvt_f32_f16_e32 v67, v33
	s_nop 1
	v_mfma_f32_16x16x16f16 v[64:67], v[10:11], v[2:3], v[64:67]
	s_nop 7
	s_nop 2
	v_cvt_f16_f32_e32 v10, v64
	v_cvt_f16_f32_e32 v11, v65
	;; [unrolled: 1-line block ×4, first 2 shown]
	v_cvt_f32_f16_e32 v64, v13
	v_pack_b32_f16 v10, v10, v11
	v_cvt_f32_f16_sdwa v65, v13 dst_sel:DWORD dst_unused:UNUSED_PAD src0_sel:WORD_1
	v_pack_b32_f16 v11, v29, v33
	ds_read_u16 v29, v182 offset:480
	v_cvt_f32_f16_e32 v66, v12
	v_cvt_f32_f16_sdwa v67, v12 dst_sel:DWORD dst_unused:UNUSED_PAD src0_sel:WORD_1
	v_perm_b32 v12, v31, v14, s51
	s_waitcnt lgkmcnt(0)
	v_perm_b32 v13, v27, v29, s51
	ds_read_u16 v29, v176 offset:3872
	ds_read_u16 v31, v177 offset:4112
	ds_read_u16 v33, v183 offset:480
	ds_read_u16 v35, v178 offset:3872
	v_mfma_f32_16x16x16f16 v[64:67], v[12:13], v[8:9], v[64:67]
	s_nop 7
	s_nop 2
	v_cvt_f16_f32_e32 v12, v64
	v_cvt_f16_f32_e32 v13, v65
	v_cvt_f16_f32_e32 v14, v66
	v_cvt_f16_f32_e32 v27, v67
	v_cvt_f32_f16_e32 v64, v12
	v_cvt_f32_f16_e32 v65, v13
	s_waitcnt lgkmcnt(0)
	v_perm_b32 v13, v35, v33, s51
	v_perm_b32 v12, v31, v29, s51
	v_cvt_f32_f16_e32 v66, v14
	v_cvt_f32_f16_e32 v67, v27
	ds_read_u16 v29, v176 offset:7712
	ds_read_u16 v31, v177 offset:7952
	ds_read_u16 v33, v184 offset:480
	ds_read_u16 v35, v178 offset:7712
	v_mfma_f32_16x16x16f16 v[64:67], v[12:13], v[6:7], v[64:67]
	s_nop 7
	s_nop 2
	v_cvt_f16_f32_e32 v12, v64
	v_cvt_f16_f32_e32 v13, v65
	v_cvt_f16_f32_e32 v14, v66
	v_cvt_f16_f32_e32 v27, v67
	v_cvt_f32_f16_e32 v64, v12
	v_cvt_f32_f16_e32 v65, v13
	s_waitcnt lgkmcnt(0)
	v_perm_b32 v13, v35, v33, s51
	v_perm_b32 v12, v31, v29, s51
	v_cvt_f32_f16_e32 v66, v14
	v_cvt_f32_f16_e32 v67, v27
	;; [unrolled: 18-line block ×3, first 2 shown]
	s_nop 1
	v_mfma_f32_16x16x16f16 v[64:67], v[12:13], v[2:3], v[64:67]
	s_nop 7
	s_nop 2
	v_cvt_f16_f32_e32 v12, v64
	v_cvt_f16_f32_e32 v13, v65
	v_cvt_f16_f32_e32 v14, v66
	v_cvt_f16_f32_e32 v27, v67
	v_cvt_f32_f16_e32 v66, v15
	v_pack_b32_f16 v12, v12, v13
	v_cvt_f32_f16_sdwa v67, v15 dst_sel:DWORD dst_unused:UNUSED_PAD src0_sel:WORD_1
	v_pack_b32_f16 v13, v14, v27
	ds_read_u16 v14, v176 offset:64
	ds_read_u16 v27, v177 offset:304
	;; [unrolled: 1-line block ×4, first 2 shown]
	v_cvt_f32_f16_e32 v64, v28
	v_cvt_f32_f16_sdwa v65, v28 dst_sel:DWORD dst_unused:UNUSED_PAD src0_sel:WORD_1
	s_waitcnt lgkmcnt(2)
	v_perm_b32 v14, v27, v14, s51
	s_waitcnt lgkmcnt(0)
	v_perm_b32 v15, v31, v29, s51
	ds_read_u16 v29, v176 offset:3904
	ds_read_u16 v31, v177 offset:4144
	ds_read_u16 v33, v187 offset:480
	ds_read_u16 v35, v178 offset:3904
	v_mfma_f32_16x16x16f16 v[64:67], v[14:15], v[8:9], v[64:67]
	s_nop 7
	s_nop 2
	v_cvt_f16_f32_e32 v14, v64
	v_cvt_f16_f32_e32 v15, v65
	v_cvt_f16_f32_e32 v27, v66
	v_cvt_f16_f32_e32 v28, v67
	v_cvt_f32_f16_e32 v64, v14
	v_cvt_f32_f16_e32 v65, v15
	s_waitcnt lgkmcnt(0)
	v_perm_b32 v15, v35, v33, s51
	v_perm_b32 v14, v31, v29, s51
	v_cvt_f32_f16_e32 v66, v27
	v_cvt_f32_f16_e32 v67, v28
	ds_read_u16 v29, v176 offset:7744
	ds_read_u16 v31, v177 offset:7984
	ds_read_u16 v33, v188 offset:480
	ds_read_u16 v35, v178 offset:7744
	v_mfma_f32_16x16x16f16 v[64:67], v[14:15], v[6:7], v[64:67]
	s_nop 7
	s_nop 2
	v_cvt_f16_f32_e32 v14, v64
	v_cvt_f16_f32_e32 v15, v65
	v_cvt_f16_f32_e32 v27, v66
	v_cvt_f16_f32_e32 v28, v67
	v_cvt_f32_f16_e32 v64, v14
	v_cvt_f32_f16_e32 v65, v15
	s_waitcnt lgkmcnt(0)
	v_perm_b32 v15, v35, v33, s51
	v_perm_b32 v14, v31, v29, s51
	v_cvt_f32_f16_e32 v66, v27
	v_cvt_f32_f16_e32 v67, v28
	;; [unrolled: 18-line block ×3, first 2 shown]
	s_nop 1
	v_mfma_f32_16x16x16f16 v[64:67], v[14:15], v[2:3], v[64:67]
	s_nop 7
	s_nop 2
	v_cvt_f16_f32_e32 v14, v64
	v_cvt_f16_f32_e32 v15, v65
	;; [unrolled: 1-line block ×4, first 2 shown]
	v_cvt_f32_f16_e32 v64, v17
	v_pack_b32_f16 v14, v14, v15
	v_cvt_f32_f16_sdwa v65, v17 dst_sel:DWORD dst_unused:UNUSED_PAD src0_sel:WORD_1
	v_pack_b32_f16 v15, v27, v28
	ds_read_u16 v27, v176 offset:96
	ds_read_u16 v28, v177 offset:336
	;; [unrolled: 1-line block ×4, first 2 shown]
	v_cvt_f32_f16_e32 v66, v16
	v_cvt_f32_f16_sdwa v67, v16 dst_sel:DWORD dst_unused:UNUSED_PAD src0_sel:WORD_1
	s_waitcnt lgkmcnt(2)
	v_perm_b32 v16, v28, v27, s51
	s_waitcnt lgkmcnt(0)
	v_perm_b32 v17, v31, v29, s51
	ds_read_u16 v29, v176 offset:3936
	ds_read_u16 v31, v177 offset:4176
	ds_read_u16 v33, v191 offset:480
	ds_read_u16 v35, v178 offset:3936
	v_mfma_f32_16x16x16f16 v[64:67], v[16:17], v[8:9], v[64:67]
	s_nop 7
	s_nop 2
	v_cvt_f16_f32_e32 v16, v64
	v_cvt_f16_f32_e32 v17, v65
	v_cvt_f16_f32_e32 v27, v66
	v_cvt_f16_f32_e32 v28, v67
	v_cvt_f32_f16_e32 v64, v16
	v_cvt_f32_f16_e32 v65, v17
	s_waitcnt lgkmcnt(0)
	v_perm_b32 v17, v35, v33, s51
	v_perm_b32 v16, v31, v29, s51
	v_cvt_f32_f16_e32 v66, v27
	v_cvt_f32_f16_e32 v67, v28
	ds_read_u16 v29, v176 offset:7776
	ds_read_u16 v31, v177 offset:8016
	ds_read_u16 v33, v192 offset:480
	ds_read_u16 v35, v178 offset:7776
	v_mfma_f32_16x16x16f16 v[64:67], v[16:17], v[6:7], v[64:67]
	s_nop 7
	s_nop 2
	v_cvt_f16_f32_e32 v16, v64
	v_cvt_f16_f32_e32 v17, v65
	v_cvt_f16_f32_e32 v27, v66
	v_cvt_f16_f32_e32 v28, v67
	v_cvt_f32_f16_e32 v64, v16
	v_cvt_f32_f16_e32 v65, v17
	s_waitcnt lgkmcnt(0)
	v_perm_b32 v17, v35, v33, s51
	v_perm_b32 v16, v31, v29, s51
	v_cvt_f32_f16_e32 v66, v27
	v_cvt_f32_f16_e32 v67, v28
	;; [unrolled: 18-line block ×3, first 2 shown]
	s_nop 1
	v_mfma_f32_16x16x16f16 v[64:67], v[16:17], v[2:3], v[64:67]
	s_nop 7
	s_nop 2
	v_cvt_f16_f32_e32 v16, v64
	v_cvt_f16_f32_e32 v17, v65
	;; [unrolled: 1-line block ×4, first 2 shown]
	v_cvt_f32_f16_e32 v64, v21
	v_pack_b32_f16 v16, v16, v17
	v_cvt_f32_f16_sdwa v65, v21 dst_sel:DWORD dst_unused:UNUSED_PAD src0_sel:WORD_1
	v_pack_b32_f16 v17, v27, v28
	ds_read_u16 v27, v176 offset:128
	ds_read_u16 v28, v177 offset:368
	;; [unrolled: 1-line block ×4, first 2 shown]
	v_cvt_f32_f16_e32 v66, v20
	v_cvt_f32_f16_sdwa v67, v20 dst_sel:DWORD dst_unused:UNUSED_PAD src0_sel:WORD_1
	s_waitcnt lgkmcnt(2)
	v_perm_b32 v20, v28, v27, s51
	s_waitcnt lgkmcnt(0)
	v_perm_b32 v21, v31, v29, s51
	ds_read_u16 v29, v176 offset:3968
	ds_read_u16 v31, v177 offset:4208
	ds_read_u16 v33, v195 offset:480
	ds_read_u16 v35, v178 offset:3968
	v_mfma_f32_16x16x16f16 v[64:67], v[20:21], v[8:9], v[64:67]
	s_nop 7
	s_nop 2
	v_cvt_f16_f32_e32 v20, v64
	v_cvt_f16_f32_e32 v21, v65
	v_cvt_f16_f32_e32 v27, v66
	v_cvt_f16_f32_e32 v28, v67
	v_cvt_f32_f16_e32 v64, v20
	v_cvt_f32_f16_e32 v65, v21
	s_waitcnt lgkmcnt(0)
	v_perm_b32 v21, v35, v33, s51
	v_perm_b32 v20, v31, v29, s51
	v_cvt_f32_f16_e32 v66, v27
	v_cvt_f32_f16_e32 v67, v28
	ds_read_u16 v29, v176 offset:7808
	ds_read_u16 v31, v177 offset:8048
	ds_read_u16 v33, v196 offset:480
	ds_read_u16 v35, v178 offset:7808
	v_mfma_f32_16x16x16f16 v[64:67], v[20:21], v[6:7], v[64:67]
	s_nop 7
	s_nop 2
	v_cvt_f16_f32_e32 v20, v64
	v_cvt_f16_f32_e32 v21, v65
	v_cvt_f16_f32_e32 v27, v66
	v_cvt_f16_f32_e32 v28, v67
	v_cvt_f32_f16_e32 v64, v20
	v_cvt_f32_f16_e32 v65, v21
	s_waitcnt lgkmcnt(0)
	v_perm_b32 v21, v35, v33, s51
	v_perm_b32 v20, v31, v29, s51
	v_cvt_f32_f16_e32 v66, v27
	v_cvt_f32_f16_e32 v67, v28
	;; [unrolled: 18-line block ×3, first 2 shown]
	s_nop 1
	v_mfma_f32_16x16x16f16 v[64:67], v[20:21], v[2:3], v[64:67]
	s_nop 7
	s_nop 2
	v_cvt_f16_f32_e32 v20, v64
	v_cvt_f16_f32_e32 v21, v65
	;; [unrolled: 1-line block ×4, first 2 shown]
	v_cvt_f32_f16_e32 v64, v23
	v_pack_b32_f16 v20, v20, v21
	v_cvt_f32_f16_sdwa v65, v23 dst_sel:DWORD dst_unused:UNUSED_PAD src0_sel:WORD_1
	v_pack_b32_f16 v21, v27, v28
	ds_read_u16 v27, v176 offset:160
	ds_read_u16 v28, v177 offset:400
	;; [unrolled: 1-line block ×4, first 2 shown]
	v_cvt_f32_f16_e32 v66, v22
	v_cvt_f32_f16_sdwa v67, v22 dst_sel:DWORD dst_unused:UNUSED_PAD src0_sel:WORD_1
	s_waitcnt lgkmcnt(2)
	v_perm_b32 v22, v28, v27, s51
	s_waitcnt lgkmcnt(0)
	v_perm_b32 v23, v31, v29, s51
	ds_read_u16 v29, v176 offset:4000
	ds_read_u16 v31, v177 offset:4240
	ds_read_u16 v33, v199 offset:480
	ds_read_u16 v35, v178 offset:4000
	v_mfma_f32_16x16x16f16 v[64:67], v[22:23], v[8:9], v[64:67]
	s_nop 7
	s_nop 2
	v_cvt_f16_f32_e32 v22, v64
	v_cvt_f16_f32_e32 v23, v65
	v_cvt_f16_f32_e32 v27, v66
	v_cvt_f16_f32_e32 v28, v67
	v_cvt_f32_f16_e32 v64, v22
	v_cvt_f32_f16_e32 v65, v23
	s_waitcnt lgkmcnt(0)
	v_perm_b32 v23, v35, v33, s51
	v_perm_b32 v22, v31, v29, s51
	v_cvt_f32_f16_e32 v66, v27
	v_cvt_f32_f16_e32 v67, v28
	ds_read_u16 v29, v176 offset:7840
	ds_read_u16 v31, v177 offset:8080
	ds_read_u16 v33, v200 offset:480
	ds_read_u16 v35, v178 offset:7840
	v_mfma_f32_16x16x16f16 v[64:67], v[22:23], v[6:7], v[64:67]
	s_nop 7
	s_nop 2
	v_cvt_f16_f32_e32 v22, v64
	v_cvt_f16_f32_e32 v23, v65
	v_cvt_f16_f32_e32 v27, v66
	v_cvt_f16_f32_e32 v28, v67
	v_cvt_f32_f16_e32 v64, v22
	v_cvt_f32_f16_e32 v65, v23
	s_waitcnt lgkmcnt(0)
	v_perm_b32 v23, v35, v33, s51
	v_perm_b32 v22, v31, v29, s51
	v_cvt_f32_f16_e32 v66, v27
	v_cvt_f32_f16_e32 v67, v28
	;; [unrolled: 18-line block ×3, first 2 shown]
	s_nop 1
	v_mfma_f32_16x16x16f16 v[64:67], v[22:23], v[2:3], v[64:67]
	s_nop 7
	s_nop 2
	v_cvt_f16_f32_e32 v22, v64
	v_cvt_f16_f32_e32 v23, v65
	;; [unrolled: 1-line block ×4, first 2 shown]
	v_cvt_f32_f16_e32 v64, v26
	v_pack_b32_f16 v22, v22, v23
	v_cvt_f32_f16_sdwa v65, v26 dst_sel:DWORD dst_unused:UNUSED_PAD src0_sel:WORD_1
	v_pack_b32_f16 v23, v27, v28
	ds_read_u16 v28, v176 offset:192
	ds_read_u16 v29, v177 offset:432
	;; [unrolled: 1-line block ×4, first 2 shown]
	v_cvt_f32_f16_e32 v66, v25
	v_cvt_f32_f16_sdwa v67, v25 dst_sel:DWORD dst_unused:UNUSED_PAD src0_sel:WORD_1
	s_waitcnt lgkmcnt(2)
	v_perm_b32 v26, v29, v28, s51
	s_waitcnt lgkmcnt(0)
	v_perm_b32 v27, v31, v27, s51
	ds_read_u16 v31, v176 offset:4032
	ds_read_u16 v33, v177 offset:4272
	;; [unrolled: 1-line block ×4, first 2 shown]
	v_mfma_f32_16x16x16f16 v[26:29], v[26:27], v[8:9], v[64:67]
	s_nop 7
	s_nop 2
	v_cvt_f16_f32_e32 v8, v26
	v_cvt_f16_f32_e32 v9, v27
	v_cvt_f16_f32_e32 v25, v28
	v_cvt_f16_f32_e32 v29, v29
	v_cvt_f32_f16_e32 v26, v8
	v_cvt_f32_f16_e32 v27, v9
	s_waitcnt lgkmcnt(0)
	v_perm_b32 v9, v37, v35, s51
	v_perm_b32 v8, v33, v31, s51
	v_cvt_f32_f16_e32 v28, v25
	v_cvt_f32_f16_e32 v29, v29
	s_nop 1
	v_mfma_f32_16x16x16f16 v[6:9], v[8:9], v[6:7], v[26:29]
	ds_read_u16 v25, v176 offset:7872
	s_nop 5
	ds_read_u16 v26, v177 offset:8112
	ds_read_u16 v27, v204 offset:480
	;; [unrolled: 1-line block ×3, first 2 shown]
	s_waitcnt lgkmcnt(2)
	v_perm_b32 v26, v26, v25, s51
	s_waitcnt lgkmcnt(0)
	v_perm_b32 v27, v28, v27, s51
	v_cvt_f16_f32_e32 v6, v6
	v_cvt_f16_f32_e32 v7, v7
	;; [unrolled: 1-line block ×4, first 2 shown]
	v_cvt_f32_f16_e32 v6, v6
	v_cvt_f32_f16_e32 v7, v7
	;; [unrolled: 1-line block ×4, first 2 shown]
	s_nop 1
	v_mfma_f32_16x16x16f16 v[6:9], v[26:27], v[4:5], v[6:9]
	s_nop 7
	s_nop 2
	v_cvt_f16_f32_e32 v5, v6
	v_cvt_f16_f32_e32 v6, v7
	;; [unrolled: 1-line block ×4, first 2 shown]
	ds_read_u16 v4, v176 offset:11712
	ds_read_u16 v9, v177 offset:11952
	;; [unrolled: 1-line block ×4, first 2 shown]
	v_cvt_f32_f16_e32 v64, v5
	v_cvt_f32_f16_e32 v65, v6
	s_waitcnt lgkmcnt(2)
	v_perm_b32 v4, v9, v4, s51
	v_cvt_f32_f16_e32 v66, v7
	s_waitcnt lgkmcnt(0)
	v_perm_b32 v5, v26, v25, s51
	v_cvt_f32_f16_e32 v67, v8
	s_barrier
	s_nop 0
	v_mfma_f32_16x16x16f16 v[2:5], v[4:5], v[2:3], v[64:67]
	s_nop 7
	s_nop 2
	v_cvt_f16_f32_e32 v2, v2
	v_cvt_f16_f32_e32 v3, v3
	;; [unrolled: 1-line block ×4, first 2 shown]
	v_pack_b32_f16 v2, v2, v3
	v_pack_b32_f16 v3, v4, v5
	ds_bpermute_b32 v4, v19, v24
	s_waitcnt lgkmcnt(0)
	v_add_f32_e32 v4, v24, v4
	ds_bpermute_b32 v1, v1, v4
	s_waitcnt lgkmcnt(0)
	v_add_f32_e32 v19, v4, v1
	s_cbranch_scc0 .LBB19_297
; %bb.296:                              ;   in Loop: Header=BB19_13 Depth=1
	global_load_dword v1, v122, s[42:43]
	v_max_f32_e32 v4, v18, v18
	s_mov_b64 s[42:43], 0
	s_waitcnt vmcnt(0)
	v_max_f32_e32 v5, v1, v1
	v_max_f32_e32 v4, v4, v5
	v_sub_f32_e32 v5, v18, v4
	v_sub_f32_e32 v1, v1, v4
	v_mul_f32_e32 v6, 0x3fb8aa3b, v5
	v_mul_f32_e32 v7, 0x3fb8aa3b, v1
	v_fma_f32 v8, v5, s48, -v6
	v_rndne_f32_e32 v9, v6
	v_fma_f32 v24, v1, s48, -v7
	v_rndne_f32_e32 v25, v7
	v_fmac_f32_e32 v8, 0x32a5705f, v5
	v_sub_f32_e32 v6, v6, v9
	v_fmac_f32_e32 v24, 0x32a5705f, v1
	v_sub_f32_e32 v7, v7, v25
	v_add_f32_e32 v6, v6, v8
	v_cvt_i32_f32_e32 v9, v9
	v_add_f32_e32 v7, v7, v24
	v_exp_f32_e32 v6, v6
	v_cvt_i32_f32_e32 v25, v25
	v_exp_f32_e32 v7, v7
	v_cmp_ngt_f32_e32 vcc, s50, v5
	v_ldexp_f32 v6, v6, v9
	v_cndmask_b32_e32 v6, 0, v6, vcc
	v_ldexp_f32 v7, v7, v25
	v_cmp_ngt_f32_e32 vcc, s50, v1
	v_cndmask_b32_e32 v7, 0, v7, vcc
	v_cmp_nlt_f32_e32 vcc, s49, v5
	v_cndmask_b32_e32 v6, v45, v6, vcc
	v_cmp_le_f32_e32 vcc, s88, v5
	v_cndmask_b32_e32 v6, 0, v6, vcc
	v_cvt_f16_f32_e32 v31, v6
	v_cmp_nlt_f32_e32 vcc, s49, v1
	v_cndmask_b32_e32 v5, v45, v7, vcc
	v_fmac_f32_e32 v5, v19, v6
	v_pk_mul_f16 v6, v31, v10 op_sel_hi:[0,1]
	v_pk_mul_f16 v7, v31, v11 op_sel_hi:[0,1]
	;; [unrolled: 1-line block ×14, first 2 shown]
	s_branch .LBB19_298
.LBB19_297:                             ;   in Loop: Header=BB19_13 Depth=1
	s_mov_b64 s[42:43], -1
                                        ; implicit-def: $vgpr4_vgpr5
                                        ; implicit-def: $vgpr66_vgpr67
                                        ; implicit-def: $vgpr6_vgpr7
                                        ; implicit-def: $vgpr8_vgpr9
                                        ; implicit-def: $vgpr24_vgpr25
                                        ; implicit-def: $vgpr26_vgpr27
                                        ; implicit-def: $vgpr28_vgpr29
                                        ; implicit-def: $vgpr64_vgpr65
.LBB19_298:                             ;   in Loop: Header=BB19_13 Depth=1
	v_readlane_b32 s61, v254, 23
	v_readlane_b32 s62, v254, 24
	s_andn2_b64 vcc, exec, s[42:43]
	s_cbranch_vccnz .LBB19_300
; %bb.299:                              ;   in Loop: Header=BB19_13 Depth=1
	v_pk_mov_b32 v[64:65], v[22:23], v[22:23] op_sel:[0,1]
	v_pk_mov_b32 v[28:29], v[20:21], v[20:21] op_sel:[0,1]
	;; [unrolled: 1-line block ×8, first 2 shown]
.LBB19_300:                             ;   in Loop: Header=BB19_13 Depth=1
	s_mov_b64 s[42:43], exec
	v_readlane_b32 s44, v254, 8
	v_readlane_b32 s45, v254, 9
	s_and_b64 s[44:45], s[42:43], s[44:45]
	s_mov_b64 exec, s[44:45]
	s_cbranch_execz .LBB19_302
; %bb.301:                              ;   in Loop: Header=BB19_13 Depth=1
	buffer_load_dword v1, off, s[0:3], 0 offset:108 ; 4-byte Folded Reload
	s_waitcnt vmcnt(0)
	ds_write2_b32 v1, v4, v5 offset0:56 offset1:57
.LBB19_302:                             ;   in Loop: Header=BB19_13 Depth=1
	s_or_b64 exec, exec, s[42:43]
	v_mov_b32_e32 v1, 50
	s_waitcnt lgkmcnt(0)
	s_barrier
	ds_write2_b32 v126, v6, v7 offset1:1
	ds_write2_b32 v126, v8, v9 offset0:8 offset1:9
	ds_write2_b32 v126, v24, v25 offset0:16 offset1:17
	;; [unrolled: 1-line block ×6, first 2 shown]
	s_waitcnt lgkmcnt(0)
	s_barrier
	s_mov_b64 s[42:43], exec
	v_readlane_b32 s44, v254, 43
	v_readlane_b32 s45, v254, 44
	s_and_b64 s[44:45], s[42:43], s[44:45]
	s_mov_b64 exec, s[44:45]
	s_cbranch_execz .LBB19_304
; %bb.303:                              ;   in Loop: Header=BB19_13 Depth=1
	buffer_load_dword v1, off, s[0:3], 0 offset:20 ; 4-byte Folded Reload
	v_readlane_b32 s44, v254, 10
	v_mad_u64_u32 v[2:3], s[44:45], v248, s44, v[32:33]
	v_ashrrev_i32_e32 v3, 31, v2
	v_lshlrev_b64 v[2:3], 3, v[2:3]
	v_readlane_b32 s44, v254, 28
	v_add_co_u32_e32 v2, vcc, s44, v2
	v_readlane_b32 s44, v254, 29
	v_mov_b32_e32 v5, s44
	v_addc_co_u32_e32 v3, vcc, v5, v3, vcc
	s_waitcnt vmcnt(0)
	ds_read_b32 v1, v1 offset:228
	ds_read_b32 v4, v217
	s_waitcnt lgkmcnt(0)
	v_cvt_f32_f16_sdwa v5, v4 dst_sel:DWORD dst_unused:UNUSED_PAD src0_sel:WORD_1
	v_cvt_f32_f16_e32 v4, v4
	v_pk_add_f32 v[4:5], v[4:5], 0 op_sel_hi:[1,0]
	v_div_scale_f32 v6, s[44:45], v1, v1, v5
	v_rcp_f32_e32 v7, v6
	v_fma_f32 v8, -v6, v7, 1.0
	v_fmac_f32_e32 v7, v8, v7
	v_div_scale_f32 v8, vcc, v5, v1, v5
	v_mul_f32_e32 v9, v8, v7
	v_fma_f32 v10, -v6, v9, v8
	v_fmac_f32_e32 v9, v10, v7
	v_fma_f32 v6, -v6, v9, v8
	v_div_fmas_f32 v6, v6, v7, v9
	v_div_fixup_f32 v5, v6, v1, v5
	v_div_scale_f32 v6, s[44:45], v1, v1, v4
	v_rcp_f32_e32 v7, v6
	v_fma_f32 v8, -v6, v7, 1.0
	v_fmac_f32_e32 v7, v8, v7
	v_div_scale_f32 v8, vcc, v4, v1, v4
	v_mul_f32_e32 v9, v8, v7
	v_fma_f32 v10, -v6, v9, v8
	v_fmac_f32_e32 v9, v10, v7
	v_fma_f32 v6, -v6, v9, v8
	v_div_fmas_f32 v6, v6, v7, v9
	v_div_fixup_f32 v4, v6, v1, v4
	v_mov_b32_e32 v1, 0
	global_store_dwordx2 v[2:3], v[4:5], off
.LBB19_304:                             ;   in Loop: Header=BB19_13 Depth=1
	s_or_b64 exec, exec, s[42:43]
	v_cmp_gt_i32_e32 vcc, 50, v1
	s_mov_b64 s[44:45], -1
	s_and_saveexec_b64 s[42:43], vcc
; %bb.305:                              ;   in Loop: Header=BB19_13 Depth=1
	v_cmp_eq_u32_e32 vcc, 0, v1
	s_orn2_b64 s[44:45], vcc, exec
; %bb.306:                              ;   in Loop: Header=BB19_13 Depth=1
	s_or_b64 exec, exec, s[42:43]
	s_and_saveexec_b64 s[42:43], s[44:45]
	s_cbranch_execz .LBB19_339
; %bb.307:                              ;   in Loop: Header=BB19_13 Depth=1
	v_mov_b32_e32 v1, 50
	s_mov_b64 s[44:45], exec
	v_readlane_b32 s46, v254, 45
	v_readlane_b32 s47, v254, 46
	s_and_b64 s[46:47], s[44:45], s[46:47]
	s_mov_b64 exec, s[46:47]
	s_cbranch_execz .LBB19_309
; %bb.308:                              ;   in Loop: Header=BB19_13 Depth=1
	buffer_load_dword v1, off, s[0:3], 0 offset:20 ; 4-byte Folded Reload
	v_readlane_b32 s46, v254, 10
	v_mad_u64_u32 v[2:3], s[46:47], v247, s46, v[32:33]
	v_ashrrev_i32_e32 v3, 31, v2
	v_lshlrev_b64 v[2:3], 3, v[2:3]
	v_readlane_b32 s46, v254, 28
	v_add_co_u32_e32 v2, vcc, s46, v2
	v_readlane_b32 s46, v254, 29
	v_mov_b32_e32 v5, s46
	v_addc_co_u32_e32 v3, vcc, v5, v3, vcc
	s_waitcnt vmcnt(0)
	ds_read_b32 v1, v1 offset:2148
	ds_read_b32 v4, v217 offset:1920
	s_waitcnt lgkmcnt(0)
	v_cvt_f32_f16_sdwa v5, v4 dst_sel:DWORD dst_unused:UNUSED_PAD src0_sel:WORD_1
	v_cvt_f32_f16_e32 v4, v4
	v_pk_add_f32 v[4:5], v[4:5], 0 op_sel_hi:[1,0]
	v_div_scale_f32 v6, s[46:47], v1, v1, v5
	v_rcp_f32_e32 v7, v6
	v_fma_f32 v8, -v6, v7, 1.0
	v_fmac_f32_e32 v7, v8, v7
	v_div_scale_f32 v8, vcc, v5, v1, v5
	v_mul_f32_e32 v9, v8, v7
	v_fma_f32 v10, -v6, v9, v8
	v_fmac_f32_e32 v9, v10, v7
	v_fma_f32 v6, -v6, v9, v8
	v_div_fmas_f32 v6, v6, v7, v9
	v_div_fixup_f32 v5, v6, v1, v5
	v_div_scale_f32 v6, s[46:47], v1, v1, v4
	v_rcp_f32_e32 v7, v6
	v_fma_f32 v8, -v6, v7, 1.0
	v_fmac_f32_e32 v7, v8, v7
	v_div_scale_f32 v8, vcc, v4, v1, v4
	v_mul_f32_e32 v9, v8, v7
	v_fma_f32 v10, -v6, v9, v8
	v_fmac_f32_e32 v9, v10, v7
	v_fma_f32 v6, -v6, v9, v8
	v_div_fmas_f32 v6, v6, v7, v9
	v_div_fixup_f32 v4, v6, v1, v4
	v_mov_b32_e32 v1, 0
	global_store_dwordx2 v[2:3], v[4:5], off
.LBB19_309:                             ;   in Loop: Header=BB19_13 Depth=1
	s_or_b64 exec, exec, s[44:45]
	v_cmp_gt_i32_e32 vcc, 50, v1
	s_mov_b64 s[44:45], -1
	s_and_saveexec_b64 s[46:47], vcc
; %bb.310:                              ;   in Loop: Header=BB19_13 Depth=1
	v_cmp_eq_u32_e32 vcc, 0, v1
	s_orn2_b64 s[44:45], vcc, exec
; %bb.311:                              ;   in Loop: Header=BB19_13 Depth=1
	s_or_b64 exec, exec, s[46:47]
	s_and_b64 exec, exec, s[44:45]
	s_cbranch_execz .LBB19_339
; %bb.312:                              ;   in Loop: Header=BB19_13 Depth=1
	v_mov_b32_e32 v1, 50
	s_mov_b64 s[44:45], exec
	v_readlane_b32 s46, v254, 47
	v_readlane_b32 s47, v254, 48
	s_and_b64 s[46:47], s[44:45], s[46:47]
	s_mov_b64 exec, s[46:47]
	s_cbranch_execz .LBB19_314
; %bb.313:                              ;   in Loop: Header=BB19_13 Depth=1
	buffer_load_dword v1, off, s[0:3], 0 offset:136 ; 4-byte Folded Reload
	buffer_load_dword v2, off, s[0:3], 0 offset:112 ; 4-byte Folded Reload
	v_readlane_b32 s46, v254, 10
	s_waitcnt vmcnt(1)
	ds_read_b32 v1, v1 offset:228
	s_waitcnt vmcnt(0)
	ds_read_b32 v4, v2
	v_mad_u64_u32 v[2:3], s[46:47], v241, s46, v[32:33]
	v_ashrrev_i32_e32 v3, 31, v2
	v_lshlrev_b64 v[2:3], 3, v[2:3]
	v_readlane_b32 s46, v254, 28
	v_add_co_u32_e32 v2, vcc, s46, v2
	v_readlane_b32 s46, v254, 29
	v_mov_b32_e32 v5, s46
	v_addc_co_u32_e32 v3, vcc, v5, v3, vcc
	s_waitcnt lgkmcnt(0)
	v_cvt_f32_f16_sdwa v5, v4 dst_sel:DWORD dst_unused:UNUSED_PAD src0_sel:WORD_1
	v_cvt_f32_f16_e32 v4, v4
	v_pk_add_f32 v[4:5], v[4:5], 0 op_sel_hi:[1,0]
	v_div_scale_f32 v6, s[46:47], v1, v1, v5
	v_rcp_f32_e32 v7, v6
	v_fma_f32 v8, -v6, v7, 1.0
	v_fmac_f32_e32 v7, v8, v7
	v_div_scale_f32 v8, vcc, v5, v1, v5
	v_mul_f32_e32 v9, v8, v7
	v_fma_f32 v10, -v6, v9, v8
	v_fmac_f32_e32 v9, v10, v7
	v_fma_f32 v6, -v6, v9, v8
	v_div_fmas_f32 v6, v6, v7, v9
	v_div_fixup_f32 v5, v6, v1, v5
	v_div_scale_f32 v6, s[46:47], v1, v1, v4
	v_rcp_f32_e32 v7, v6
	v_fma_f32 v8, -v6, v7, 1.0
	v_fmac_f32_e32 v7, v8, v7
	v_div_scale_f32 v8, vcc, v4, v1, v4
	v_mul_f32_e32 v9, v8, v7
	v_fma_f32 v10, -v6, v9, v8
	v_fmac_f32_e32 v9, v10, v7
	v_fma_f32 v6, -v6, v9, v8
	v_div_fmas_f32 v6, v6, v7, v9
	v_div_fixup_f32 v4, v6, v1, v4
	v_mov_b32_e32 v1, 0
	global_store_dwordx2 v[2:3], v[4:5], off
.LBB19_314:                             ;   in Loop: Header=BB19_13 Depth=1
	s_or_b64 exec, exec, s[44:45]
	v_cmp_gt_i32_e32 vcc, 50, v1
	s_mov_b64 s[44:45], -1
	s_and_saveexec_b64 s[46:47], vcc
; %bb.315:                              ;   in Loop: Header=BB19_13 Depth=1
	v_cmp_eq_u32_e32 vcc, 0, v1
	s_orn2_b64 s[44:45], vcc, exec
; %bb.316:                              ;   in Loop: Header=BB19_13 Depth=1
	s_or_b64 exec, exec, s[46:47]
	s_and_b64 exec, exec, s[44:45]
	s_cbranch_execz .LBB19_339
; %bb.317:                              ;   in Loop: Header=BB19_13 Depth=1
	v_mov_b32_e32 v1, 50
	s_mov_b64 s[44:45], exec
	v_readlane_b32 s46, v254, 49
	v_readlane_b32 s47, v254, 50
	s_and_b64 s[46:47], s[44:45], s[46:47]
	s_mov_b64 exec, s[46:47]
	s_cbranch_execz .LBB19_319
; %bb.318:                              ;   in Loop: Header=BB19_13 Depth=1
	buffer_load_dword v1, off, s[0:3], 0 offset:20 ; 4-byte Folded Reload
	v_readlane_b32 s46, v254, 10
	v_mad_u64_u32 v[2:3], s[46:47], v235, s46, v[32:33]
	v_ashrrev_i32_e32 v3, 31, v2
	v_lshlrev_b64 v[2:3], 3, v[2:3]
	v_readlane_b32 s46, v254, 28
	v_add_co_u32_e32 v2, vcc, s46, v2
	v_readlane_b32 s46, v254, 29
	v_mov_b32_e32 v5, s46
	v_addc_co_u32_e32 v3, vcc, v5, v3, vcc
	s_waitcnt vmcnt(0)
	ds_read_b32 v1, v1 offset:5988
	ds_read_b32 v4, v217 offset:5760
	s_waitcnt lgkmcnt(0)
	v_cvt_f32_f16_sdwa v5, v4 dst_sel:DWORD dst_unused:UNUSED_PAD src0_sel:WORD_1
	v_cvt_f32_f16_e32 v4, v4
	v_pk_add_f32 v[4:5], v[4:5], 0 op_sel_hi:[1,0]
	v_div_scale_f32 v6, s[46:47], v1, v1, v5
	v_rcp_f32_e32 v7, v6
	v_fma_f32 v8, -v6, v7, 1.0
	v_fmac_f32_e32 v7, v8, v7
	v_div_scale_f32 v8, vcc, v5, v1, v5
	v_mul_f32_e32 v9, v8, v7
	v_fma_f32 v10, -v6, v9, v8
	v_fmac_f32_e32 v9, v10, v7
	v_fma_f32 v6, -v6, v9, v8
	v_div_fmas_f32 v6, v6, v7, v9
	v_div_fixup_f32 v5, v6, v1, v5
	v_div_scale_f32 v6, s[46:47], v1, v1, v4
	v_rcp_f32_e32 v7, v6
	v_fma_f32 v8, -v6, v7, 1.0
	v_fmac_f32_e32 v7, v8, v7
	v_div_scale_f32 v8, vcc, v4, v1, v4
	v_mul_f32_e32 v9, v8, v7
	v_fma_f32 v10, -v6, v9, v8
	v_fmac_f32_e32 v9, v10, v7
	v_fma_f32 v6, -v6, v9, v8
	v_div_fmas_f32 v6, v6, v7, v9
	v_div_fixup_f32 v4, v6, v1, v4
	v_mov_b32_e32 v1, 0
	global_store_dwordx2 v[2:3], v[4:5], off
.LBB19_319:                             ;   in Loop: Header=BB19_13 Depth=1
	s_or_b64 exec, exec, s[44:45]
	v_cmp_gt_i32_e32 vcc, 50, v1
	s_mov_b64 s[44:45], -1
	s_and_saveexec_b64 s[46:47], vcc
; %bb.320:                              ;   in Loop: Header=BB19_13 Depth=1
	v_cmp_eq_u32_e32 vcc, 0, v1
	s_orn2_b64 s[44:45], vcc, exec
; %bb.321:                              ;   in Loop: Header=BB19_13 Depth=1
	s_or_b64 exec, exec, s[46:47]
	s_and_b64 exec, exec, s[44:45]
	s_cbranch_execz .LBB19_339
; %bb.322:                              ;   in Loop: Header=BB19_13 Depth=1
	v_mov_b32_e32 v1, 50
	s_mov_b64 s[44:45], exec
	v_readlane_b32 s46, v254, 51
	v_readlane_b32 s47, v254, 52
	s_and_b64 s[46:47], s[44:45], s[46:47]
	s_mov_b64 exec, s[46:47]
	s_cbranch_execz .LBB19_324
; %bb.323:                              ;   in Loop: Header=BB19_13 Depth=1
	buffer_load_dword v1, off, s[0:3], 0 offset:152 ; 4-byte Folded Reload
	buffer_load_dword v2, off, s[0:3], 0 offset:144 ; 4-byte Folded Reload
	v_readlane_b32 s46, v254, 10
	s_waitcnt vmcnt(1)
	ds_read_b32 v1, v1 offset:228
	s_waitcnt vmcnt(0)
	ds_read_b32 v4, v2
	v_mad_u64_u32 v[2:3], s[46:47], v237, s46, v[32:33]
	v_ashrrev_i32_e32 v3, 31, v2
	v_lshlrev_b64 v[2:3], 3, v[2:3]
	v_readlane_b32 s46, v254, 28
	v_add_co_u32_e32 v2, vcc, s46, v2
	v_readlane_b32 s46, v254, 29
	v_mov_b32_e32 v5, s46
	v_addc_co_u32_e32 v3, vcc, v5, v3, vcc
	s_waitcnt lgkmcnt(0)
	v_cvt_f32_f16_sdwa v5, v4 dst_sel:DWORD dst_unused:UNUSED_PAD src0_sel:WORD_1
	v_cvt_f32_f16_e32 v4, v4
	v_pk_add_f32 v[4:5], v[4:5], 0 op_sel_hi:[1,0]
	v_div_scale_f32 v6, s[46:47], v1, v1, v5
	v_rcp_f32_e32 v7, v6
	v_fma_f32 v8, -v6, v7, 1.0
	v_fmac_f32_e32 v7, v8, v7
	v_div_scale_f32 v8, vcc, v5, v1, v5
	v_mul_f32_e32 v9, v8, v7
	v_fma_f32 v10, -v6, v9, v8
	v_fmac_f32_e32 v9, v10, v7
	v_fma_f32 v6, -v6, v9, v8
	v_div_fmas_f32 v6, v6, v7, v9
	v_div_fixup_f32 v5, v6, v1, v5
	v_div_scale_f32 v6, s[46:47], v1, v1, v4
	v_rcp_f32_e32 v7, v6
	v_fma_f32 v8, -v6, v7, 1.0
	v_fmac_f32_e32 v7, v8, v7
	v_div_scale_f32 v8, vcc, v4, v1, v4
	v_mul_f32_e32 v9, v8, v7
	v_fma_f32 v10, -v6, v9, v8
	v_fmac_f32_e32 v9, v10, v7
	v_fma_f32 v6, -v6, v9, v8
	v_div_fmas_f32 v6, v6, v7, v9
	v_div_fixup_f32 v4, v6, v1, v4
	v_mov_b32_e32 v1, 0
	global_store_dwordx2 v[2:3], v[4:5], off
.LBB19_324:                             ;   in Loop: Header=BB19_13 Depth=1
	s_or_b64 exec, exec, s[44:45]
	v_cmp_gt_i32_e32 vcc, 50, v1
	s_mov_b64 s[44:45], -1
	s_and_saveexec_b64 s[46:47], vcc
; %bb.325:                              ;   in Loop: Header=BB19_13 Depth=1
	v_cmp_eq_u32_e32 vcc, 0, v1
	s_orn2_b64 s[44:45], vcc, exec
; %bb.326:                              ;   in Loop: Header=BB19_13 Depth=1
	s_or_b64 exec, exec, s[46:47]
	s_and_b64 exec, exec, s[44:45]
	s_cbranch_execz .LBB19_339
; %bb.327:                              ;   in Loop: Header=BB19_13 Depth=1
	v_mov_b32_e32 v1, 50
	s_mov_b64 s[44:45], exec
	v_readlane_b32 s46, v254, 53
	v_readlane_b32 s47, v254, 54
	s_and_b64 s[46:47], s[44:45], s[46:47]
	s_mov_b64 exec, s[46:47]
	s_cbranch_execz .LBB19_329
; %bb.328:                              ;   in Loop: Header=BB19_13 Depth=1
	buffer_load_dword v1, off, s[0:3], 0 offset:20 ; 4-byte Folded Reload
	v_readlane_b32 s46, v254, 10
	v_mad_u64_u32 v[2:3], s[46:47], v87, s46, v[32:33]
	v_ashrrev_i32_e32 v3, 31, v2
	v_lshlrev_b64 v[2:3], 3, v[2:3]
	v_readlane_b32 s46, v254, 28
	v_add_co_u32_e32 v2, vcc, s46, v2
	v_readlane_b32 s46, v254, 29
	v_mov_b32_e32 v5, s46
	v_addc_co_u32_e32 v3, vcc, v5, v3, vcc
	s_waitcnt vmcnt(0)
	ds_read_b32 v1, v1 offset:9828
	ds_read_b32 v4, v217 offset:9600
	s_waitcnt lgkmcnt(0)
	v_cvt_f32_f16_sdwa v5, v4 dst_sel:DWORD dst_unused:UNUSED_PAD src0_sel:WORD_1
	v_cvt_f32_f16_e32 v4, v4
	v_pk_add_f32 v[4:5], v[4:5], 0 op_sel_hi:[1,0]
	v_div_scale_f32 v6, s[46:47], v1, v1, v5
	v_rcp_f32_e32 v7, v6
	v_fma_f32 v8, -v6, v7, 1.0
	v_fmac_f32_e32 v7, v8, v7
	v_div_scale_f32 v8, vcc, v5, v1, v5
	v_mul_f32_e32 v9, v8, v7
	v_fma_f32 v10, -v6, v9, v8
	v_fmac_f32_e32 v9, v10, v7
	v_fma_f32 v6, -v6, v9, v8
	v_div_fmas_f32 v6, v6, v7, v9
	v_div_fixup_f32 v5, v6, v1, v5
	v_div_scale_f32 v6, s[46:47], v1, v1, v4
	v_rcp_f32_e32 v7, v6
	v_fma_f32 v8, -v6, v7, 1.0
	v_fmac_f32_e32 v7, v8, v7
	v_div_scale_f32 v8, vcc, v4, v1, v4
	v_mul_f32_e32 v9, v8, v7
	v_fma_f32 v10, -v6, v9, v8
	v_fmac_f32_e32 v9, v10, v7
	v_fma_f32 v6, -v6, v9, v8
	v_div_fmas_f32 v6, v6, v7, v9
	v_div_fixup_f32 v4, v6, v1, v4
	v_mov_b32_e32 v1, 0
	global_store_dwordx2 v[2:3], v[4:5], off
.LBB19_329:                             ;   in Loop: Header=BB19_13 Depth=1
	s_or_b64 exec, exec, s[44:45]
	v_cmp_gt_i32_e32 vcc, 50, v1
	s_mov_b64 s[44:45], -1
	s_and_saveexec_b64 s[46:47], vcc
; %bb.330:                              ;   in Loop: Header=BB19_13 Depth=1
	v_cmp_eq_u32_e32 vcc, 0, v1
	s_orn2_b64 s[44:45], vcc, exec
; %bb.331:                              ;   in Loop: Header=BB19_13 Depth=1
	s_or_b64 exec, exec, s[46:47]
	s_and_b64 exec, exec, s[44:45]
	s_cbranch_execz .LBB19_339
; %bb.332:                              ;   in Loop: Header=BB19_13 Depth=1
	v_mov_b32_e32 v1, 50
	s_mov_b64 s[44:45], exec
	v_readlane_b32 s46, v254, 55
	v_readlane_b32 s47, v254, 56
	s_and_b64 s[46:47], s[44:45], s[46:47]
	s_mov_b64 exec, s[46:47]
	s_cbranch_execz .LBB19_334
; %bb.333:                              ;   in Loop: Header=BB19_13 Depth=1
	buffer_load_dword v1, off, s[0:3], 0 offset:160 ; 4-byte Folded Reload
	buffer_load_dword v2, off, s[0:3], 0 offset:156 ; 4-byte Folded Reload
	v_readlane_b32 s46, v254, 10
	s_waitcnt vmcnt(1)
	ds_read_b32 v1, v1 offset:228
	s_waitcnt vmcnt(0)
	ds_read_b32 v4, v2
	v_mad_u64_u32 v[2:3], s[46:47], v85, s46, v[32:33]
	v_ashrrev_i32_e32 v3, 31, v2
	v_lshlrev_b64 v[2:3], 3, v[2:3]
	v_readlane_b32 s46, v254, 28
	v_add_co_u32_e32 v2, vcc, s46, v2
	v_readlane_b32 s46, v254, 29
	v_mov_b32_e32 v5, s46
	v_addc_co_u32_e32 v3, vcc, v5, v3, vcc
	s_waitcnt lgkmcnt(0)
	v_cvt_f32_f16_sdwa v5, v4 dst_sel:DWORD dst_unused:UNUSED_PAD src0_sel:WORD_1
	v_cvt_f32_f16_e32 v4, v4
	v_pk_add_f32 v[4:5], v[4:5], 0 op_sel_hi:[1,0]
	v_div_scale_f32 v6, s[46:47], v1, v1, v5
	v_rcp_f32_e32 v7, v6
	v_fma_f32 v8, -v6, v7, 1.0
	v_fmac_f32_e32 v7, v8, v7
	v_div_scale_f32 v8, vcc, v5, v1, v5
	v_mul_f32_e32 v9, v8, v7
	v_fma_f32 v10, -v6, v9, v8
	v_fmac_f32_e32 v9, v10, v7
	v_fma_f32 v6, -v6, v9, v8
	v_div_fmas_f32 v6, v6, v7, v9
	v_div_fixup_f32 v5, v6, v1, v5
	v_div_scale_f32 v6, s[46:47], v1, v1, v4
	v_rcp_f32_e32 v7, v6
	v_fma_f32 v8, -v6, v7, 1.0
	v_fmac_f32_e32 v7, v8, v7
	v_div_scale_f32 v8, vcc, v4, v1, v4
	v_mul_f32_e32 v9, v8, v7
	v_fma_f32 v10, -v6, v9, v8
	v_fmac_f32_e32 v9, v10, v7
	v_fma_f32 v6, -v6, v9, v8
	v_div_fmas_f32 v6, v6, v7, v9
	v_div_fixup_f32 v4, v6, v1, v4
	v_mov_b32_e32 v1, 0
	global_store_dwordx2 v[2:3], v[4:5], off
.LBB19_334:                             ;   in Loop: Header=BB19_13 Depth=1
	s_or_b64 exec, exec, s[44:45]
	v_cmp_gt_i32_e32 vcc, 50, v1
	s_mov_b64 s[44:45], -1
	s_and_saveexec_b64 s[46:47], vcc
; %bb.335:                              ;   in Loop: Header=BB19_13 Depth=1
	v_cmp_eq_u32_e32 vcc, 0, v1
	s_orn2_b64 s[44:45], vcc, exec
; %bb.336:                              ;   in Loop: Header=BB19_13 Depth=1
	s_or_b64 exec, exec, s[46:47]
	s_and_b64 exec, exec, s[44:45]
	s_cbranch_execz .LBB19_339
; %bb.337:                              ;   in Loop: Header=BB19_13 Depth=1
	v_readlane_b32 s44, v254, 57
	v_readlane_b32 s45, v254, 58
	s_and_b64 exec, exec, s[44:45]
	s_cbranch_execz .LBB19_339
; %bb.338:                              ;   in Loop: Header=BB19_13 Depth=1
	buffer_load_dword v1, off, s[0:3], 0 offset:20 ; 4-byte Folded Reload
	v_readlane_b32 s44, v254, 10
	v_mad_u64_u32 v[2:3], s[44:45], v83, s44, v[32:33]
	v_ashrrev_i32_e32 v3, 31, v2
	v_lshlrev_b64 v[2:3], 3, v[2:3]
	v_readlane_b32 s44, v254, 28
	v_add_co_u32_e32 v2, vcc, s44, v2
	v_readlane_b32 s44, v254, 29
	v_mov_b32_e32 v5, s44
	v_addc_co_u32_e32 v3, vcc, v5, v3, vcc
	s_waitcnt vmcnt(0)
	ds_read_b32 v1, v1 offset:13668
	ds_read_b32 v4, v217 offset:13440
	s_waitcnt lgkmcnt(0)
	v_cvt_f32_f16_sdwa v5, v4 dst_sel:DWORD dst_unused:UNUSED_PAD src0_sel:WORD_1
	v_cvt_f32_f16_e32 v4, v4
	v_pk_add_f32 v[4:5], v[4:5], 0 op_sel_hi:[1,0]
	v_div_scale_f32 v6, s[44:45], v1, v1, v5
	v_rcp_f32_e32 v7, v6
	v_fma_f32 v8, -v6, v7, 1.0
	v_fmac_f32_e32 v7, v8, v7
	v_div_scale_f32 v8, vcc, v5, v1, v5
	v_mul_f32_e32 v9, v8, v7
	v_fma_f32 v10, -v6, v9, v8
	v_fmac_f32_e32 v9, v10, v7
	v_fma_f32 v6, -v6, v9, v8
	v_div_fmas_f32 v6, v6, v7, v9
	v_div_fixup_f32 v5, v6, v1, v5
	v_div_scale_f32 v6, s[44:45], v1, v1, v4
	v_rcp_f32_e32 v7, v6
	v_fma_f32 v8, -v6, v7, 1.0
	v_fmac_f32_e32 v7, v8, v7
	v_div_scale_f32 v8, vcc, v4, v1, v4
	v_mul_f32_e32 v9, v8, v7
	v_fma_f32 v10, -v6, v9, v8
	v_fmac_f32_e32 v9, v10, v7
	v_fma_f32 v6, -v6, v9, v8
	v_div_fmas_f32 v6, v6, v7, v9
	v_div_fixup_f32 v4, v6, v1, v4
	global_store_dwordx2 v[2:3], v[4:5], off
.LBB19_339:                             ;   in Loop: Header=BB19_13 Depth=1
	s_or_b64 exec, exec, s[42:43]
	v_mov_b32_e32 v1, 50
	s_mov_b64 s[42:43], exec
	v_readlane_b32 s44, v254, 59
	v_readlane_b32 s45, v254, 60
	s_and_b64 s[44:45], s[42:43], s[44:45]
	s_mov_b64 exec, s[44:45]
	s_cbranch_execz .LBB19_341
; %bb.340:                              ;   in Loop: Header=BB19_13 Depth=1
	buffer_load_dword v2, off, s[0:3], 0 offset:40 ; 4-byte Folded Reload
	v_readlane_b32 s44, v254, 10
	v_mul_lo_u32 v1, v81, s44
	v_ashrrev_i32_e32 v3, 31, v1
	v_readlane_b32 s44, v254, 28
	s_waitcnt vmcnt(0)
	ds_read_b32 v6, v2 offset:228
	ds_read_b32 v4, v225 offset:128
	v_add_co_u32_e32 v2, vcc, v1, v34
	v_addc_co_u32_e32 v3, vcc, 0, v3, vcc
	s_waitcnt lgkmcnt(0)
	v_cvt_f32_f16_sdwa v5, v4 dst_sel:DWORD dst_unused:UNUSED_PAD src0_sel:WORD_1
	v_cvt_f32_f16_e32 v4, v4
	v_lshlrev_b64 v[2:3], 3, v[2:3]
	v_add_co_u32_e32 v2, vcc, s44, v2
	v_readlane_b32 s44, v254, 29
	v_mov_b32_e32 v1, s44
	v_pk_add_f32 v[4:5], v[4:5], 0 op_sel_hi:[1,0]
	v_addc_co_u32_e32 v3, vcc, v1, v3, vcc
	v_div_scale_f32 v1, s[44:45], v6, v6, v5
	v_rcp_f32_e32 v7, v1
	v_fma_f32 v8, -v1, v7, 1.0
	v_fmac_f32_e32 v7, v8, v7
	v_div_scale_f32 v8, vcc, v5, v6, v5
	v_mul_f32_e32 v9, v8, v7
	v_fma_f32 v10, -v1, v9, v8
	v_fmac_f32_e32 v9, v10, v7
	v_fma_f32 v1, -v1, v9, v8
	v_div_fmas_f32 v1, v1, v7, v9
	v_div_fixup_f32 v5, v1, v6, v5
	v_div_scale_f32 v1, s[44:45], v6, v6, v4
	v_rcp_f32_e32 v7, v1
	v_fma_f32 v8, -v1, v7, 1.0
	v_fmac_f32_e32 v7, v8, v7
	v_div_scale_f32 v8, vcc, v4, v6, v4
	v_mul_f32_e32 v9, v8, v7
	v_fma_f32 v10, -v1, v9, v8
	v_fmac_f32_e32 v9, v10, v7
	v_fma_f32 v1, -v1, v9, v8
	v_div_fmas_f32 v1, v1, v7, v9
	v_div_fixup_f32 v4, v1, v6, v4
	v_mov_b32_e32 v1, 0
	global_store_dwordx2 v[2:3], v[4:5], off offset:256
.LBB19_341:                             ;   in Loop: Header=BB19_13 Depth=1
	s_or_b64 exec, exec, s[42:43]
	v_cmp_gt_i32_e32 vcc, 50, v1
	s_mov_b64 s[44:45], -1
	s_and_saveexec_b64 s[42:43], vcc
; %bb.342:                              ;   in Loop: Header=BB19_13 Depth=1
	v_cmp_eq_u32_e32 vcc, 0, v1
	s_orn2_b64 s[44:45], vcc, exec
; %bb.343:                              ;   in Loop: Header=BB19_13 Depth=1
	s_or_b64 exec, exec, s[42:43]
	s_and_saveexec_b64 s[42:43], s[44:45]
	s_cbranch_execz .LBB19_356
; %bb.344:                              ;   in Loop: Header=BB19_13 Depth=1
	v_mov_b32_e32 v1, 50
	s_mov_b64 s[44:45], exec
	v_readlane_b32 s46, v254, 61
	v_readlane_b32 s47, v254, 62
	s_and_b64 s[46:47], s[44:45], s[46:47]
	s_mov_b64 exec, s[46:47]
	s_cbranch_execz .LBB19_346
; %bb.345:                              ;   in Loop: Header=BB19_13 Depth=1
	buffer_load_dword v2, off, s[0:3], 0 offset:120 ; 4-byte Folded Reload
	v_readlane_b32 s46, v254, 10
	v_mul_lo_u32 v1, v79, s46
	v_ashrrev_i32_e32 v3, 31, v1
	v_readlane_b32 s46, v254, 28
	s_waitcnt vmcnt(0)
	ds_read_b32 v6, v2 offset:228
	buffer_load_dword v2, off, s[0:3], 0 offset:36 ; 4-byte Folded Reload
	s_waitcnt vmcnt(0)
	ds_read_b32 v4, v2 offset:128
	v_add_co_u32_e32 v2, vcc, v1, v34
	v_addc_co_u32_e32 v3, vcc, 0, v3, vcc
	s_waitcnt lgkmcnt(0)
	v_cvt_f32_f16_sdwa v5, v4 dst_sel:DWORD dst_unused:UNUSED_PAD src0_sel:WORD_1
	v_cvt_f32_f16_e32 v4, v4
	v_lshlrev_b64 v[2:3], 3, v[2:3]
	v_add_co_u32_e32 v2, vcc, s46, v2
	v_readlane_b32 s46, v254, 29
	v_mov_b32_e32 v1, s46
	v_pk_add_f32 v[4:5], v[4:5], 0 op_sel_hi:[1,0]
	v_addc_co_u32_e32 v3, vcc, v1, v3, vcc
	v_div_scale_f32 v1, s[46:47], v6, v6, v5
	v_rcp_f32_e32 v7, v1
	v_fma_f32 v8, -v1, v7, 1.0
	v_fmac_f32_e32 v7, v8, v7
	v_div_scale_f32 v8, vcc, v5, v6, v5
	v_mul_f32_e32 v9, v8, v7
	v_fma_f32 v10, -v1, v9, v8
	v_fmac_f32_e32 v9, v10, v7
	v_fma_f32 v1, -v1, v9, v8
	v_div_fmas_f32 v1, v1, v7, v9
	v_div_fixup_f32 v5, v1, v6, v5
	v_div_scale_f32 v1, s[46:47], v6, v6, v4
	v_rcp_f32_e32 v7, v1
	v_fma_f32 v8, -v1, v7, 1.0
	v_fmac_f32_e32 v7, v8, v7
	v_div_scale_f32 v8, vcc, v4, v6, v4
	v_mul_f32_e32 v9, v8, v7
	v_fma_f32 v10, -v1, v9, v8
	v_fmac_f32_e32 v9, v10, v7
	v_fma_f32 v1, -v1, v9, v8
	v_div_fmas_f32 v1, v1, v7, v9
	v_div_fixup_f32 v4, v1, v6, v4
	v_mov_b32_e32 v1, 0
	global_store_dwordx2 v[2:3], v[4:5], off offset:256
.LBB19_346:                             ;   in Loop: Header=BB19_13 Depth=1
	s_or_b64 exec, exec, s[44:45]
	v_cmp_gt_i32_e32 vcc, 50, v1
	s_mov_b64 s[44:45], -1
	s_and_saveexec_b64 s[46:47], vcc
; %bb.347:                              ;   in Loop: Header=BB19_13 Depth=1
	v_cmp_eq_u32_e32 vcc, 0, v1
	s_orn2_b64 s[44:45], vcc, exec
; %bb.348:                              ;   in Loop: Header=BB19_13 Depth=1
	s_or_b64 exec, exec, s[46:47]
	s_and_b64 exec, exec, s[44:45]
	s_cbranch_execz .LBB19_356
; %bb.349:                              ;   in Loop: Header=BB19_13 Depth=1
	v_mov_b32_e32 v1, 50
	s_mov_b64 s[44:45], exec
	v_readlane_b32 s46, v254, 63
	v_readlane_b32 s47, v255, 0
	s_and_b64 s[46:47], s[44:45], s[46:47]
	s_mov_b64 exec, s[46:47]
	s_cbranch_execz .LBB19_351
; %bb.350:                              ;   in Loop: Header=BB19_13 Depth=1
	buffer_load_dword v2, off, s[0:3], 0 offset:140 ; 4-byte Folded Reload
	v_readlane_b32 s46, v254, 10
	v_mul_lo_u32 v1, v77, s46
	v_ashrrev_i32_e32 v3, 31, v1
	v_readlane_b32 s46, v254, 28
	s_waitcnt vmcnt(0)
	ds_read_b32 v6, v2 offset:228
	buffer_load_dword v2, off, s[0:3], 0 offset:116 ; 4-byte Folded Reload
	s_waitcnt vmcnt(0)
	ds_read_b32 v4, v2 offset:128
	v_add_co_u32_e32 v2, vcc, v1, v34
	v_addc_co_u32_e32 v3, vcc, 0, v3, vcc
	s_waitcnt lgkmcnt(0)
	v_cvt_f32_f16_sdwa v5, v4 dst_sel:DWORD dst_unused:UNUSED_PAD src0_sel:WORD_1
	v_cvt_f32_f16_e32 v4, v4
	v_lshlrev_b64 v[2:3], 3, v[2:3]
	v_add_co_u32_e32 v2, vcc, s46, v2
	v_readlane_b32 s46, v254, 29
	v_mov_b32_e32 v1, s46
	v_pk_add_f32 v[4:5], v[4:5], 0 op_sel_hi:[1,0]
	v_addc_co_u32_e32 v3, vcc, v1, v3, vcc
	v_div_scale_f32 v1, s[46:47], v6, v6, v5
	v_rcp_f32_e32 v7, v1
	v_fma_f32 v8, -v1, v7, 1.0
	v_fmac_f32_e32 v7, v8, v7
	v_div_scale_f32 v8, vcc, v5, v6, v5
	v_mul_f32_e32 v9, v8, v7
	v_fma_f32 v10, -v1, v9, v8
	v_fmac_f32_e32 v9, v10, v7
	v_fma_f32 v1, -v1, v9, v8
	v_div_fmas_f32 v1, v1, v7, v9
	v_div_fixup_f32 v5, v1, v6, v5
	v_div_scale_f32 v1, s[46:47], v6, v6, v4
	v_rcp_f32_e32 v7, v1
	v_fma_f32 v8, -v1, v7, 1.0
	v_fmac_f32_e32 v7, v8, v7
	v_div_scale_f32 v8, vcc, v4, v6, v4
	v_mul_f32_e32 v9, v8, v7
	v_fma_f32 v10, -v1, v9, v8
	v_fmac_f32_e32 v9, v10, v7
	v_fma_f32 v1, -v1, v9, v8
	v_div_fmas_f32 v1, v1, v7, v9
	v_div_fixup_f32 v4, v1, v6, v4
	v_mov_b32_e32 v1, 0
	global_store_dwordx2 v[2:3], v[4:5], off offset:256
.LBB19_351:                             ;   in Loop: Header=BB19_13 Depth=1
	s_or_b64 exec, exec, s[44:45]
	v_cmp_gt_i32_e32 vcc, 50, v1
	s_mov_b64 s[44:45], -1
	s_and_saveexec_b64 s[46:47], vcc
; %bb.352:                              ;   in Loop: Header=BB19_13 Depth=1
	v_cmp_eq_u32_e32 vcc, 0, v1
	s_orn2_b64 s[44:45], vcc, exec
; %bb.353:                              ;   in Loop: Header=BB19_13 Depth=1
	s_or_b64 exec, exec, s[46:47]
	s_and_b64 exec, exec, s[44:45]
	s_cbranch_execz .LBB19_356
; %bb.354:                              ;   in Loop: Header=BB19_13 Depth=1
	v_readlane_b32 s44, v255, 1
	v_readlane_b32 s45, v255, 2
	s_and_b64 exec, exec, s[44:45]
	s_cbranch_execz .LBB19_356
; %bb.355:                              ;   in Loop: Header=BB19_13 Depth=1
	buffer_load_dword v2, off, s[0:3], 0 offset:148 ; 4-byte Folded Reload
	v_readlane_b32 s44, v254, 10
	v_mul_lo_u32 v1, v75, s44
	v_ashrrev_i32_e32 v3, 31, v1
	v_readlane_b32 s44, v254, 28
	s_waitcnt vmcnt(0)
	ds_read_b32 v6, v2 offset:228
	buffer_load_dword v2, off, s[0:3], 0 offset:128 ; 4-byte Folded Reload
	s_waitcnt vmcnt(0)
	ds_read_b32 v4, v2 offset:128
	v_add_co_u32_e32 v2, vcc, v1, v34
	v_addc_co_u32_e32 v3, vcc, 0, v3, vcc
	s_waitcnt lgkmcnt(0)
	v_cvt_f32_f16_sdwa v5, v4 dst_sel:DWORD dst_unused:UNUSED_PAD src0_sel:WORD_1
	v_cvt_f32_f16_e32 v4, v4
	v_lshlrev_b64 v[2:3], 3, v[2:3]
	v_add_co_u32_e32 v2, vcc, s44, v2
	v_readlane_b32 s44, v254, 29
	v_mov_b32_e32 v1, s44
	v_pk_add_f32 v[4:5], v[4:5], 0 op_sel_hi:[1,0]
	v_addc_co_u32_e32 v3, vcc, v1, v3, vcc
	v_div_scale_f32 v1, s[44:45], v6, v6, v5
	v_rcp_f32_e32 v7, v1
	v_fma_f32 v8, -v1, v7, 1.0
	v_fmac_f32_e32 v7, v8, v7
	v_div_scale_f32 v8, vcc, v5, v6, v5
	v_mul_f32_e32 v9, v8, v7
	v_fma_f32 v10, -v1, v9, v8
	v_fmac_f32_e32 v9, v10, v7
	v_fma_f32 v1, -v1, v9, v8
	v_div_fmas_f32 v1, v1, v7, v9
	v_div_fixup_f32 v5, v1, v6, v5
	v_div_scale_f32 v1, s[44:45], v6, v6, v4
	v_rcp_f32_e32 v7, v1
	v_fma_f32 v8, -v1, v7, 1.0
	v_fmac_f32_e32 v7, v8, v7
	v_div_scale_f32 v8, vcc, v4, v6, v4
	v_mul_f32_e32 v9, v8, v7
	v_fma_f32 v10, -v1, v9, v8
	v_fmac_f32_e32 v9, v10, v7
	v_fma_f32 v1, -v1, v9, v8
	v_div_fmas_f32 v1, v1, v7, v9
	v_div_fixup_f32 v4, v1, v6, v4
	global_store_dwordx2 v[2:3], v[4:5], off offset:256
.LBB19_356:                             ;   in Loop: Header=BB19_13 Depth=1
	s_or_b64 exec, exec, s[42:43]
	v_mov_b32_e32 v1, 50
	s_mov_b64 s[42:43], exec
	v_readlane_b32 s44, v255, 3
	v_readlane_b32 s45, v255, 4
	s_and_b64 s[44:45], s[42:43], s[44:45]
	s_mov_b64 exec, s[44:45]
	s_cbranch_execz .LBB19_358
; %bb.357:                              ;   in Loop: Header=BB19_13 Depth=1
	buffer_load_dword v2, off, s[0:3], 0 offset:24 ; 4-byte Folded Reload
	v_readlane_b32 s44, v254, 10
	v_mul_lo_u32 v1, v73, s44
	v_ashrrev_i32_e32 v3, 31, v1
	v_readlane_b32 s44, v254, 28
	s_waitcnt vmcnt(0)
	ds_read_b32 v6, v2 offset:228
	ds_read_b32 v4, v229 offset:192
	v_add_co_u32_e32 v2, vcc, v1, v36
	v_addc_co_u32_e32 v3, vcc, 0, v3, vcc
	s_waitcnt lgkmcnt(0)
	v_cvt_f32_f16_sdwa v5, v4 dst_sel:DWORD dst_unused:UNUSED_PAD src0_sel:WORD_1
	v_cvt_f32_f16_e32 v4, v4
	v_lshlrev_b64 v[2:3], 3, v[2:3]
	v_add_co_u32_e32 v2, vcc, s44, v2
	v_readlane_b32 s44, v254, 29
	v_mov_b32_e32 v1, s44
	v_pk_add_f32 v[4:5], v[4:5], 0 op_sel_hi:[1,0]
	v_addc_co_u32_e32 v3, vcc, v1, v3, vcc
	v_div_scale_f32 v1, s[44:45], v6, v6, v5
	v_rcp_f32_e32 v7, v1
	v_fma_f32 v8, -v1, v7, 1.0
	v_fmac_f32_e32 v7, v8, v7
	v_div_scale_f32 v8, vcc, v5, v6, v5
	v_mul_f32_e32 v9, v8, v7
	v_fma_f32 v10, -v1, v9, v8
	v_fmac_f32_e32 v9, v10, v7
	v_fma_f32 v1, -v1, v9, v8
	v_div_fmas_f32 v1, v1, v7, v9
	v_div_fixup_f32 v5, v1, v6, v5
	v_div_scale_f32 v1, s[44:45], v6, v6, v4
	v_rcp_f32_e32 v7, v1
	v_fma_f32 v8, -v1, v7, 1.0
	v_fmac_f32_e32 v7, v8, v7
	v_div_scale_f32 v8, vcc, v4, v6, v4
	v_mul_f32_e32 v9, v8, v7
	v_fma_f32 v10, -v1, v9, v8
	v_fmac_f32_e32 v9, v10, v7
	v_fma_f32 v1, -v1, v9, v8
	v_div_fmas_f32 v1, v1, v7, v9
	v_div_fixup_f32 v4, v1, v6, v4
	v_mov_b32_e32 v1, 0
	global_store_dwordx2 v[2:3], v[4:5], off offset:384
.LBB19_358:                             ;   in Loop: Header=BB19_13 Depth=1
	s_or_b64 exec, exec, s[42:43]
	v_cmp_gt_i32_e32 vcc, 50, v1
	s_mov_b64 s[44:45], -1
	s_and_saveexec_b64 s[42:43], vcc
; %bb.359:                              ;   in Loop: Header=BB19_13 Depth=1
	v_cmp_eq_u32_e32 vcc, 0, v1
	s_orn2_b64 s[44:45], vcc, exec
; %bb.360:                              ;   in Loop: Header=BB19_13 Depth=1
	s_or_b64 exec, exec, s[42:43]
                                        ; implicit-def: $vgpr2_vgpr3
	s_and_saveexec_b64 s[42:43], s[44:45]
	s_cbranch_execz .LBB19_364
; %bb.361:                              ;   in Loop: Header=BB19_13 Depth=1
	s_mov_b64 s[46:47], s[54:55]
                                        ; implicit-def: $vgpr2_vgpr3
	s_mov_b64 s[44:45], exec
	v_readlane_b32 s56, v255, 5
	v_readlane_b32 s57, v255, 6
	s_and_b64 s[56:57], s[44:45], s[56:57]
	s_mov_b64 exec, s[56:57]
	s_cbranch_execz .LBB19_363
; %bb.362:                              ;   in Loop: Header=BB19_13 Depth=1
	buffer_load_dword v1, off, s[0:3], 0 offset:24 ; 4-byte Folded Reload
	s_waitcnt vmcnt(0)
	ds_read_b32 v1, v1 offset:7908
	ds_read_b32 v2, v230 offset:192
	s_waitcnt lgkmcnt(0)
	v_cvt_f32_f16_sdwa v3, v2 dst_sel:DWORD dst_unused:UNUSED_PAD src0_sel:WORD_1
	v_cvt_f32_f16_e32 v2, v2
	v_pk_add_f32 v[2:3], v[2:3], 0 op_sel_hi:[1,0]
	v_div_scale_f32 v4, s[46:47], v1, v1, v3
	v_rcp_f32_e32 v5, v4
	v_fma_f32 v6, -v4, v5, 1.0
	v_fmac_f32_e32 v5, v6, v5
	v_div_scale_f32 v6, vcc, v3, v1, v3
	v_mul_f32_e32 v7, v6, v5
	v_fma_f32 v8, -v4, v7, v6
	v_fmac_f32_e32 v7, v8, v5
	v_fma_f32 v4, -v4, v7, v6
	v_div_fmas_f32 v4, v4, v5, v7
	v_div_fixup_f32 v3, v4, v1, v3
	v_div_scale_f32 v4, s[46:47], v1, v1, v2
	v_rcp_f32_e32 v5, v4
	s_or_b64 s[46:47], s[54:55], exec
	v_fma_f32 v6, -v4, v5, 1.0
	v_fmac_f32_e32 v5, v6, v5
	v_div_scale_f32 v6, vcc, v2, v1, v2
	v_mul_f32_e32 v7, v6, v5
	v_fma_f32 v8, -v4, v7, v6
	v_fmac_f32_e32 v7, v8, v5
	v_fma_f32 v4, -v4, v7, v6
	v_div_fmas_f32 v4, v4, v5, v7
	v_div_fixup_f32 v2, v4, v1, v2
.LBB19_363:                             ;   in Loop: Header=BB19_13 Depth=1
	s_or_b64 exec, exec, s[44:45]
	s_andn2_b64 s[44:45], s[54:55], exec
	s_and_b64 s[46:47], s[46:47], exec
	s_or_b64 s[54:55], s[44:45], s[46:47]
.LBB19_364:                             ;   in Loop: Header=BB19_13 Depth=1
	s_or_b64 exec, exec, s[42:43]
	s_and_saveexec_b64 s[42:43], s[54:55]
	s_cbranch_execz .LBB19_12
.LBB19_365:                             ;   in Loop: Header=BB19_13 Depth=1
	v_readlane_b32 s44, v254, 10
	v_mul_lo_u32 v0, v0, s44
	v_ashrrev_i32_e32 v1, 31, v0
	v_add_co_u32_e32 v0, vcc, v0, v36
	v_addc_co_u32_e32 v1, vcc, 0, v1, vcc
	v_readlane_b32 s44, v254, 29
	v_lshlrev_b64 v[0:1], 3, v[0:1]
	v_mov_b32_e32 v4, s44
	v_readlane_b32 s44, v254, 28
	v_add_co_u32_e32 v0, vcc, s44, v0
	v_addc_co_u32_e32 v1, vcc, v4, v1, vcc
	global_store_dwordx2 v[0:1], v[2:3], off offset:384
	s_branch .LBB19_12
.LBB19_366:
	v_writelane_b32 v253, s50, 56
	v_writelane_b32 v253, s51, 57
	;; [unrolled: 1-line block ×6, first 2 shown]
	s_andn2_b64 vcc, exec, s[42:43]
	s_cbranch_vccz .LBB19_369
.LBB19_367:
	s_endpgm
.LBB19_368:
	v_readlane_b32 s24, v253, 62
	s_andn2_b64 vcc, exec, s[42:43]
	s_cbranch_vccnz .LBB19_367
.LBB19_369:
	v_readlane_b32 s10, v253, 11
	s_abs_i32 s4, s10
	v_cvt_f32_u32_e32 v0, s4
	s_sub_i32 s7, 0, s4
	s_abs_i32 s6, s54
	s_xor_b32 s5, s54, s10
	v_rcp_iflag_f32_e32 v0, v0
	s_ashr_i32 s5, s5, 31
	v_readlane_b32 s14, v253, 6
	v_readlane_b32 s11, v253, 3
	v_mul_f32_e32 v0, 0x4f7ffffe, v0
	v_cvt_u32_f32_e32 v0, v0
	v_readlane_b32 s36, v253, 34
	v_readlane_b32 s42, v253, 40
	;; [unrolled: 1-line block ×3, first 2 shown]
	v_readfirstlane_b32 s8, v0
	s_mul_i32 s7, s7, s8
	s_mul_hi_u32 s7, s8, s7
	s_add_i32 s8, s8, s7
	s_mul_hi_u32 s7, s6, s8
	s_mul_i32 s8, s7, s4
	s_sub_i32 s6, s6, s8
	s_add_i32 s9, s7, 1
	s_sub_i32 s8, s6, s4
	s_cmp_ge_u32 s6, s4
	s_cselect_b32 s7, s9, s7
	s_cselect_b32 s6, s8, s6
	s_add_i32 s8, s7, 1
	s_cmp_ge_u32 s6, s4
	s_cselect_b32 s4, s8, s7
	s_abs_i32 s6, s14
	v_cvt_f32_u32_e32 v0, s6
	s_xor_b32 s4, s4, s5
	s_sub_i32 s7, 0, s6
	s_sub_i32 s12, s4, s5
	v_rcp_iflag_f32_e32 v0, v0
	s_mul_i32 s4, s12, s10
	s_sub_i32 s4, s54, s4
	s_abs_i32 s8, s4
	v_mul_f32_e32 v0, 0x4f7ffffe, v0
	v_cvt_u32_f32_e32 v0, v0
	s_xor_b32 s5, s4, s14
	s_ashr_i32 s5, s5, 31
	v_readlane_b32 s37, v253, 35
	v_readfirstlane_b32 s9, v0
	s_mul_i32 s7, s7, s9
	s_mul_hi_u32 s7, s9, s7
	s_add_i32 s9, s9, s7
	s_mul_hi_u32 s7, s8, s9
	s_mul_i32 s9, s7, s6
	s_sub_i32 s8, s8, s9
	s_add_i32 s10, s7, 1
	s_sub_i32 s9, s8, s6
	s_cmp_ge_u32 s8, s6
	s_cselect_b32 s7, s10, s7
	s_cselect_b32 s8, s9, s8
	s_add_i32 s9, s7, 1
	s_cmp_ge_u32 s8, s6
	s_cselect_b32 s6, s9, s7
	s_abs_i32 s7, s11
	v_cvt_f32_u32_e32 v0, s7
	s_xor_b32 s6, s6, s5
	s_sub_i32 s8, 0, s7
	s_sub_i32 s13, s6, s5
	v_rcp_iflag_f32_e32 v0, v0
	s_mul_i32 s5, s13, s14
	s_sub_i32 s5, s4, s5
	s_abs_i32 s6, s5
	v_mul_f32_e32 v0, 0x4f7ffffe, v0
	v_cvt_u32_f32_e32 v0, v0
	s_xor_b32 s4, s5, s11
	s_ashr_i32 s4, s4, 31
	v_readlane_b32 s38, v253, 36
	v_readfirstlane_b32 s9, v0
	s_mul_i32 s8, s8, s9
	s_mul_hi_u32 s8, s9, s8
	s_add_i32 s9, s9, s8
	s_mul_hi_u32 s8, s6, s9
	s_mul_i32 s9, s8, s7
	s_sub_i32 s6, s6, s9
	s_add_i32 s10, s8, 1
	s_sub_i32 s9, s6, s7
	s_cmp_ge_u32 s6, s7
	s_cselect_b32 s8, s10, s8
	s_cselect_b32 s6, s9, s6
	s_add_i32 s9, s8, 1
	s_cmp_ge_u32 s6, s7
	s_cselect_b32 s6, s9, s8
	s_xor_b32 s6, s6, s4
	s_sub_i32 s4, s6, s4
	s_mul_i32 s6, s4, s11
	s_sub_i32 s5, s5, s6
	s_abs_i32 s16, s5
	s_ashr_i32 s14, s12, 31
	s_mul_hi_u32 s15, s16, s62
	v_readlane_b32 s39, v253, 37
	v_readlane_b32 s40, v253, 38
	;; [unrolled: 1-line block ×7, first 2 shown]
	s_cmp_eq_u64 s[42:43], 0
	s_mov_b64 s[8:9], 0
	v_readlane_b32 s44, v253, 42
	v_readlane_b32 s45, v253, 43
	;; [unrolled: 1-line block ×4, first 2 shown]
	s_cbranch_scc1 .LBB19_371
; %bb.370:
	v_readlane_b32 s6, v253, 54
	s_abs_i32 s6, s6
	v_cvt_f32_u32_e32 v0, s6
	s_sub_i32 s8, 0, s6
	v_readlane_b32 s7, v253, 55
	s_abs_i32 s7, s12
	v_rcp_iflag_f32_e32 v0, v0
	v_readlane_b32 s10, v253, 25
	v_readlane_b32 s11, v253, 26
	v_mul_f32_e32 v0, 0x4f7ffffe, v0
	v_cvt_u32_f32_e32 v0, v0
	v_readfirstlane_b32 s9, v0
	s_mul_i32 s8, s8, s9
	s_mul_hi_u32 s8, s9, s8
	s_add_i32 s9, s9, s8
	s_mul_hi_u32 s8, s7, s9
	s_mul_i32 s8, s8, s6
	s_sub_i32 s7, s7, s8
	s_sub_i32 s8, s7, s6
	s_cmp_ge_u32 s7, s6
	s_cselect_b32 s7, s8, s7
	s_sub_i32 s8, s7, s6
	s_cmp_ge_u32 s7, s6
	s_cselect_b32 s6, s8, s7
	s_xor_b32 s6, s6, s14
	s_sub_i32 s6, s6, s14
	s_ashr_i32 s7, s6, 31
	s_mul_i32 s8, s6, s11
	s_mul_hi_u32 s9, s6, s10
	s_add_i32 s8, s9, s8
	s_mul_i32 s7, s7, s10
	s_add_i32 s7, s8, s7
	s_mul_i32 s6, s6, s10
	s_add_u32 s8, s42, s6
	s_addc_u32 s9, s43, s7
.LBB19_371:
	s_ashr_i32 s18, s5, 31
	v_readlane_b32 s5, v253, 2
	v_readlane_b32 s20, v253, 50
	s_mul_i32 s17, s13, s5
	v_readlane_b32 s21, v253, 51
	s_add_i32 s17, s17, s4
	v_cmp_le_f32_e64 s[4:5], s21, 0
	v_readlane_b32 s22, v253, 52
	v_readlane_b32 s23, v253, 53
	s_and_b64 vcc, exec, s[4:5]
	v_mov_b32_e32 v38, 1.0
	s_cbranch_vccnz .LBB19_373
; %bb.372:
	v_readlane_b32 s5, v253, 22
	s_sub_i32 s4, s17, s5
	s_lshl_b32 s4, s4, 1
	s_add_i32 s6, s17, 1
	s_or_b32 s7, s4, 1
	s_cmp_lt_u32 s17, s5
	s_cselect_b64 vcc, -1, 0
	s_and_b64 s[4:5], vcc, exec
	v_mov_b32_e32 v0, s23
	v_mov_b32_e32 v1, s22
	s_cselect_b32 s4, s6, s7
	v_cndmask_b32_e32 v16, v0, v1, vcc
	v_cvt_f32_i32_e32 v0, s4
	v_cmp_neq_f32_e32 vcc, 1.0, v16
	s_mov_b32 s4, 0x3f2aaaab
	s_movk_i32 s6, 0x204
	v_cndmask_b32_e32 v17, 1.0, v0, vcc
	v_cmp_eq_f32_e32 vcc, 0, v17
	v_cndmask_b32_e64 v18, |v16|, 1.0, vcc
	v_frexp_mant_f32_e32 v0, v18
	v_cmp_gt_f32_e64 s[4:5], s4, v0
	v_cndmask_b32_e64 v1, 1.0, 2.0, s[4:5]
	v_mul_f32_e32 v0, v0, v1
	v_add_f32_e32 v3, 1.0, v0
	v_rcp_f32_e32 v8, v3
	v_add_f32_e32 v1, -1.0, v3
	v_sub_f32_e32 v5, v0, v1
	v_add_f32_e32 v1, -1.0, v0
	v_mul_f32_e32 v9, v1, v8
	v_mul_f32_e32 v2, v3, v9
	v_fma_f32 v4, v9, v3, -v2
	v_fmac_f32_e32 v4, v9, v5
	v_add_f32_e32 v0, v2, v4
	v_sub_f32_e32 v3, v1, v0
	v_pk_add_f32 v[6:7], v[0:1], v[2:3] neg_lo:[0,1] neg_hi:[0,1]
	v_mov_b32_e32 v5, v0
	v_pk_add_f32 v[0:1], v[6:7], v[4:5] neg_lo:[0,1] neg_hi:[0,1]
	v_add_f32_e32 v0, v0, v1
	v_add_f32_e32 v0, v3, v0
	v_mul_f32_e32 v1, v8, v0
	v_add_f32_e32 v0, v9, v1
	v_sub_f32_e32 v2, v0, v9
	v_sub_f32_e32 v10, v1, v2
	v_mul_f32_e32 v1, v0, v0
	v_fma_f32 v3, v0, v0, -v1
	v_add_f32_e32 v2, v10, v10
	v_fmac_f32_e32 v3, v0, v2
	v_add_f32_e32 v2, v1, v3
	v_mov_b32_e32 v4, 0x3e91f4c4
	v_fmac_f32_e32 v4, 0x3e76c4e1, v2
	v_mov_b32_e32 v5, 0x3ecccdef
	v_fmac_f32_e32 v5, v2, v4
	v_sub_f32_e32 v1, v2, v1
	v_sub_f32_e32 v11, v3, v1
	v_mul_f32_e32 v1, v2, v5
	v_fma_f32 v3, v2, v5, -v1
	v_fmac_f32_e32 v3, v11, v5
	v_add_f32_e32 v4, v1, v3
	v_add_f32_e32 v5, 0x3f2aaaaa, v4
	v_sub_f32_e32 v1, v4, v1
	v_sub_f32_e32 v1, v3, v1
	v_add_f32_e32 v3, 0xbf2aaaaa, v5
	v_add_f32_e32 v1, 0x31739010, v1
	v_sub_f32_e32 v3, v4, v3
	v_pk_mul_f32 v[6:7], v[0:1], v[2:3]
	v_fma_f32 v4, v2, v0, -v6
	v_pk_add_f32 v[8:9], v[0:1], v[2:3]
	v_fmac_f32_e32 v4, v2, v10
	v_mov_b32_e32 v7, v9
	v_fmac_f32_e32 v4, v11, v0
	v_pk_add_f32 v[2:3], v[6:7], v[4:5]
	v_sub_f32_e32 v1, v2, v6
	v_sub_f32_e32 v1, v4, v1
	;; [unrolled: 1-line block ×3, first 2 shown]
	v_add_f32_e32 v7, v9, v4
	v_mov_b32_e32 v4, v3
	v_pk_mul_f32 v[4:5], v[2:3], v[4:5]
	v_cvt_f64_f32_e32 v[8:9], v18
	v_frexp_exp_i32_f64_e32 v5, v[8:9]
	v_subbrev_co_u32_e64 v5, s[4:5], 0, v5, s[4:5]
	v_cvt_f32_i32_e32 v5, v5
	v_fma_f32 v6, v2, v3, -v4
	v_fmac_f32_e32 v6, v2, v7
	s_mov_b32 s4, 0x3f317218
	v_mul_f32_e32 v2, 0x3f317218, v5
	v_fmac_f32_e32 v6, v1, v3
	v_fma_f32 v8, v5, s4, -v2
	v_fmac_f32_e32 v8, 0xb102e308, v5
	v_ldexp_f32 v9, v0, 1
	v_add_f32_e32 v3, v4, v6
	v_pk_add_f32 v[0:1], v[2:3], v[8:9]
	v_ldexp_f32 v12, v10, 1
	v_mov_b32_e32 v10, v3
	v_mov_b32_e32 v11, v1
	;; [unrolled: 1-line block ×3, first 2 shown]
	v_pk_add_f32 v[4:5], v[10:11], v[4:5] neg_lo:[0,1] neg_hi:[0,1]
	v_mov_b32_e32 v7, v3
	v_pk_add_f32 v[4:5], v[6:7], v[4:5] neg_lo:[0,1] neg_hi:[0,1]
	v_add_f32_e32 v3, v12, v4
	v_add_f32_e32 v3, v3, v5
	v_pk_add_f32 v[4:5], v[0:1], v[2:3] neg_lo:[0,1] neg_hi:[0,1]
	v_pk_add_f32 v[6:7], v[0:1], v[2:3]
	v_mov_b32_e32 v10, v4
	v_mov_b32_e32 v11, v7
	;; [unrolled: 1-line block ×3, first 2 shown]
	v_pk_add_f32 v[10:11], v[8:9], v[10:11]
	v_mov_b32_e32 v2, v11
	v_pk_add_f32 v[12:13], v[2:3], v[0:1] neg_lo:[0,1] neg_hi:[0,1]
	v_mov_b32_e32 v13, v12
	v_mov_b32_e32 v10, v7
	;; [unrolled: 1-line block ×4, first 2 shown]
	v_pk_add_f32 v[4:5], v[8:9], v[4:5] neg_lo:[0,1] neg_hi:[0,1]
	v_pk_add_f32 v[14:15], v[6:7], v[12:13] neg_lo:[0,1] neg_hi:[0,1]
	;; [unrolled: 1-line block ×3, first 2 shown]
	v_mov_b32_e32 v8, v3
	v_pk_add_f32 v[0:1], v[8:9], v[0:1] neg_lo:[0,1] neg_hi:[0,1]
	v_mov_b32_e32 v14, v4
	v_pk_add_f32 v[6:7], v[14:15], v[0:1]
	v_mov_b32_e32 v8, v7
	v_pk_add_f32 v[8:9], v[6:7], v[8:9]
	v_pk_add_f32 v[2:3], v[2:3], v[8:9]
	v_mov_b32_e32 v5, v11
	v_mov_b32_e32 v7, v2
	v_pk_add_f32 v[10:11], v[6:7], v[4:5] neg_lo:[0,1] neg_hi:[0,1]
	v_mov_b32_e32 v1, v8
	v_sub_f32_e32 v3, v6, v10
	v_pk_add_f32 v[0:1], v[0:1], v[10:11] neg_lo:[0,1] neg_hi:[0,1]
	v_sub_f32_e32 v3, v4, v3
	v_add_f32_e32 v0, v0, v3
	v_add_f32_e32 v0, v0, v1
	;; [unrolled: 1-line block ×3, first 2 shown]
	v_sub_f32_e32 v2, v1, v2
	v_sub_f32_e32 v0, v0, v2
	v_mul_f32_e32 v2, v17, v1
	v_fma_f32 v1, v17, v1, -v2
	v_fmac_f32_e32 v1, v17, v0
	v_add_f32_e32 v0, v2, v1
	v_cmp_class_f32_e64 s[4:5], v2, s6
	v_sub_f32_e32 v3, v0, v2
	v_cndmask_b32_e64 v0, v0, v2, s[4:5]
	s_mov_b32 s10, 0x42b17218
	v_mov_b32_e32 v2, 0x37000000
	v_cmp_eq_f32_e64 s[4:5], s10, v0
	v_cndmask_b32_e64 v2, 0, v2, s[4:5]
	v_sub_f32_e32 v1, v1, v3
	v_sub_f32_e32 v3, v0, v2
	s_mov_b32 s4, 0x3fb8aa3b
	v_mul_f32_e32 v4, 0x3fb8aa3b, v3
	v_fma_f32 v5, v3, s4, -v4
	v_rndne_f32_e32 v6, v4
	v_fmac_f32_e32 v5, 0x32a5705f, v3
	v_sub_f32_e32 v4, v4, v6
	v_add_f32_e32 v4, v4, v5
	v_exp_f32_e32 v4, v4
	v_cvt_i32_f32_e32 v5, v6
	s_mov_b32 s7, 0x7f800000
	v_cmp_neq_f32_e64 s[4:5], |v0|, s7
	v_cndmask_b32_e64 v0, 0, v1, s[4:5]
	s_mov_b32 s4, 0xc2ce8ed0
	v_ldexp_f32 v1, v4, v5
	v_cmp_ngt_f32_e64 s[4:5], s4, v3
	v_add_f32_e32 v0, v2, v0
	v_cndmask_b32_e64 v1, 0, v1, s[4:5]
	v_mov_b32_e32 v2, 0x7f800000
	v_cmp_nlt_f32_e64 s[4:5], s10, v3
	v_cndmask_b32_e64 v1, v2, v1, s[4:5]
	v_fma_f32 v0, v1, v0, v1
	v_cmp_class_f32_e64 s[4:5], v1, s6
	v_trunc_f32_e32 v3, v17
	v_cndmask_b32_e64 v0, v0, v1, s[4:5]
	v_cndmask_b32_e64 v1, v16, 1.0, vcc
	v_cmp_eq_f32_e32 vcc, v3, v17
	v_mul_f32_e32 v3, 0.5, v17
	v_trunc_f32_e32 v5, v3
	v_cmp_neq_f32_e64 s[4:5], v5, v3
	s_and_b64 s[4:5], vcc, s[4:5]
	v_cndmask_b32_e64 v3, 1.0, v1, s[4:5]
	s_brev_b32 s19, -2
	v_mov_b32_e32 v4, 0x7fc00000
	v_bfi_b32 v0, s19, v0, v3
	v_cndmask_b32_e32 v3, v4, v0, vcc
	v_cmp_gt_f32_e32 vcc, 0, v1
	v_cndmask_b32_e32 v0, v0, v3, vcc
	v_cmp_eq_f32_e32 vcc, s7, v18
	v_cmp_eq_f32_e64 s[6:7], 0, v1
	v_cmp_gt_f32_e64 s[10:11], 0, v17
	s_xor_b64 s[10:11], s[10:11], s[6:7]
	v_cndmask_b32_e64 v2, v2, 0, s[10:11]
	v_cndmask_b32_e64 v3, 0, v1, s[4:5]
	v_bfi_b32 v2, s19, v2, v3
	s_or_b64 vcc, vcc, s[6:7]
	v_cndmask_b32_e32 v0, v0, v2, vcc
	v_cmp_o_f32_e32 vcc, v1, v1
	v_cndmask_b32_e32 v38, v4, v0, vcc
.LBB19_373:
	s_mul_i32 s5, s15, s61
	v_readlane_b32 s4, v253, 33
	s_sub_i32 s5, s16, s5
	s_xor_b32 s4, s18, s4
	s_add_i32 s6, s15, 1
	s_sub_i32 s7, s5, s61
	s_cmp_ge_u32 s5, s61
	s_cselect_b32 s6, s6, s15
	s_cselect_b32 s5, s7, s5
	s_add_i32 s7, s6, 1
	s_cmp_ge_u32 s5, s61
	s_cselect_b32 s5, s7, s6
	s_xor_b32 s5, s5, s4
	s_sub_i32 s4, s5, s4
	s_cmp_eq_u64 s[46:47], 0
	v_mov_b32_e32 v12, s24
	s_cbranch_scc1 .LBB19_375
; %bb.374:
	v_readlane_b32 s5, v253, 0
	s_mul_i32 s5, s12, s5
	s_add_i32 s6, s4, s5
	s_ashr_i32 s7, s6, 31
	s_lshl_b64 s[6:7], s[6:7], 2
	s_add_u32 s6, s46, s6
	s_addc_u32 s7, s47, s7
	v_mov_b32_e32 v0, 0
	global_load_dword v0, v0, s[6:7]
	s_waitcnt vmcnt(0)
	v_ashrrev_i32_e32 v1, 31, v0
	v_lshrrev_b32_e32 v1, 26, v1
	v_add_u32_e32 v0, v0, v1
	v_ashrrev_i32_e32 v0, 6, v0
	v_min_i32_e32 v12, s24, v0
.LBB19_375:
	buffer_load_dword v0, off, s[0:3], 0 offset:132 ; 4-byte Folded Reload
	v_readlane_b32 s10, v253, 14
	v_readlane_b32 s11, v253, 15
	s_mul_i32 s5, s12, s11
	s_ashr_i32 s6, s5, 31
	s_add_u32 s5, s36, s5
	s_mul_i32 s17, s17, s10
	s_addc_u32 s7, s37, s6
	s_ashr_i32 s10, s17, 31
	s_add_u32 s6, s5, s17
	s_addc_u32 s7, s7, s10
	s_lshl_b32 s33, s4, 6
	v_readlane_b32 s16, v253, 7
	v_readlane_b32 s17, v253, 8
	;; [unrolled: 1-line block ×4, first 2 shown]
	s_waitcnt vmcnt(0)
	v_and_b32_e32 v106, 0x3ff, v0
	v_lshrrev_b32_e32 v0, 5, v106
	v_lshl_add_u32 v103, v120, 1, v0
	v_and_b32_e32 v34, 31, v106
	v_add_u32_e32 v0, s33, v103
	v_cmp_le_i32_e32 vcc, s16, v0
	v_mad_u32_u24 v35, v103, 60, v34
	s_and_saveexec_b64 s[4:5], vcc
	s_xor_b64 s[4:5], exec, s[4:5]
	s_cbranch_execz .LBB19_377
; %bb.376:
	v_lshl_add_u32 v0, v35, 2, 0
	v_mov_b32_e32 v1, 0
	ds_write_b32 v0, v1
                                        ; implicit-def: $vgpr0
.LBB19_377:
	s_andn2_saveexec_b64 s[4:5], s[4:5]
	s_cbranch_execz .LBB19_379
; %bb.378:
	v_mad_u64_u32 v[0:1], s[10:11], v0, s67, v[34:35]
	v_ashrrev_i32_e32 v1, 31, v0
	v_lshlrev_b64 v[0:1], 3, v[0:1]
	v_mov_b32_e32 v2, s7
	v_add_co_u32_e32 v0, vcc, s6, v0
	v_addc_co_u32_e32 v1, vcc, v2, v1, vcc
	global_load_dwordx2 v[0:1], v[0:1], off
	s_waitcnt vmcnt(0)
	v_cvt_f16_f32_e32 v0, v0
	v_cvt_f16_f32_e32 v1, v1
	v_pack_b32_f16 v0, v0, v1
	v_pk_mul_f16 v0, v121, v0
	v_lshl_add_u32 v1, v35, 2, 0
	ds_write_b32 v1, v0
.LBB19_379:
	s_or_b64 exec, exec, s[4:5]
	v_add_u32_e32 v45, 8, v103
	v_add_u32_e32 v0, s33, v45
	v_readlane_b32 s16, v253, 7
	v_cmp_le_i32_e32 vcc, s16, v0
	v_readlane_b32 s17, v253, 8
	v_readlane_b32 s18, v253, 9
	v_readlane_b32 s19, v253, 10
	s_and_saveexec_b64 s[4:5], vcc
	s_xor_b64 s[4:5], exec, s[4:5]
	s_cbranch_execz .LBB19_381
; %bb.380:
	v_mad_u32_u24 v0, v45, 60, v34
	v_lshl_add_u32 v0, v0, 2, 0
	v_mov_b32_e32 v1, 0
	ds_write_b32 v0, v1
                                        ; implicit-def: $vgpr0
.LBB19_381:
	s_andn2_saveexec_b64 s[4:5], s[4:5]
	s_cbranch_execz .LBB19_383
; %bb.382:
	v_mad_u64_u32 v[0:1], s[10:11], v0, s67, v[34:35]
	v_ashrrev_i32_e32 v1, 31, v0
	v_lshlrev_b64 v[0:1], 3, v[0:1]
	v_mov_b32_e32 v2, s7
	v_add_co_u32_e32 v0, vcc, s6, v0
	v_addc_co_u32_e32 v1, vcc, v2, v1, vcc
	global_load_dwordx2 v[0:1], v[0:1], off
	v_mad_u32_u24 v2, v45, 60, v34
	s_waitcnt vmcnt(0)
	v_cvt_f16_f32_e32 v0, v0
	v_cvt_f16_f32_e32 v1, v1
	v_pack_b32_f16 v0, v0, v1
	v_pk_mul_f16 v0, v121, v0
	v_lshl_add_u32 v1, v2, 2, 0
	ds_write_b32 v1, v0
.LBB19_383:
	s_or_b64 exec, exec, s[4:5]
	v_add_u32_e32 v105, 16, v103
	v_add_u32_e32 v0, s33, v105
	v_readlane_b32 s16, v253, 7
	v_cmp_le_i32_e32 vcc, s16, v0
	v_readlane_b32 s17, v253, 8
	v_readlane_b32 s18, v253, 9
	v_readlane_b32 s19, v253, 10
	s_and_saveexec_b64 s[4:5], vcc
	s_xor_b64 s[4:5], exec, s[4:5]
	s_cbranch_execz .LBB19_385
; %bb.384:
	v_mad_u32_u24 v0, v105, 60, v34
	v_lshl_add_u32 v0, v0, 2, 0
	v_mov_b32_e32 v1, 0
	ds_write_b32 v0, v1
                                        ; implicit-def: $vgpr0
.LBB19_385:
	s_andn2_saveexec_b64 s[4:5], s[4:5]
	s_cbranch_execz .LBB19_387
; %bb.386:
	v_mad_u64_u32 v[0:1], s[10:11], v0, s67, v[34:35]
	v_ashrrev_i32_e32 v1, 31, v0
	v_lshlrev_b64 v[0:1], 3, v[0:1]
	v_mov_b32_e32 v2, s7
	v_add_co_u32_e32 v0, vcc, s6, v0
	v_addc_co_u32_e32 v1, vcc, v2, v1, vcc
	global_load_dwordx2 v[0:1], v[0:1], off
	v_mad_u32_u24 v2, v105, 60, v34
	s_waitcnt vmcnt(0)
	v_cvt_f16_f32_e32 v0, v0
	v_cvt_f16_f32_e32 v1, v1
	v_pack_b32_f16 v0, v0, v1
	v_pk_mul_f16 v0, v121, v0
	v_lshl_add_u32 v1, v2, 2, 0
	ds_write_b32 v1, v0
.LBB19_387:
	;; [unrolled: 37-line block ×7, first 2 shown]
	s_or_b64 exec, exec, s[4:5]
	v_lshrrev_b32_e32 v0, 4, v106
	v_lshl_add_u32 v110, v120, 2, v0
	v_and_b32_e32 v109, 15, v106
	v_add_u32_e32 v0, s33, v110
	v_readlane_b32 s16, v253, 7
	v_cmp_le_i32_e32 vcc, s16, v0
	v_mad_u32_u24 v112, v110, 60, v109
	v_readlane_b32 s17, v253, 8
	v_readlane_b32 s18, v253, 9
	;; [unrolled: 1-line block ×3, first 2 shown]
	s_and_saveexec_b64 s[4:5], vcc
	s_xor_b64 s[4:5], exec, s[4:5]
	s_cbranch_execz .LBB19_409
; %bb.408:
	v_lshl_add_u32 v0, v112, 2, 0
	v_mov_b32_e32 v1, 0
	ds_write_b32 v0, v1 offset:128
                                        ; implicit-def: $vgpr0
.LBB19_409:
	s_andn2_saveexec_b64 s[4:5], s[4:5]
	s_cbranch_execz .LBB19_411
; %bb.410:
	v_mul_lo_u32 v0, v0, s67
	v_ashrrev_i32_e32 v1, 31, v0
	v_add_co_u32_e32 v0, vcc, v0, v109
	v_addc_co_u32_e32 v1, vcc, 0, v1, vcc
	v_lshlrev_b64 v[0:1], 3, v[0:1]
	v_mov_b32_e32 v2, s7
	v_add_co_u32_e32 v0, vcc, s6, v0
	v_addc_co_u32_e32 v1, vcc, v2, v1, vcc
	global_load_dwordx2 v[0:1], v[0:1], off offset:256
	s_waitcnt vmcnt(0)
	v_cvt_f16_f32_e32 v0, v0
	v_cvt_f16_f32_e32 v1, v1
	v_pack_b32_f16 v0, v0, v1
	v_pk_mul_f16 v0, v121, v0
	v_lshl_add_u32 v1, v112, 2, 0
	ds_write_b32 v1, v0 offset:128
.LBB19_411:
	s_or_b64 exec, exec, s[4:5]
	v_add_u32_e32 v113, 16, v110
	v_add_u32_e32 v0, s33, v113
	v_readlane_b32 s16, v253, 7
	v_cmp_le_i32_e32 vcc, s16, v0
	v_readlane_b32 s17, v253, 8
	v_readlane_b32 s18, v253, 9
	v_readlane_b32 s19, v253, 10
	s_and_saveexec_b64 s[4:5], vcc
	s_xor_b64 s[4:5], exec, s[4:5]
	s_cbranch_execz .LBB19_413
; %bb.412:
	v_mad_u32_u24 v0, v113, 60, v109
	v_lshl_add_u32 v0, v0, 2, 0
	v_mov_b32_e32 v1, 0
	ds_write_b32 v0, v1 offset:128
                                        ; implicit-def: $vgpr0
.LBB19_413:
	s_andn2_saveexec_b64 s[4:5], s[4:5]
	s_cbranch_execz .LBB19_415
; %bb.414:
	v_mul_lo_u32 v0, v0, s67
	v_ashrrev_i32_e32 v1, 31, v0
	v_add_co_u32_e32 v0, vcc, v0, v109
	v_addc_co_u32_e32 v1, vcc, 0, v1, vcc
	v_lshlrev_b64 v[0:1], 3, v[0:1]
	v_mov_b32_e32 v2, s7
	v_add_co_u32_e32 v0, vcc, s6, v0
	v_addc_co_u32_e32 v1, vcc, v2, v1, vcc
	global_load_dwordx2 v[0:1], v[0:1], off offset:256
	v_mad_u32_u24 v2, v113, 60, v109
	s_waitcnt vmcnt(0)
	v_cvt_f16_f32_e32 v0, v0
	v_cvt_f16_f32_e32 v1, v1
	v_pack_b32_f16 v0, v0, v1
	v_pk_mul_f16 v0, v121, v0
	v_lshl_add_u32 v1, v2, 2, 0
	ds_write_b32 v1, v0 offset:128
.LBB19_415:
	s_or_b64 exec, exec, s[4:5]
	v_add_u32_e32 v116, 32, v110
	v_add_u32_e32 v0, s33, v116
	v_readlane_b32 s16, v253, 7
	v_cmp_le_i32_e32 vcc, s16, v0
	v_readlane_b32 s17, v253, 8
	v_readlane_b32 s18, v253, 9
	v_readlane_b32 s19, v253, 10
	s_and_saveexec_b64 s[4:5], vcc
	s_xor_b64 s[4:5], exec, s[4:5]
	s_cbranch_execz .LBB19_417
; %bb.416:
	v_mad_u32_u24 v0, v116, 60, v109
	v_lshl_add_u32 v0, v0, 2, 0
	v_mov_b32_e32 v1, 0
	ds_write_b32 v0, v1 offset:128
                                        ; implicit-def: $vgpr0
.LBB19_417:
	s_andn2_saveexec_b64 s[4:5], s[4:5]
	s_cbranch_execz .LBB19_419
; %bb.418:
	v_mul_lo_u32 v0, v0, s67
	v_ashrrev_i32_e32 v1, 31, v0
	v_add_co_u32_e32 v0, vcc, v0, v109
	v_addc_co_u32_e32 v1, vcc, 0, v1, vcc
	v_lshlrev_b64 v[0:1], 3, v[0:1]
	v_mov_b32_e32 v2, s7
	v_add_co_u32_e32 v0, vcc, s6, v0
	v_addc_co_u32_e32 v1, vcc, v2, v1, vcc
	global_load_dwordx2 v[0:1], v[0:1], off offset:256
	v_mad_u32_u24 v2, v116, 60, v109
	s_waitcnt vmcnt(0)
	v_cvt_f16_f32_e32 v0, v0
	v_cvt_f16_f32_e32 v1, v1
	v_pack_b32_f16 v0, v0, v1
	v_pk_mul_f16 v0, v121, v0
	v_lshl_add_u32 v1, v2, 2, 0
	ds_write_b32 v1, v0 offset:128
.LBB19_419:
	;; [unrolled: 39-line block ×3, first 2 shown]
	s_or_b64 exec, exec, s[4:5]
	v_lshrrev_b32_e32 v13, 3, v106
	v_lshl_add_u32 v115, v120, 3, v13
	v_add_u32_e32 v0, s33, v115
	v_readlane_b32 s16, v253, 7
	v_and_b32_e32 v114, 7, v106
	v_cmp_le_i32_e32 vcc, s16, v0
	v_readlane_b32 s17, v253, 8
	v_readlane_b32 s18, v253, 9
	;; [unrolled: 1-line block ×3, first 2 shown]
	s_and_saveexec_b64 s[4:5], vcc
	s_xor_b64 s[4:5], exec, s[4:5]
	s_cbranch_execz .LBB19_425
; %bb.424:
	v_mad_u32_u24 v0, v115, 60, v114
	v_lshl_add_u32 v0, v0, 2, 0
	v_mov_b32_e32 v1, 0
	ds_write_b32 v0, v1 offset:192
                                        ; implicit-def: $vgpr0
.LBB19_425:
	s_andn2_saveexec_b64 s[4:5], s[4:5]
	s_cbranch_execz .LBB19_427
; %bb.426:
	v_mul_lo_u32 v0, v0, s67
	v_ashrrev_i32_e32 v1, 31, v0
	v_add_co_u32_e32 v0, vcc, v0, v114
	v_addc_co_u32_e32 v1, vcc, 0, v1, vcc
	v_lshlrev_b64 v[0:1], 3, v[0:1]
	v_mov_b32_e32 v2, s7
	v_add_co_u32_e32 v0, vcc, s6, v0
	v_addc_co_u32_e32 v1, vcc, v2, v1, vcc
	global_load_dwordx2 v[0:1], v[0:1], off offset:384
	v_mad_u32_u24 v2, v115, 60, v114
	s_waitcnt vmcnt(0)
	v_cvt_f16_f32_e32 v0, v0
	v_cvt_f16_f32_e32 v1, v1
	v_pack_b32_f16 v0, v0, v1
	v_pk_mul_f16 v0, v121, v0
	v_lshl_add_u32 v1, v2, 2, 0
	ds_write_b32 v1, v0 offset:192
.LBB19_427:
	s_or_b64 exec, exec, s[4:5]
	v_add_u32_e32 v132, 32, v115
	v_add_u32_e32 v0, s33, v132
	v_readlane_b32 s16, v253, 7
	v_cmp_le_i32_e32 vcc, s16, v0
	v_readlane_b32 s17, v253, 8
	v_readlane_b32 s18, v253, 9
	;; [unrolled: 1-line block ×3, first 2 shown]
	s_and_saveexec_b64 s[4:5], vcc
	s_xor_b64 s[4:5], exec, s[4:5]
	s_cbranch_execz .LBB19_429
; %bb.428:
	v_mad_u32_u24 v0, v132, 60, v114
	v_lshl_add_u32 v0, v0, 2, 0
	v_mov_b32_e32 v1, 0
	ds_write_b32 v0, v1 offset:192
                                        ; implicit-def: $vgpr0
                                        ; implicit-def: $vgpr121
.LBB19_429:
	s_andn2_saveexec_b64 s[4:5], s[4:5]
	s_cbranch_execz .LBB19_431
; %bb.430:
	v_mul_lo_u32 v0, v0, s67
	v_ashrrev_i32_e32 v1, 31, v0
	v_add_co_u32_e32 v0, vcc, v0, v114
	v_addc_co_u32_e32 v1, vcc, 0, v1, vcc
	v_lshlrev_b64 v[0:1], 3, v[0:1]
	v_mov_b32_e32 v2, s7
	v_add_co_u32_e32 v0, vcc, s6, v0
	v_addc_co_u32_e32 v1, vcc, v2, v1, vcc
	global_load_dwordx2 v[0:1], v[0:1], off offset:384
	v_mad_u32_u24 v2, v132, 60, v114
	s_waitcnt vmcnt(0)
	v_cvt_f16_f32_e32 v0, v0
	v_cvt_f16_f32_e32 v1, v1
	v_pack_b32_f16 v0, v0, v1
	v_pk_mul_f16 v0, v121, v0
	v_lshl_add_u32 v1, v2, 2, 0
	ds_write_b32 v1, v0 offset:192
.LBB19_431:
	s_or_b64 exec, exec, s[4:5]
	v_readlane_b32 s6, v253, 23
	v_readlane_b32 s7, v253, 24
	s_mul_i32 s4, s12, s7
	s_mul_hi_u32 s5, s12, s6
	s_add_i32 s4, s5, s4
	s_mul_i32 s5, s14, s6
	v_readlane_b32 s16, v253, 29
	s_add_i32 s4, s4, s5
	s_mul_i32 s5, s12, s6
	v_readlane_b32 s19, v253, 32
	s_add_u32 s5, s40, s5
	s_mul_i32 s6, s13, s19
	s_addc_u32 s4, s41, s4
	s_ashr_i32 s7, s6, 31
	v_readlane_b32 s17, v253, 30
	s_add_u32 s48, s5, s6
	s_addc_u32 s49, s4, s7
	s_mul_i32 s4, s12, s17
	s_mul_hi_u32 s5, s12, s16
	s_add_i32 s4, s5, s4
	s_mul_i32 s14, s14, s16
	v_readlane_b32 s6, v253, 27
	s_add_i32 s4, s4, s14
	s_mul_i32 s12, s12, s16
	v_readlane_b32 s7, v253, 28
	s_add_u32 s5, s38, s12
	s_mul_i32 s13, s13, s7
	s_addc_u32 s4, s39, s4
	s_ashr_i32 s6, s13, 31
	s_add_u32 s50, s5, s13
	s_addc_u32 s51, s4, s6
	s_movk_i32 s4, 0xf00
	v_and_b32_e32 v0, 0x7e, v13
	v_mad_u32_u24 v14, v120, s4, 0
	v_mul_u32_u24_e32 v134, 0xf0, v109
	v_lshlrev_b32_e32 v135, 2, v0
	v_add3_u32 v118, v14, v134, v135
	s_waitcnt lgkmcnt(0)
	s_barrier
	ds_read2_b64 v[8:11], v118 offset1:4
	ds_read2_b64 v[4:7], v118 offset0:8 offset1:12
	ds_read2_b64 v[0:3], v118 offset0:16 offset1:20
	ds_read_b64 v[30:31], v118 offset:192
	v_add_u32_e32 v143, -1, v12
	v_readlane_b32 s14, v253, 58
	v_readlane_b32 s42, v253, 60
	v_cmp_ge_i32_e32 vcc, s58, v143
	v_mul_lo_u32 v42, s14, v115
	v_mul_lo_u32 v36, s42, v132
	;; [unrolled: 1-line block ×3, first 2 shown]
	s_movk_i32 s10, 0xf0
	s_mov_b32 s59, 0
	s_and_b64 vcc, exec, vcc
	v_mov_b32_e32 v129, 0
	v_lshlrev_b32_e32 v142, 1, v106
	v_mbcnt_lo_u32_b32 v127, -1, 0
	v_lshrrev_b32_e32 v138, 1, v106
	v_lshrrev_b32_e32 v128, 2, v106
	v_ashrrev_i32_e32 v43, 31, v42
	v_lshl_add_u32 v32, s14, 5, v42
	v_lshl_or_b32 v133, v13, 2, 4
	v_ashrrev_i32_e32 v37, 31, v36
	v_ashrrev_i32_e32 v41, 31, v40
	v_lshlrev_b32_e32 v119, 1, v109
	v_readlane_b32 s18, v253, 31
	s_waitcnt lgkmcnt(0)
	s_barrier
	v_readlane_b32 s15, v253, 59
	v_readlane_b32 s43, v253, 61
	s_cbranch_vccnz .LBB19_451
; %bb.432:
	v_add_u32_e32 v33, s33, v120
	v_readlane_b32 s20, v253, 17
	v_add_u32_e32 v39, 36, v33
	v_mul_hi_u32 v44, s20, v39
	v_readlane_b32 s21, v253, 18
	v_add_u32_e32 v44, v39, v44
	v_readlane_b32 s16, v253, 7
	v_lshrrev_b32_e32 v44, s21, v44
	v_readlane_b32 s18, v253, 9
	v_readlane_b32 s19, v253, 10
	v_mul_lo_u32 v44, v44, s16
	v_readlane_b32 s18, v253, 56
	v_sub_u32_e32 v39, v39, v44
	v_mad_i64_i32 v[66:67], s[12:13], v39, s18, 0
	v_add_u32_e32 v39, 40, v33
	v_mul_hi_u32 v44, s20, v39
	v_add_u32_e32 v44, v39, v44
	v_lshrrev_b32_e32 v44, s21, v44
	v_mul_lo_u32 v44, v44, s16
	v_sub_u32_e32 v39, v39, v44
	v_mad_i64_i32 v[68:69], s[12:13], v39, s18, 0
	v_add_u32_e32 v39, 44, v33
	v_mul_hi_u32 v44, s20, v39
	v_add_u32_e32 v44, v39, v44
	v_lshrrev_b32_e32 v44, s21, v44
	v_mul_lo_u32 v44, v44, s16
	;; [unrolled: 7-line block ×4, first 2 shown]
	v_sub_u32_e32 v39, v39, v44
	v_mov_b32_e32 v12, s9
	v_add_co_u32_e32 v145, vcc, s8, v142
	v_mad_i64_i32 v[74:75], s[12:13], v39, s18, 0
	v_add_u32_e32 v39, 56, v33
	v_addc_co_u32_e32 v146, vcc, 0, v12, vcc
	v_mul_hi_u32 v12, s20, v33
	v_mul_hi_u32 v44, s20, v39
	v_add_u32_e32 v12, v33, v12
	v_add_u32_e32 v44, v39, v44
	v_lshrrev_b32_e32 v12, s21, v12
	v_lshrrev_b32_e32 v44, s21, v44
	v_mul_lo_u32 v12, v12, s16
	v_mul_i32_i24_e32 v15, 0xfffff190, v120
	v_mul_lo_u32 v44, v44, s16
	v_sub_u32_e32 v12, v33, v12
	v_add3_u32 v147, v14, v15, v142
	v_add_u32_e32 v14, 4, v33
	v_add_u32_e32 v16, 8, v33
	;; [unrolled: 1-line block ×8, first 2 shown]
	v_sub_u32_e32 v39, v39, v44
	v_add_u32_e32 v33, 60, v33
	v_mad_i64_i32 v[76:77], s[12:13], v39, s18, 0
	v_mul_hi_u32 v39, s20, v33
	v_add_u32_e32 v39, v33, v39
	v_lshrrev_b32_e32 v39, s21, v39
	v_mul_lo_u32 v39, v39, s16
	v_sub_u32_e32 v33, v33, v39
	v_mad_i64_i32 v[78:79], s[12:13], v33, s18, 0
	v_mbcnt_hi_u32_b32 v33, -1, v127
	v_and_b32_e32 v39, 64, v33
	v_add_u32_e32 v39, 64, v39
	v_xor_b32_e32 v44, 32, v33
	v_mul_hi_u32 v15, s20, v14
	v_mul_hi_u32 v17, s20, v16
	;; [unrolled: 1-line block ×8, first 2 shown]
	v_cmp_lt_i32_e32 vcc, v44, v39
	v_add_u32_e32 v15, v14, v15
	v_add_u32_e32 v17, v16, v17
	;; [unrolled: 1-line block ×8, first 2 shown]
	v_cndmask_b32_e32 v44, v33, v44, vcc
	v_lshrrev_b32_e32 v15, s21, v15
	v_lshrrev_b32_e32 v17, s21, v17
	;; [unrolled: 1-line block ×8, first 2 shown]
	v_lshlrev_b32_e32 v164, 2, v44
	v_xor_b32_e32 v44, 16, v33
	v_mul_lo_u32 v15, v15, s16
	v_mul_lo_u32 v17, v17, s16
	;; [unrolled: 1-line block ×8, first 2 shown]
	v_cmp_lt_i32_e32 vcc, v44, v39
	v_lshlrev_b32_e32 v46, 2, v106
	v_sub_u32_e32 v14, v14, v15
	v_sub_u32_e32 v16, v16, v17
	;; [unrolled: 1-line block ×8, first 2 shown]
	v_cndmask_b32_e32 v33, v33, v44, vcc
	v_lshl_add_u32 v39, v120, 5, v138
	v_and_b32_e32 v44, 4, v46
	v_mad_i64_i32 v[12:13], s[12:13], v12, s18, 0
	v_mad_i64_i32 v[14:15], s[12:13], v14, s18, 0
	;; [unrolled: 1-line block ×9, first 2 shown]
	v_lshlrev_b32_e32 v165, 2, v33
	v_mad_u32_u24 v33, v39, s10, 0
	v_lshlrev_b32_e32 v47, 2, v44
	s_movk_i32 s18, 0xc0
	v_lshlrev_b32_e32 v51, 4, v120
	v_add3_u32 v166, v33, v47, s18
	v_add_u32_e32 v47, v51, v128
	v_or_b32_e32 v51, v51, v109
	s_movk_i32 s16, 0x90
	v_and_b32_e32 v50, 0xfc, v128
	v_mad_u32_u24 v51, v51, s16, 0
	v_lshl_add_u32 v168, v50, 1, v51
	v_add_u32_e32 v169, v51, v133
	v_mul_u32_u24_e32 v51, 0x78, v50
	s_cmp_lg_u64 s[8:9], 0
	v_or_b32_e32 v51, v51, v109
	s_cselect_b64 s[46:47], -1, 0
	v_mad_u32_u24 v48, v47, s10, 0
	v_cmp_gt_u32_e64 s[10:11], 64, v47
	v_mul_lo_u32 v82, s14, v47
	v_mul_lo_u32 v88, s42, v39
	;; [unrolled: 1-line block ×3, first 2 shown]
	v_lshlrev_b32_e32 v47, 1, v51
	s_add_i32 s42, 0, 0xf00
	v_add_u32_e32 v173, s42, v47
	s_add_i32 s42, 0, 0x1e00
	v_add_u32_e32 v174, s42, v47
	;; [unrolled: 2-line block ×19, first 2 shown]
	s_add_i32 s42, 0, 0x1ea0
	v_cmp_gt_u32_e64 s[44:45], 64, v39
	v_mul_lo_u32 v80, s14, v39
	v_or_b32_e32 v39, 3, v128
	v_add_u32_e32 v194, s42, v47
	s_add_i32 s42, 0, 0x2da0
	v_mul_u32_u24_e32 v39, 0xf0, v39
	v_add_u32_e32 v195, s42, v47
	s_add_i32 s42, 0, 0xc0
	v_and_b32_e32 v84, 12, v46
	s_movk_i32 s60, 0x80
	v_add3_u32 v172, 0, v39, v119
	v_add_u32_e32 v196, s42, v47
	s_add_i32 s42, 0, 0xfc0
	v_lshlrev_b32_e32 v39, 2, v84
	v_and_b32_e32 v86, 28, v46
	v_mul_u32_u24_e32 v49, 0xf0, v115
	v_add_u32_e32 v197, s42, v47
	s_add_i32 s42, 0, 0x1ec0
	v_add3_u32 v200, v48, v39, s60
	v_lshlrev_b32_e32 v39, 2, v86
	v_readlane_b32 s17, v253, 8
	v_readlane_b32 s19, v253, 57
	s_mov_b64 s[52:53], src_private_base
	v_ashrrev_i32_e32 v81, 31, v80
	v_ashrrev_i32_e32 v83, 31, v82
	;; [unrolled: 1-line block ×3, first 2 shown]
	v_add_u32_e32 v92, 32, v168
	v_add_u32_e32 v93, 64, v168
	;; [unrolled: 1-line block ×3, first 2 shown]
	s_movk_i32 s16, 0x100
	v_cmp_gt_u32_e64 s[20:21], 47, v50
	v_cmp_gt_u32_e64 s[22:23], 46, v50
	;; [unrolled: 1-line block ×9, first 2 shown]
	v_ashrrev_i32_e32 v89, 31, v88
	v_mul_u32_u24_e32 v50, 0xf0, v50
	v_ashrrev_i32_e32 v91, 31, v90
	v_add_u32_e32 v198, s42, v47
	s_add_i32 s42, 0, 0x2dc0
	v_add3_u32 v201, 0, v49, v39
	v_cmp_gt_u32_e64 s[4:5], 64, v106
	v_cmp_lt_u32_e64 s[6:7], 63, v106
	v_mov_b32_e32 v144, 0
	v_add_u32_e32 v148, 0x240, v147
	v_add_u32_e32 v149, 0x480, v147
	;; [unrolled: 1-line block ×15, first 2 shown]
	s_mov_b32 s52, 0
	v_cmp_gt_u32_e64 s[12:13], 64, v115
	v_cmp_gt_u32_e64 s[14:15], 32, v115
	v_add3_u32 v167, 0, v134, v135
	v_cmp_gt_u32_e64 s[16:17], s16, v106
	v_cmp_gt_u32_e64 s[18:19], s18, v106
	;; [unrolled: 1-line block ×3, first 2 shown]
	v_add_u32_e32 v170, 0, v47
	v_add3_u32 v171, 0, v50, v119
	v_add3_u32 v176, 0, 32, v47
	;; [unrolled: 1-line block ×3, first 2 shown]
	v_add_u32_e32 v199, s42, v47
	v_add_u32_e32 v202, 0x1e00, v201
	v_mov_b32_e32 v46, v38
	v_mov_b32_e32 v47, v38
	s_lshl_b32 s54, s58, 6
	v_mov_b32_e32 v96, 0xfeffffff
	v_lshlrev_b64 v[48:49], 1, v[12:13]
	v_lshlrev_b64 v[50:51], 1, v[14:15]
	;; [unrolled: 1-line block ×18, first 2 shown]
	v_lshlrev_b32_e32 v203, 2, v84
	v_lshlrev_b64 v[84:85], 2, v[42:43]
	v_lshlrev_b32_e32 v204, 2, v86
	v_lshlrev_b64 v[86:87], 2, v[32:33]
	v_add_u32_e32 v33, 0x3c00, v92
	v_add_u32_e32 v205, 0x3c00, v93
	;; [unrolled: 1-line block ×3, first 2 shown]
	v_lshlrev_b64 v[88:89], 2, v[88:89]
	s_mov_b32 s61, 0x3fb8aa3b
	s_mov_b32 s62, 0xc2ce8ed0
	;; [unrolled: 1-line block ×4, first 2 shown]
	v_lshlrev_b64 v[90:91], 2, v[90:91]
	v_lshlrev_b64 v[92:93], 2, v[40:41]
	;; [unrolled: 1-line block ×3, first 2 shown]
	s_mov_b32 s65, 0x5040100
	v_mov_b32_e32 v207, 0x7f800000
	v_mov_b32_e32 v208, 0
	;; [unrolled: 1-line block ×16, first 2 shown]
.LBB19_433:                             ; =>This Inner Loop Header: Depth=1
	v_cndmask_b32_e64 v12, 0, 1, s[46:47]
	v_cmp_ne_u32_e64 s[42:43], 1, v12
	s_andn2_b64 vcc, exec, s[46:47]
	s_ashr_i32 s55, s54, 31
	s_cbranch_vccnz .LBB19_443
; %bb.434:                              ;   in Loop: Header=BB19_433 Depth=1
                                        ; implicit-def: $sgpr66
	s_and_saveexec_b64 s[56:57], s[6:7]
	s_xor_b64 s[56:57], exec, s[56:57]
	s_cbranch_execz .LBB19_436
; %bb.435:                              ;   in Loop: Header=BB19_433 Depth=1
	ds_write_b16 v147, v144 offset:15360
	ds_write_b16 v148, v144 offset:15360
	;; [unrolled: 1-line block ×4, first 2 shown]
	s_mov_b32 s66, 0
.LBB19_436:                             ;   in Loop: Header=BB19_433 Depth=1
	s_or_saveexec_b64 s[56:57], s[56:57]
	s_lshl_b64 s[68:69], s[54:55], 1
	v_mov_b32_e32 v13, s69
	v_add_co_u32_e32 v12, vcc, s68, v145
	v_addc_co_u32_e32 v13, vcc, v146, v13, vcc
	v_mov_b32_e32 v14, s66
	v_mov_b32_e32 v15, s66
	;; [unrolled: 1-line block ×4, first 2 shown]
	s_xor_b64 exec, exec, s[56:57]
	s_cbranch_execz .LBB19_438
; %bb.437:                              ;   in Loop: Header=BB19_433 Depth=1
	v_add_co_u32_e32 v14, vcc, v12, v48
	v_addc_co_u32_e32 v15, vcc, v13, v49, vcc
	v_add_co_u32_e32 v16, vcc, v12, v50
	v_addc_co_u32_e32 v17, vcc, v13, v51, vcc
	;; [unrolled: 2-line block ×3, first 2 shown]
	flat_load_ushort v24, v[14:15]
	flat_load_ushort v25, v[16:17]
	;; [unrolled: 1-line block ×3, first 2 shown]
	v_add_co_u32_e32 v14, vcc, v12, v54
	v_addc_co_u32_e32 v15, vcc, v13, v55, vcc
	v_add_co_u32_e32 v16, vcc, v12, v56
	v_addc_co_u32_e32 v17, vcc, v13, v57, vcc
	;; [unrolled: 2-line block ×4, first 2 shown]
	v_add_co_u32_e32 v22, vcc, v12, v62
	flat_load_ushort v27, v[14:15]
	v_addc_co_u32_e32 v23, vcc, v13, v63, vcc
	s_waitcnt vmcnt(0) lgkmcnt(0)
	ds_write_b16 v147, v24 offset:15360
	ds_write_b16 v148, v25 offset:15360
	;; [unrolled: 1-line block ×3, first 2 shown]
	flat_load_ushort v14, v[16:17]
	flat_load_ushort v15, v[18:19]
	s_nop 0
	flat_load_ushort v16, v[20:21]
	flat_load_ushort v17, v[22:23]
	ds_write_b16 v150, v27 offset:15360
.LBB19_438:                             ;   in Loop: Header=BB19_433 Depth=1
	s_or_b64 exec, exec, s[56:57]
	s_waitcnt vmcnt(0) lgkmcnt(0)
	ds_write_b16 v152, v14 offset:15360
	ds_write_b16 v153, v15 offset:15360
	;; [unrolled: 1-line block ×4, first 2 shown]
                                        ; implicit-def: $sgpr55
	s_and_saveexec_b64 s[56:57], s[6:7]
	s_xor_b64 s[56:57], exec, s[56:57]
	s_cbranch_execz .LBB19_440
; %bb.439:                              ;   in Loop: Header=BB19_433 Depth=1
	ds_write_b16 v156, v144 offset:15360
	ds_write_b16 v157, v144 offset:15360
	;; [unrolled: 1-line block ×4, first 2 shown]
	s_mov_b32 s55, 0
                                        ; implicit-def: $vgpr12
                                        ; implicit-def: $vgpr13
.LBB19_440:                             ;   in Loop: Header=BB19_433 Depth=1
	s_or_saveexec_b64 s[56:57], s[56:57]
	v_mov_b32_e32 v14, s55
	v_mov_b32_e32 v15, s55
	;; [unrolled: 1-line block ×4, first 2 shown]
	s_xor_b64 exec, exec, s[56:57]
	s_cbranch_execz .LBB19_442
; %bb.441:                              ;   in Loop: Header=BB19_433 Depth=1
	v_add_co_u32_e32 v14, vcc, v12, v64
	v_addc_co_u32_e32 v15, vcc, v13, v65, vcc
	v_add_co_u32_e32 v16, vcc, v12, v66
	v_addc_co_u32_e32 v17, vcc, v13, v67, vcc
	;; [unrolled: 2-line block ×8, first 2 shown]
	flat_load_ushort v28, v[14:15]
	flat_load_ushort v29, v[16:17]
	s_nop 0
	flat_load_ushort v18, v[18:19]
	s_nop 0
	flat_load_ushort v19, v[20:21]
	flat_load_ushort v14, v[22:23]
	;; [unrolled: 1-line block ×5, first 2 shown]
	s_waitcnt vmcnt(0) lgkmcnt(0)
	ds_write_b16 v156, v28 offset:15360
	ds_write_b16 v157, v29 offset:15360
	ds_write_b16 v158, v18 offset:15360
	ds_write_b16 v159, v19 offset:15360
.LBB19_442:                             ;   in Loop: Header=BB19_433 Depth=1
	s_or_b64 exec, exec, s[56:57]
	ds_write_b16 v160, v14 offset:15360
	ds_write_b16 v161, v15 offset:15360
	;; [unrolled: 1-line block ×4, first 2 shown]
.LBB19_443:                             ;   in Loop: Header=BB19_433 Depth=1
	v_readlane_b32 s56, v253, 58
	v_readlane_b32 s57, v253, 59
	s_mul_hi_i32 s57, s54, s56
	s_mul_i32 s56, s54, s56
	s_lshl_b64 s[56:57], s[56:57], 2
	s_add_u32 s55, s50, s56
	s_addc_u32 s66, s51, s57
	buffer_store_dword v144, off, s[0:3], 0
	buffer_store_dword v144, off, s[0:3], 0 offset:4
	buffer_store_dword v144, off, s[0:3], 0 offset:8
	;; [unrolled: 1-line block ×3, first 2 shown]
	s_and_saveexec_b64 s[56:57], s[44:45]
	s_cbranch_execz .LBB19_445
; %bb.444:                              ;   in Loop: Header=BB19_433 Depth=1
	v_mov_b32_e32 v12, s66
	v_add_co_u32_e32 v13, vcc, s55, v80
	v_addc_co_u32_e32 v14, vcc, v12, v81, vcc
	v_lshlrev_b32_e32 v12, 2, v44
	v_add_co_u32_e32 v12, vcc, v13, v12
	v_addc_co_u32_e32 v13, vcc, 0, v14, vcc
	global_load_dwordx4 v[12:15], v[12:13], off offset:192
	s_waitcnt vmcnt(0)
	ds_write_b128 v166, v[12:15]
.LBB19_445:                             ;   in Loop: Header=BB19_433 Depth=1
	s_or_b64 exec, exec, s[56:57]
	v_mov_b32_e32 v12, s66
	v_add_co_u32_e32 v13, vcc, s55, v82
	v_addc_co_u32_e32 v12, vcc, v12, v83, vcc
	v_add_co_u32_e32 v13, vcc, v13, v203
	v_addc_co_u32_e32 v12, vcc, 0, v12, vcc
	;; [unrolled: 2-line block ×3, first 2 shown]
	v_mov_b32_e32 v18, s53
	v_mov_b32_e32 v19, s52
	v_cndmask_b32_e64 v13, v18, v12, s[10:11]
	v_cndmask_b32_e64 v12, v19, v14, s[10:11]
	flat_load_dwordx4 v[12:15], v[12:13]
	v_mov_b32_e32 v16, s66
	v_add_co_u32_e32 v17, vcc, s55, v84
	v_addc_co_u32_e32 v16, vcc, v16, v85, vcc
	v_add_co_u32_e32 v17, vcc, v17, v204
	v_addc_co_u32_e32 v20, vcc, 0, v16, vcc
	v_cndmask_b32_e64 v16, v19, v17, s[12:13]
	v_cndmask_b32_e64 v17, v18, v20, s[12:13]
	v_add_u32_e32 v28, 0x800, v167
	v_add_u32_e32 v29, 0x1800, v167
	;; [unrolled: 1-line block ×3, first 2 shown]
	s_waitcnt vmcnt(0) lgkmcnt(0)
	ds_write_b128 v200, v[12:15]
	flat_load_dwordx4 v[12:15], v[16:17]
	v_mov_b32_e32 v16, s66
	v_add_co_u32_e32 v17, vcc, s55, v86
	v_addc_co_u32_e32 v16, vcc, v16, v87, vcc
	v_add_co_u32_e32 v17, vcc, v17, v204
	v_addc_co_u32_e32 v20, vcc, 0, v16, vcc
	v_cndmask_b32_e64 v16, v19, v17, s[14:15]
	v_cndmask_b32_e64 v17, v18, v20, s[14:15]
	s_and_b64 vcc, exec, s[42:43]
	s_waitcnt vmcnt(0) lgkmcnt(0)
	ds_write_b128 v201, v[12:15]
	flat_load_dwordx4 v[12:15], v[16:17]
	s_waitcnt vmcnt(0) lgkmcnt(0)
	ds_write_b128 v202, v[12:15]
	s_waitcnt lgkmcnt(0)
	s_barrier
	ds_read2_b64 v[12:15], v167 offset1:4
	ds_read2_b64 v[20:23], v28 offset0:224 offset1:228
	ds_read2_b64 v[98:101], v29 offset0:192 offset1:196
	;; [unrolled: 1-line block ×3, first 2 shown]
	s_waitcnt lgkmcnt(3)
	v_mfma_f32_16x16x16f16 v[16:19], v[12:13], v[8:9], 0
	s_waitcnt lgkmcnt(2)
	v_mfma_f32_16x16x16f16 v[24:27], v[20:21], v[8:9], 0
	;; [unrolled: 2-line block ×4, first 2 shown]
	v_mfma_f32_16x16x16f16 v[12:15], v[14:15], v[10:11], v[16:19]
	v_mfma_f32_16x16x16f16 v[16:19], v[22:23], v[10:11], v[24:27]
	;; [unrolled: 1-line block ×3, first 2 shown]
	ds_read2_b64 v[98:101], v167 offset0:8 offset1:12
	v_mfma_f32_16x16x16f16 v[24:27], v[216:217], v[10:11], v[218:221]
	s_nop 4
	ds_read2_b64 v[210:213], v28 offset0:232 offset1:236
	ds_read2_b64 v[214:217], v29 offset0:200 offset1:204
	;; [unrolled: 1-line block ×3, first 2 shown]
	s_waitcnt lgkmcnt(3)
	v_mfma_f32_16x16x16f16 v[12:15], v[98:99], v[4:5], v[12:15]
	s_waitcnt lgkmcnt(2)
	v_mfma_f32_16x16x16f16 v[16:19], v[210:211], v[4:5], v[16:19]
	;; [unrolled: 2-line block ×4, first 2 shown]
	v_mfma_f32_16x16x16f16 v[12:15], v[100:101], v[6:7], v[12:15]
	ds_read2_b64 v[98:101], v167 offset0:16 offset1:20
	v_mfma_f32_16x16x16f16 v[16:19], v[212:213], v[6:7], v[16:19]
	ds_read2_b64 v[210:213], v28 offset0:240 offset1:244
	;; [unrolled: 2-line block ×4, first 2 shown]
	s_waitcnt lgkmcnt(3)
	v_mfma_f32_16x16x16f16 v[12:15], v[98:99], v[0:1], v[12:15]
	s_waitcnt lgkmcnt(2)
	v_mfma_f32_16x16x16f16 v[16:19], v[210:211], v[0:1], v[16:19]
	;; [unrolled: 2-line block ×4, first 2 shown]
	v_mfma_f32_16x16x16f16 v[12:15], v[100:101], v[2:3], v[12:15]
	v_mfma_f32_16x16x16f16 v[16:19], v[212:213], v[2:3], v[16:19]
	;; [unrolled: 1-line block ×3, first 2 shown]
	s_nop 6
	ds_read_b64 v[20:21], v167 offset:192
	ds_read_b64 v[22:23], v167 offset:4032
	;; [unrolled: 1-line block ×4, first 2 shown]
	s_waitcnt lgkmcnt(0)
	s_barrier
	v_mfma_f32_16x16x16f16 v[210:213], v[220:221], v[2:3], v[24:27]
	v_mfma_f32_16x16x16f16 v[26:29], v[20:21], v[30:31], v[12:15]
	;; [unrolled: 1-line block ×5, first 2 shown]
	s_cbranch_vccnz .LBB19_447
; %bb.446:                              ;   in Loop: Header=BB19_433 Depth=1
	ds_read_b32 v39, v168 offset:15360
	ds_read_b32 v97, v169 offset:15360
	ds_read2_b32 v[20:21], v33 offset1:1
	s_nop 1
	ds_read2_b32 v[98:99], v205 offset1:1
	s_waitcnt lgkmcnt(3)
	v_cvt_f32_f16_sdwa v101, v39 dst_sel:DWORD dst_unused:UNUSED_PAD src0_sel:WORD_1
	v_cvt_f32_f16_e32 v100, v39
	s_waitcnt lgkmcnt(1)
	v_cvt_f32_f16_e32 v212, v20
	v_cvt_f32_f16_e32 v214, v21
	v_cvt_f32_f16_sdwa v215, v21 dst_sel:DWORD dst_unused:UNUSED_PAD src0_sel:WORD_1
	v_cvt_f32_f16_sdwa v213, v20 dst_sel:DWORD dst_unused:UNUSED_PAD src0_sel:WORD_1
	ds_read2_b32 v[20:21], v206 offset1:1
	v_cvt_f32_f16_sdwa v211, v97 dst_sel:DWORD dst_unused:UNUSED_PAD src0_sel:WORD_1
	v_cvt_f32_f16_e32 v210, v97
	v_mov_b32_e32 v39, v38
	v_pk_fma_f32 v[26:27], v[46:47], v[100:101], v[26:27]
	v_pk_fma_f32 v[22:23], v[46:47], v[212:213], v[22:23]
	;; [unrolled: 1-line block ×3, first 2 shown]
	s_waitcnt lgkmcnt(1)
	v_cvt_f32_f16_e32 v100, v98
	v_cvt_f32_f16_sdwa v101, v98 dst_sel:DWORD dst_unused:UNUSED_PAD src0_sel:WORD_1
	v_cvt_f32_f16_e32 v98, v99
	v_cvt_f32_f16_sdwa v99, v99 dst_sel:DWORD dst_unused:UNUSED_PAD src0_sel:WORD_1
	s_waitcnt lgkmcnt(0)
	v_cvt_f32_f16_e32 v210, v20
	v_cvt_f32_f16_e32 v212, v21
	v_cvt_f32_f16_sdwa v213, v21 dst_sel:DWORD dst_unused:UNUSED_PAD src0_sel:WORD_1
	v_cvt_f32_f16_sdwa v211, v20 dst_sel:DWORD dst_unused:UNUSED_PAD src0_sel:WORD_1
	v_pk_fma_f32 v[24:25], v[38:39], v[214:215], v[24:25]
	v_pk_fma_f32 v[18:19], v[38:39], v[98:99], v[18:19]
	;; [unrolled: 1-line block ×5, first 2 shown]
.LBB19_447:                             ;   in Loop: Header=BB19_433 Depth=1
	s_nop 6
	v_add_f32_e32 v20, 0x40051340, v26
	v_max_f32_e32 v21, v96, v96
	v_max_f32_e32 v20, v21, v20
	v_cndmask_b32_e64 v20, v96, v20, s[16:17]
	v_add_f32_e32 v21, 0x40051340, v27
	v_max_f32_e32 v20, v20, v20
	v_max_f32_e32 v20, v20, v21
	v_cndmask_b32_e64 v20, v96, v20, s[16:17]
	;; [unrolled: 4-line block ×16, first 2 shown]
	ds_bpermute_b32 v21, v164, v20
	v_max_f32_e32 v20, v20, v20
	v_readlane_b32 s42, v253, 60
	v_readlane_b32 s43, v253, 61
	s_mul_hi_i32 s43, s54, s42
	s_waitcnt lgkmcnt(0)
	v_max_f32_e32 v21, v21, v21
	v_max_f32_e32 v20, v20, v21
	ds_bpermute_b32 v21, v165, v20
	s_mul_i32 s42, s54, s42
	s_lshl_b64 s[42:43], s[42:43], 2
	s_add_u32 s56, s48, s42
	s_addc_u32 s55, s49, s43
	buffer_store_dword v144, off, s[0:3], 0
	buffer_store_dword v144, off, s[0:3], 0 offset:4
	buffer_store_dword v144, off, s[0:3], 0 offset:8
	;; [unrolled: 1-line block ×3, first 2 shown]
	s_and_saveexec_b64 s[42:43], s[44:45]
	s_cbranch_execz .LBB19_449
; %bb.448:                              ;   in Loop: Header=BB19_433 Depth=1
	v_mov_b32_e32 v39, s55
	v_add_co_u32_e32 v97, vcc, s56, v88
	v_addc_co_u32_e32 v39, vcc, v39, v89, vcc
	v_lshlrev_b32_e32 v98, 2, v44
	v_add_co_u32_e32 v98, vcc, v97, v98
	v_addc_co_u32_e32 v99, vcc, 0, v39, vcc
	global_load_dwordx4 v[98:101], v[98:99], off offset:192
	s_waitcnt vmcnt(0)
	ds_write_b128 v166, v[98:101]
.LBB19_449:                             ;   in Loop: Header=BB19_433 Depth=1
	s_or_b64 exec, exec, s[42:43]
	s_waitcnt lgkmcnt(0)
	v_max_f32_e32 v21, v21, v21
	v_max_f32_e32 v20, v20, v20
	;; [unrolled: 1-line block ×3, first 2 shown]
	v_sub_f32_e32 v20, v26, v39
	v_mul_f32_e32 v21, 0x3fb8aa3b, v20
	v_fma_f32 v26, v20, s61, -v21
	v_rndne_f32_e32 v97, v21
	v_fmac_f32_e32 v26, 0x32a5705f, v20
	v_sub_f32_e32 v21, v21, v97
	v_add_f32_e32 v21, v21, v26
	v_add_co_u32_e64 v99, s[42:43], s56, v90
	v_mov_b32_e32 v100, s55
	v_exp_f32_e32 v21, v21
	v_cvt_i32_f32_e32 v26, v97
	v_addc_co_u32_e64 v100, s[42:43], v100, v91, s[42:43]
	v_add_co_u32_e64 v99, s[42:43], v99, v203
	v_addc_co_u32_e64 v100, s[42:43], 0, v100, s[42:43]
	v_add_co_u32_e64 v99, s[42:43], s60, v99
	v_ldexp_f32 v21, v21, v26
	v_sub_f32_e32 v26, v27, v39
	v_addc_co_u32_e64 v100, s[42:43], 0, v100, s[42:43]
	v_mov_b32_e32 v209, s53
	v_mov_b32_e32 v213, s52
	v_mul_f32_e32 v27, 0x3fb8aa3b, v26
	v_cndmask_b32_e64 v101, v209, v100, s[10:11]
	v_cndmask_b32_e64 v100, v213, v99, s[10:11]
	v_fma_f32 v97, v26, s61, -v27
	v_rndne_f32_e32 v98, v27
	flat_load_dwordx4 v[218:221], v[100:101]
	v_fmac_f32_e32 v97, 0x32a5705f, v26
	v_sub_f32_e32 v27, v27, v98
	v_add_f32_e32 v27, v27, v97
	v_exp_f32_e32 v27, v27
	v_cvt_i32_f32_e32 v97, v98
	v_cmp_ngt_f32_e32 vcc, s62, v20
	v_cndmask_b32_e32 v21, 0, v21, vcc
	v_cmp_nlt_f32_e32 vcc, s63, v20
	v_cndmask_b32_e32 v98, v207, v21, vcc
	v_ldexp_f32 v21, v27, v97
	v_cmp_ngt_f32_e32 vcc, s62, v26
	v_cndmask_b32_e32 v21, 0, v21, vcc
	v_cmp_nlt_f32_e32 vcc, s63, v26
	v_cndmask_b32_e32 v26, v207, v21, vcc
	v_cndmask_b32_e64 v21, v28, v28, s[16:17]
	v_sub_f32_e32 v28, v21, v39
	v_mul_f32_e32 v21, 0x3fb8aa3b, v28
	v_cndmask_b32_e64 v20, 0, v98, s[16:17]
	v_add_f32_e32 v27, v98, v26
	v_fma_f32 v97, v28, s61, -v21
	v_rndne_f32_e32 v98, v21
	v_fmac_f32_e32 v97, 0x32a5705f, v28
	v_sub_f32_e32 v21, v21, v98
	v_add_f32_e32 v21, v21, v97
	v_exp_f32_e32 v97, v21
	v_cvt_i32_f32_e32 v98, v98
	v_mov_b32_e32 v21, s59
	v_cndmask_b32_e64 v29, v29, v29, s[16:17]
	v_cndmask_b32_e64 v21, v21, v26, s[16:17]
	v_ldexp_f32 v26, v97, v98
	v_cmp_ngt_f32_e32 vcc, s62, v28
	v_cndmask_b32_e32 v26, 0, v26, vcc
	v_cmp_nlt_f32_e32 vcc, s63, v28
	v_sub_f32_e32 v29, v29, v39
	v_cndmask_b32_e32 v28, v207, v26, vcc
	v_mul_f32_e32 v26, 0x3fb8aa3b, v29
	v_fma_f32 v97, v29, s61, -v26
	v_rndne_f32_e32 v98, v26
	v_fmac_f32_e32 v97, 0x32a5705f, v29
	v_sub_f32_e32 v26, v26, v98
	v_add_f32_e32 v26, v26, v97
	v_exp_f32_e32 v97, v26
	v_cvt_i32_f32_e32 v98, v98
	v_mov_b32_e32 v26, s59
	v_sub_f32_e32 v22, v22, v39
	v_add_f32_e32 v27, v27, v28
	v_cndmask_b32_e64 v26, v26, v28, s[16:17]
	v_ldexp_f32 v28, v97, v98
	v_cmp_ngt_f32_e32 vcc, s62, v29
	v_mul_f32_e32 v98, 0x3fb8aa3b, v22
	v_cndmask_b32_e32 v28, 0, v28, vcc
	v_cmp_nlt_f32_e32 vcc, s63, v29
	v_fma_f32 v29, v22, s61, -v98
	v_rndne_f32_e32 v97, v98
	v_fmac_f32_e32 v29, 0x32a5705f, v22
	v_sub_f32_e32 v98, v98, v97
	v_add_f32_e32 v29, v98, v29
	v_exp_f32_e32 v29, v29
	v_cvt_i32_f32_e32 v97, v97
	v_cndmask_b32_e32 v28, v207, v28, vcc
	v_add_f32_e32 v27, v27, v28
	v_cndmask_b32_e64 v215, 0, v27, s[16:17]
	v_ldexp_f32 v27, v29, v97
	v_cmp_ngt_f32_e32 vcc, s62, v22
	v_cndmask_b32_e64 v23, v23, v23, s[18:19]
	v_cndmask_b32_e32 v27, 0, v27, vcc
	v_cmp_nlt_f32_e32 vcc, s63, v22
	v_sub_f32_e32 v23, v23, v39
	v_cndmask_b32_e32 v216, v207, v27, vcc
	v_mul_f32_e32 v27, 0x3fb8aa3b, v23
	v_fma_f32 v29, v23, s61, -v27
	v_rndne_f32_e32 v97, v27
	v_fmac_f32_e32 v29, 0x32a5705f, v23
	v_sub_f32_e32 v27, v27, v97
	v_add_f32_e32 v27, v27, v29
	v_exp_f32_e32 v27, v27
	v_cvt_i32_f32_e32 v29, v97
	v_mov_b32_e32 v22, s59
	v_cndmask_b32_e64 v24, v24, v24, s[18:19]
	v_cndmask_b32_e64 v97, v22, v216, s[18:19]
	v_ldexp_f32 v22, v27, v29
	v_cmp_ngt_f32_e32 vcc, s62, v23
	v_sub_f32_e32 v24, v24, v39
	v_cndmask_b32_e32 v22, 0, v22, vcc
	v_cmp_nlt_f32_e32 vcc, s63, v23
	v_mul_f32_e32 v23, 0x3fb8aa3b, v24
	v_fma_f32 v27, v24, s61, -v23
	v_rndne_f32_e32 v29, v23
	v_fmac_f32_e32 v27, 0x32a5705f, v24
	v_sub_f32_e32 v23, v23, v29
	v_add_f32_e32 v23, v23, v27
	v_exp_f32_e32 v27, v23
	v_cvt_i32_f32_e32 v29, v29
	v_cndmask_b32_e64 v25, v25, v25, s[18:19]
	v_cndmask_b32_e32 v211, v207, v22, vcc
	v_mov_b32_e32 v23, s59
	v_cndmask_b32_e64 v217, v23, v211, s[20:21]
	v_ldexp_f32 v22, v27, v29
	v_cmp_ngt_f32_e32 vcc, s62, v24
	v_sub_f32_e32 v23, v25, v39
	v_cndmask_b32_e32 v22, 0, v22, vcc
	v_cmp_nlt_f32_e32 vcc, s63, v24
	v_mul_f32_e32 v24, 0x3fb8aa3b, v23
	v_fma_f32 v25, v23, s61, -v24
	v_rndne_f32_e32 v27, v24
	v_fmac_f32_e32 v25, 0x32a5705f, v23
	v_sub_f32_e32 v24, v24, v27
	v_add_f32_e32 v24, v24, v25
	v_exp_f32_e32 v24, v24
	v_cvt_i32_f32_e32 v25, v27
	v_cndmask_b32_e32 v212, v207, v22, vcc
	v_mov_b32_e32 v22, s59
	v_cndmask_b32_e64 v222, v22, v212, s[22:23]
	v_ldexp_f32 v22, v24, v25
	v_sub_f32_e32 v24, v16, v39
	v_mul_f32_e32 v16, 0x3fb8aa3b, v24
	v_fma_f32 v25, v24, s61, -v16
	v_rndne_f32_e32 v27, v16
	v_fmac_f32_e32 v25, 0x32a5705f, v24
	v_sub_f32_e32 v16, v16, v27
	v_add_f32_e32 v16, v16, v25
	v_exp_f32_e32 v25, v16
	v_cvt_i32_f32_e32 v27, v27
	v_cmp_ngt_f32_e32 vcc, s62, v23
	v_cndmask_b32_e32 v16, 0, v22, vcc
	v_cmp_nlt_f32_e32 vcc, s63, v23
	v_cndmask_b32_e32 v16, v207, v16, vcc
	v_ldexp_f32 v22, v25, v27
	v_cmp_ngt_f32_e32 vcc, s62, v24
	v_cndmask_b32_e32 v22, 0, v22, vcc
	v_cmp_nlt_f32_e32 vcc, s63, v24
	v_cndmask_b32_e32 v210, v207, v22, vcc
	v_add_co_u32_e32 v23, vcc, s56, v92
	v_mov_b32_e32 v24, s55
	v_addc_co_u32_e32 v24, vcc, v24, v93, vcc
	v_add_co_u32_e32 v23, vcc, v23, v204
	v_addc_co_u32_e32 v24, vcc, 0, v24, vcc
	s_waitcnt vmcnt(0) lgkmcnt(0)
	ds_write_b128 v200, v[218:221]
	v_cndmask_b32_e64 v25, v209, v24, s[12:13]
	v_cndmask_b32_e64 v24, v213, v23, s[12:13]
	flat_load_dwordx4 v[98:101], v[24:25]
	v_cndmask_b32_e64 v17, v17, v17, s[26:27]
	v_sub_f32_e32 v17, v17, v39
	v_mul_f32_e32 v23, 0x3fb8aa3b, v17
	v_fma_f32 v24, v17, s61, -v23
	v_rndne_f32_e32 v25, v23
	v_fmac_f32_e32 v24, 0x32a5705f, v17
	v_sub_f32_e32 v23, v23, v25
	v_add_f32_e32 v23, v23, v24
	v_exp_f32_e32 v23, v23
	v_cvt_i32_f32_e32 v24, v25
	v_mov_b32_e32 v22, s59
	v_cndmask_b32_e64 v18, v18, v18, s[26:27]
	v_cndmask_b32_e64 v218, v22, v210, s[26:27]
	v_ldexp_f32 v22, v23, v24
	v_cmp_ngt_f32_e32 vcc, s62, v17
	v_sub_f32_e32 v18, v18, v39
	v_cndmask_b32_e32 v22, 0, v22, vcc
	v_cmp_nlt_f32_e32 vcc, s63, v17
	v_mul_f32_e32 v17, 0x3fb8aa3b, v18
	v_fma_f32 v23, v18, s61, -v17
	v_rndne_f32_e32 v24, v17
	v_fmac_f32_e32 v23, 0x32a5705f, v18
	v_sub_f32_e32 v17, v17, v24
	v_add_f32_e32 v17, v17, v23
	v_exp_f32_e32 v23, v17
	v_cvt_i32_f32_e32 v24, v24
	v_cndmask_b32_e64 v19, v19, v19, s[26:27]
	v_cndmask_b32_e32 v214, v207, v22, vcc
	v_mov_b32_e32 v17, s59
	v_cndmask_b32_e64 v219, v17, v214, s[28:29]
	v_ldexp_f32 v17, v23, v24
	v_cmp_ngt_f32_e32 vcc, s62, v18
	v_sub_f32_e32 v19, v19, v39
	v_cndmask_b32_e32 v17, 0, v17, vcc
	v_cmp_nlt_f32_e32 vcc, s63, v18
	v_mul_f32_e32 v18, 0x3fb8aa3b, v19
	v_fma_f32 v22, v19, s61, -v18
	v_rndne_f32_e32 v23, v18
	v_fmac_f32_e32 v22, 0x32a5705f, v19
	v_sub_f32_e32 v18, v18, v23
	v_add_f32_e32 v18, v18, v22
	v_exp_f32_e32 v22, v18
	v_cvt_i32_f32_e32 v24, v23
	v_cndmask_b32_e32 v23, v207, v17, vcc
	v_mov_b32_e32 v18, s59
	v_sub_f32_e32 v12, v12, v39
	v_cndmask_b32_e64 v220, v18, v23, s[30:31]
	v_mul_f32_e32 v18, 0x3fb8aa3b, v12
	v_ldexp_f32 v17, v22, v24
	v_fma_f32 v22, v12, s61, -v18
	v_rndne_f32_e32 v24, v18
	v_fmac_f32_e32 v22, 0x32a5705f, v12
	v_sub_f32_e32 v18, v18, v24
	v_add_f32_e32 v18, v18, v22
	v_exp_f32_e32 v18, v18
	v_cvt_i32_f32_e32 v22, v24
	v_cmp_ngt_f32_e32 vcc, s62, v19
	v_cndmask_b32_e32 v17, 0, v17, vcc
	v_cmp_nlt_f32_e32 vcc, s63, v19
	v_cndmask_b32_e32 v151, v207, v17, vcc
	v_ldexp_f32 v17, v18, v22
	v_cmp_ngt_f32_e32 vcc, s62, v12
	v_cndmask_b32_e32 v17, 0, v17, vcc
	v_cmp_nlt_f32_e32 vcc, s63, v12
	v_cndmask_b32_e64 v13, v13, v13, s[4:5]
	v_cndmask_b32_e32 v22, v207, v17, vcc
	v_sub_f32_e32 v17, v13, v39
	v_mul_f32_e32 v13, 0x3fb8aa3b, v17
	v_fma_f32 v18, v17, s61, -v13
	v_rndne_f32_e32 v19, v13
	v_fmac_f32_e32 v18, 0x32a5705f, v17
	v_sub_f32_e32 v13, v13, v19
	v_add_f32_e32 v13, v13, v18
	v_exp_f32_e32 v13, v13
	v_cvt_i32_f32_e32 v18, v19
	v_mov_b32_e32 v12, s59
	v_cndmask_b32_e64 v29, v12, v22, s[4:5]
	v_cmp_ngt_f32_e32 vcc, s62, v17
	v_ldexp_f32 v12, v13, v18
	v_cndmask_b32_e32 v18, 0, v12, vcc
	v_add_co_u32_e32 v12, vcc, s56, v94
	v_mov_b32_e32 v13, s55
	v_addc_co_u32_e32 v13, vcc, v13, v95, vcc
	v_add_co_u32_e32 v12, vcc, v12, v204
	v_addc_co_u32_e32 v13, vcc, 0, v13, vcc
	s_waitcnt vmcnt(0) lgkmcnt(0)
	ds_write_b128 v201, v[98:101]
	v_cndmask_b32_e64 v13, v209, v13, s[14:15]
	v_cndmask_b32_e64 v12, v213, v12, s[14:15]
	;; [unrolled: 1-line block ×4, first 2 shown]
	flat_load_dwordx4 v[12:15], v[12:13]
	v_sub_f32_e32 v24, v24, v39
	v_cmp_nlt_f32_e32 vcc, s63, v17
	v_mul_f32_e32 v17, 0x3fb8aa3b, v24
	v_fma_f32 v25, v24, s61, -v17
	v_rndne_f32_e32 v27, v17
	v_fmac_f32_e32 v25, 0x32a5705f, v24
	v_sub_f32_e32 v17, v17, v27
	v_add_f32_e32 v17, v17, v25
	v_exp_f32_e32 v25, v17
	v_cvt_i32_f32_e32 v27, v27
	v_cndmask_b32_e32 v213, v207, v18, vcc
	v_mov_b32_e32 v17, s59
	v_cndmask_b32_e64 v98, v17, v213, s[36:37]
	v_ldexp_f32 v17, v25, v27
	v_cmp_ngt_f32_e32 vcc, s62, v24
	v_cndmask_b32_e32 v17, 0, v17, vcc
	v_cmp_nlt_f32_e32 vcc, s63, v24
	v_cndmask_b32_e32 v24, v207, v17, vcc
	v_sub_f32_e32 v17, v19, v39
	v_mul_f32_e32 v19, 0x3fb8aa3b, v17
	v_fma_f32 v25, v17, s61, -v19
	v_rndne_f32_e32 v27, v19
	v_fmac_f32_e32 v25, 0x32a5705f, v17
	v_sub_f32_e32 v19, v19, v27
	v_add_f32_e32 v19, v19, v25
	v_cvt_i32_f32_e32 v25, v27
	v_sub_f32_e32 v27, v96, v39
	v_mul_f32_e32 v96, 0x3fb8aa3b, v27
	v_fma_f32 v99, v27, s61, -v96
	v_rndne_f32_e32 v100, v96
	v_fmac_f32_e32 v99, 0x32a5705f, v27
	v_sub_f32_e32 v96, v96, v100
	v_add_f32_e32 v96, v96, v99
	v_exp_f32_e32 v19, v19
	v_exp_f32_e32 v96, v96
	v_cvt_i32_f32_e32 v99, v100
	v_cmp_ngt_f32_e32 vcc, s62, v17
	v_ldexp_f32 v19, v19, v25
	v_cmp_ngt_f32_e64 s[42:43], s62, v27
	v_ldexp_f32 v25, v96, v99
	v_cndmask_b32_e64 v25, 0, v25, s[42:43]
	v_cmp_nlt_f32_e64 s[42:43], s63, v27
	v_cndmask_b32_e32 v19, 0, v19, vcc
	v_cmp_nlt_f32_e32 vcc, s63, v17
	v_mov_b32_e32 v18, s59
	v_cndmask_b32_e64 v25, v207, v25, s[42:43]
	v_cmp_le_f32_e64 s[42:43], s64, v27
	v_cndmask_b32_e32 v27, v207, v19, vcc
	v_mov_b32_e32 v17, s59
	v_cndmask_b32_e64 v18, v18, v24, s[38:39]
	v_cndmask_b32_e64 v25, 0, v25, s[42:43]
	;; [unrolled: 1-line block ×3, first 2 shown]
	v_cvt_f16_f32_e32 v209, v25
	v_cvt_f16_f32_e32 v29, v29
	;; [unrolled: 1-line block ×5, first 2 shown]
	v_pk_mul_f16 v96, v209, v139 op_sel_hi:[0,1]
	v_pk_mul_f16 v139, v209, v141 op_sel_hi:[0,1]
	v_cndmask_b32_e64 v100, v17, v151, s[34:35]
	v_cndmask_b32_e64 v101, v17, v16, s[24:25]
	;; [unrolled: 1-line block ×3, first 2 shown]
	v_pack_b32_f16 v28, v29, v98
	v_pack_b32_f16 v29, v18, v99
	v_cvt_f16_f32_e32 v99, v219
	v_cvt_f16_f32_e32 v141, v97
	v_pk_mul_f16 v19, v209, v140 op_sel_hi:[0,1]
	v_cvt_f16_f32_e32 v20, v20
	v_cvt_f16_f32_e32 v21, v21
	;; [unrolled: 1-line block ×9, first 2 shown]
	v_pack_b32_f16 v98, v98, v99
	v_pk_mul_f16 v130, v209, v130 op_sel_hi:[0,1]
	v_pack_b32_f16 v101, v218, v101
	s_waitcnt vmcnt(0) lgkmcnt(0)
	ds_write_b128 v202, v[12:15]
	s_waitcnt lgkmcnt(0)
	s_barrier
	ds_read_u16 v15, v171 offset:480
	ds_read_u16 v18, v172
	ds_read_u16 v97, v170
	ds_read_u16 v219, v171 offset:240
	v_cvt_f32_f16_e32 v12, v19
	v_cvt_f32_f16_sdwa v13, v19 dst_sel:DWORD dst_unused:UNUSED_PAD src0_sel:WORD_1
	s_waitcnt lgkmcnt(2)
	v_perm_b32 v19, v18, v15, s65
	v_cvt_f32_f16_e32 v14, v96
	s_waitcnt lgkmcnt(0)
	v_perm_b32 v18, v219, v97, s65
	v_cvt_f32_f16_sdwa v15, v96 dst_sel:DWORD dst_unused:UNUSED_PAD src0_sel:WORD_1
	v_pack_b32_f16 v96, v20, v21
	v_pack_b32_f16 v97, v26, v17
	v_pk_mul_f16 v125, v209, v125 op_sel_hi:[0,1]
	v_cvt_f32_f16_e32 v218, v125
	v_mfma_f32_16x16x16f16 v[12:15], v[18:19], v[96:97], v[12:15]
	ds_read_u16 v17, v170 offset:3840
	ds_read_u16 v18, v173 offset:480
	;; [unrolled: 1-line block ×4, first 2 shown]
	v_cvt_f32_f16_sdwa v219, v125 dst_sel:DWORD dst_unused:UNUSED_PAD src0_sel:WORD_1
	v_pk_mul_f16 v124, v209, v124 op_sel_hi:[0,1]
	v_pk_mul_f16 v123, v209, v123 op_sel_hi:[0,1]
	s_waitcnt lgkmcnt(1)
	v_perm_b32 v19, v19, v18, s65
	s_waitcnt lgkmcnt(0)
	v_perm_b32 v18, v20, v17, s65
	v_cvt_f16_f32_e32 v17, v100
	v_cvt_f16_f32_e32 v12, v12
	;; [unrolled: 1-line block ×5, first 2 shown]
	v_cvt_f32_f16_e32 v12, v12
	v_cvt_f32_f16_e32 v13, v13
	;; [unrolled: 1-line block ×4, first 2 shown]
	v_pack_b32_f16 v100, v141, v217
	v_pack_b32_f16 v99, v140, v17
	v_pk_mul_f16 v121, v209, v121 op_sel_hi:[0,1]
	v_mfma_f32_16x16x16f16 v[12:15], v[18:19], v[100:101], v[12:15]
	ds_read_u16 v18, v170 offset:7680
	ds_read_u16 v19, v174 offset:480
	;; [unrolled: 1-line block ×5, first 2 shown]
	v_pk_mul_f16 v129, v209, v129 op_sel_hi:[0,1]
	s_add_i32 s58, s58, 1
	s_waitcnt lgkmcnt(2)
	v_perm_b32 v19, v20, v19, s65
	s_waitcnt lgkmcnt(1)
	v_perm_b32 v18, v21, v18, s65
	v_cmp_lt_i32_e32 vcc, s58, v143
	v_cvt_f16_f32_e32 v12, v12
	v_cvt_f16_f32_e32 v13, v13
	;; [unrolled: 1-line block ×4, first 2 shown]
	v_cvt_f32_f16_e32 v12, v12
	v_cvt_f32_f16_e32 v13, v13
	;; [unrolled: 1-line block ×4, first 2 shown]
	s_and_b64 vcc, exec, vcc
	s_add_i32 s54, s54, 64
	v_mfma_f32_16x16x16f16 v[12:15], v[18:19], v[98:99], v[12:15]
	ds_read_u16 v18, v170 offset:11520
	ds_read_u16 v19, v175 offset:480
	;; [unrolled: 1-line block ×4, first 2 shown]
	s_waitcnt lgkmcnt(1)
	v_perm_b32 v19, v20, v19, s65
	s_waitcnt lgkmcnt(0)
	v_perm_b32 v18, v21, v18, s65
	ds_read_u16 v21, v170 offset:32
	ds_read_u16 v26, v171 offset:272
	ds_read_u16 v140, v176 offset:480
	v_cvt_f16_f32_e32 v12, v12
	v_cvt_f16_f32_e32 v13, v13
	;; [unrolled: 1-line block ×4, first 2 shown]
	v_cvt_f32_f16_e32 v12, v12
	v_cvt_f32_f16_e32 v13, v13
	;; [unrolled: 1-line block ×4, first 2 shown]
	s_waitcnt lgkmcnt(0)
	v_perm_b32 v141, v17, v140, s65
	v_perm_b32 v140, v26, v21, s65
	v_mfma_f32_16x16x16f16 v[12:15], v[18:19], v[28:29], v[12:15]
	v_cvt_f32_f16_e32 v18, v139
	v_cvt_f32_f16_sdwa v19, v139 dst_sel:DWORD dst_unused:UNUSED_PAD src0_sel:WORD_1
	v_cvt_f32_f16_e32 v20, v130
	v_cvt_f32_f16_sdwa v21, v130 dst_sel:DWORD dst_unused:UNUSED_PAD src0_sel:WORD_1
	v_add_f32_e32 v17, v216, v215
	v_cndmask_b32_e64 v17, v215, v17, s[18:19]
	v_mfma_f32_16x16x16f16 v[18:21], v[140:141], v[96:97], v[18:21]
	ds_read_u16 v26, v170 offset:3872
	ds_read_u16 v130, v177 offset:480
	;; [unrolled: 1-line block ×4, first 2 shown]
	s_waitcnt lgkmcnt(1)
	v_perm_b32 v141, v139, v130, s65
	s_waitcnt lgkmcnt(0)
	v_perm_b32 v140, v140, v26, s65
	v_add_f32_e32 v26, v211, v17
	s_nop 1
	v_cvt_f16_f32_e32 v18, v18
	v_cvt_f16_f32_e32 v19, v19
	;; [unrolled: 1-line block ×4, first 2 shown]
	v_cvt_f32_f16_e32 v18, v18
	v_cvt_f32_f16_e32 v19, v19
	;; [unrolled: 1-line block ×4, first 2 shown]
	v_cndmask_b32_e64 v17, v17, v26, s[20:21]
	v_add_f32_e32 v26, v212, v17
	v_mfma_f32_16x16x16f16 v[18:21], v[140:141], v[100:101], v[18:21]
	ds_read_u16 v130, v170 offset:7712
	ds_read_u16 v139, v178 offset:480
	;; [unrolled: 1-line block ×4, first 2 shown]
	v_cndmask_b32_e64 v17, v17, v26, s[22:23]
	v_add_f32_e32 v16, v16, v17
	v_cndmask_b32_e64 v26, v17, v16, s[24:25]
	s_waitcnt lgkmcnt(1)
	v_perm_b32 v141, v140, v139, s65
	s_waitcnt lgkmcnt(0)
	v_perm_b32 v140, v211, v130, s65
	v_add_f32_e32 v125, v210, v26
	v_cvt_f16_f32_e32 v18, v18
	v_cvt_f16_f32_e32 v19, v19
	;; [unrolled: 1-line block ×4, first 2 shown]
	v_cvt_f32_f16_e32 v18, v18
	v_cvt_f32_f16_e32 v19, v19
	;; [unrolled: 1-line block ×4, first 2 shown]
	v_cndmask_b32_e64 v26, v26, v125, s[26:27]
	v_add_f32_e32 v125, v214, v26
	v_mfma_f32_16x16x16f16 v[16:19], v[140:141], v[98:99], v[18:21]
	s_nop 6
	ds_read_u16 v20, v170 offset:11552
	ds_read_u16 v21, v179 offset:480
	;; [unrolled: 1-line block ×4, first 2 shown]
	v_cndmask_b32_e64 v26, v26, v125, s[28:29]
	v_add_f32_e32 v23, v23, v26
	v_cndmask_b32_e64 v23, v26, v23, s[30:31]
	s_waitcnt lgkmcnt(1)
	v_perm_b32 v141, v130, v21, s65
	s_waitcnt lgkmcnt(0)
	v_perm_b32 v140, v139, v20, s65
	v_pk_mul_f16 v20, v209, v126 op_sel_hi:[0,1]
	ds_read_u16 v126, v170 offset:64
	ds_read_u16 v21, v180 offset:480
	ds_read_u16 v130, v172 offset:64
	ds_read_u16 v139, v171 offset:304
	v_cvt_f32_f16_e32 v216, v20
	v_cvt_f32_f16_sdwa v217, v20 dst_sel:DWORD dst_unused:UNUSED_PAD src0_sel:WORD_1
	v_cvt_f16_f32_e32 v16, v16
	s_waitcnt lgkmcnt(1)
	v_perm_b32 v21, v130, v21, s65
	s_waitcnt lgkmcnt(0)
	v_perm_b32 v20, v139, v126, s65
	v_cvt_f16_f32_e32 v17, v17
	v_cvt_f16_f32_e32 v18, v18
	;; [unrolled: 1-line block ×3, first 2 shown]
	v_mfma_f32_16x16x16f16 v[214:217], v[20:21], v[96:97], v[216:219]
	v_cvt_f32_f16_e32 v16, v16
	v_cvt_f32_f16_e32 v17, v17
	;; [unrolled: 1-line block ×4, first 2 shown]
	s_nop 6
	v_cvt_f16_f32_e32 v20, v214
	v_mfma_f32_16x16x16f16 v[16:19], v[140:141], v[28:29], v[16:19]
	ds_read_u16 v139, v170 offset:3904
	ds_read_u16 v140, v181 offset:480
	;; [unrolled: 1-line block ×4, first 2 shown]
	v_cvt_f16_f32_e32 v21, v215
	v_cvt_f16_f32_e32 v126, v216
	v_cvt_f16_f32_e32 v130, v217
	v_cvt_f32_f16_e32 v214, v20
	v_cvt_f32_f16_e32 v215, v21
	s_waitcnt lgkmcnt(1)
	v_perm_b32 v21, v141, v140, s65
	s_waitcnt lgkmcnt(0)
	v_perm_b32 v20, v210, v139, s65
	v_cvt_f32_f16_e32 v216, v126
	v_cvt_f32_f16_e32 v217, v130
	ds_read_u16 v126, v170 offset:7744
	ds_read_u16 v130, v182 offset:480
	;; [unrolled: 1-line block ×4, first 2 shown]
	v_mfma_f32_16x16x16f16 v[214:217], v[20:21], v[100:101], v[214:217]
	s_waitcnt lgkmcnt(1)
	v_perm_b32 v141, v139, v130, s65
	s_waitcnt lgkmcnt(0)
	v_perm_b32 v140, v140, v126, s65
	s_nop 6
	v_cvt_f16_f32_e32 v20, v214
	v_cvt_f16_f32_e32 v21, v215
	;; [unrolled: 1-line block ×4, first 2 shown]
	v_cvt_f32_f16_e32 v214, v20
	v_cvt_f32_f16_e32 v215, v21
	;; [unrolled: 1-line block ×4, first 2 shown]
	v_add_f32_e32 v20, v151, v23
	v_cndmask_b32_e64 v26, v23, v20, s[34:35]
	v_mfma_f32_16x16x16f16 v[214:217], v[140:141], v[98:99], v[214:217]
	ds_read_u16 v126, v170 offset:11584
	ds_read_u16 v130, v183 offset:480
	;; [unrolled: 1-line block ×4, first 2 shown]
	s_nop 6
	v_cvt_f16_f32_e32 v20, v214
	v_cvt_f16_f32_e32 v21, v215
	;; [unrolled: 1-line block ×4, first 2 shown]
	v_cvt_f32_f16_e32 v214, v20
	v_cvt_f32_f16_e32 v215, v21
	s_waitcnt lgkmcnt(1)
	v_perm_b32 v21, v139, v130, s65
	s_waitcnt lgkmcnt(0)
	v_perm_b32 v20, v140, v126, s65
	v_cvt_f32_f16_e32 v217, v125
	ds_read_u16 v130, v170 offset:96
	ds_read_u16 v125, v184 offset:480
	;; [unrolled: 1-line block ×4, first 2 shown]
	v_cvt_f32_f16_e32 v216, v23
	v_add_f32_e32 v126, v22, v26
	v_cndmask_b32_e64 v26, v26, v126, s[4:5]
	v_mfma_f32_16x16x16f16 v[20:23], v[20:21], v[28:29], v[214:217]
	s_waitcnt lgkmcnt(1)
	v_perm_b32 v125, v139, v125, s65
	s_nop 4
	v_cvt_f32_f16_e32 v214, v124
	v_cvt_f32_f16_sdwa v215, v124 dst_sel:DWORD dst_unused:UNUSED_PAD src0_sel:WORD_1
	s_waitcnt lgkmcnt(0)
	v_perm_b32 v124, v140, v130, s65
	v_cvt_f32_f16_e32 v216, v123
	v_cvt_f32_f16_sdwa v217, v123 dst_sel:DWORD dst_unused:UNUSED_PAD src0_sel:WORD_1
	v_add_f32_e32 v123, v213, v26
	ds_read_u16 v130, v170 offset:3936
	ds_read_u16 v139, v185 offset:480
	;; [unrolled: 1-line block ×4, first 2 shown]
	v_mfma_f32_16x16x16f16 v[210:213], v[124:125], v[96:97], v[214:217]
	v_cndmask_b32_e64 v26, v26, v123, s[36:37]
	v_add_f32_e32 v24, v24, v26
	v_cndmask_b32_e64 v24, v26, v24, s[38:39]
	v_cvt_f16_f32_e32 v22, v22
	v_cvt_f16_f32_e32 v23, v23
	s_nop 5
	v_cvt_f16_f32_e32 v124, v211
	v_cvt_f16_f32_e32 v125, v212
	;; [unrolled: 1-line block ×4, first 2 shown]
	v_cvt_f32_f16_e32 v211, v124
	v_cvt_f32_f16_e32 v212, v125
	s_waitcnt lgkmcnt(1)
	v_perm_b32 v125, v140, v139, s65
	s_waitcnt lgkmcnt(0)
	v_perm_b32 v124, v141, v130, s65
	v_cvt_f32_f16_e32 v210, v123
	v_cvt_f32_f16_e32 v213, v126
	ds_read_u16 v126, v170 offset:7776
	ds_read_u16 v130, v186 offset:480
	;; [unrolled: 1-line block ×4, first 2 shown]
	v_mfma_f32_16x16x16f16 v[210:213], v[124:125], v[100:101], v[210:213]
	v_add_f32_e32 v123, v27, v24
	v_cndmask_b32_e64 v151, v24, v123, s[40:41]
	v_fmac_f32_e32 v151, v208, v25
	v_pk_mul_f16 v141, v209, v136 op_sel_hi:[0,1]
	v_cvt_f16_f32_e32 v208, v15
	s_nop 5
	v_cvt_f16_f32_e32 v26, v210
	v_cvt_f16_f32_e32 v27, v211
	;; [unrolled: 1-line block ×4, first 2 shown]
	v_cvt_f32_f16_e32 v210, v26
	v_cvt_f32_f16_e32 v211, v27
	s_waitcnt lgkmcnt(1)
	v_perm_b32 v27, v139, v130, s65
	s_waitcnt lgkmcnt(0)
	v_perm_b32 v26, v140, v126, s65
	v_cvt_f32_f16_e32 v212, v124
	v_cvt_f32_f16_e32 v213, v125
	v_pk_mul_f16 v124, v209, v122 op_sel_hi:[0,1]
	ds_read_u16 v122, v170 offset:11616
	ds_read_u16 v123, v187 offset:480
	;; [unrolled: 1-line block ×4, first 2 shown]
	v_mfma_f32_16x16x16f16 v[24:27], v[26:27], v[98:99], v[210:213]
	s_waitcnt lgkmcnt(1)
	v_perm_b32 v123, v125, v123, s65
	ds_read_u16 v125, v170 offset:128
	ds_read_u16 v130, v188 offset:480
	;; [unrolled: 1-line block ×4, first 2 shown]
	s_waitcnt lgkmcnt(4)
	v_perm_b32 v122, v126, v122, s65
	v_pk_mul_f16 v126, v209, v137 op_sel_hi:[0,1]
	s_waitcnt lgkmcnt(1)
	v_perm_b32 v137, v136, v130, s65
	v_cvt_f16_f32_e32 v24, v24
	v_cvt_f16_f32_e32 v25, v25
	;; [unrolled: 1-line block ×4, first 2 shown]
	v_cvt_f32_f16_e32 v24, v24
	v_cvt_f32_f16_e32 v25, v25
	;; [unrolled: 1-line block ×4, first 2 shown]
	s_waitcnt lgkmcnt(0)
	v_perm_b32 v136, v139, v125, s65
	v_cvt_f32_f16_sdwa v125, v121 dst_sel:DWORD dst_unused:UNUSED_PAD src0_sel:WORD_1
	v_mfma_f32_16x16x16f16 v[24:27], v[122:123], v[28:29], v[24:27]
	v_cvt_f32_f16_e32 v122, v124
	v_cvt_f32_f16_sdwa v123, v124 dst_sel:DWORD dst_unused:UNUSED_PAD src0_sel:WORD_1
	v_cvt_f32_f16_e32 v124, v121
	v_pk_mul_f16 v121, v209, v131 op_sel_hi:[0,1]
	v_cvt_f16_f32_e32 v139, v12
	s_nop 5
	v_cvt_f16_f32_e32 v26, v26
	v_mfma_f32_16x16x16f16 v[122:125], v[136:137], v[96:97], v[122:125]
	ds_read_u16 v130, v170 offset:3968
	ds_read_u16 v131, v189 offset:480
	;; [unrolled: 1-line block ×4, first 2 shown]
	v_cvt_f16_f32_e32 v27, v27
	s_waitcnt lgkmcnt(1)
	v_perm_b32 v131, v136, v131, s65
	s_waitcnt lgkmcnt(0)
	v_perm_b32 v130, v137, v130, s65
	v_cvt_f16_f32_e32 v136, v13
	s_nop 0
	v_cvt_f16_f32_e32 v12, v122
	v_cvt_f16_f32_e32 v123, v123
	;; [unrolled: 1-line block ×4, first 2 shown]
	v_cvt_f32_f16_e32 v122, v12
	v_cvt_f32_f16_e32 v123, v123
	;; [unrolled: 1-line block ×4, first 2 shown]
	v_cvt_f16_f32_e32 v137, v14
	v_pack_b32_f16 v140, v139, v136
	v_mfma_f32_16x16x16f16 v[12:15], v[130:131], v[100:101], v[122:125]
	s_nop 6
	ds_read_u16 v122, v170 offset:7808
	ds_read_u16 v123, v190 offset:480
	;; [unrolled: 1-line block ×4, first 2 shown]
	v_cvt_f16_f32_e32 v130, v18
	v_cvt_f16_f32_e32 v131, v19
	v_pack_b32_f16 v139, v137, v208
	s_waitcnt lgkmcnt(1)
	v_perm_b32 v123, v124, v123, s65
	s_waitcnt lgkmcnt(0)
	v_perm_b32 v122, v125, v122, s65
	v_cvt_f16_f32_e32 v124, v16
	v_cvt_f16_f32_e32 v12, v12
	;; [unrolled: 1-line block ×5, first 2 shown]
	v_cvt_f32_f16_e32 v12, v12
	v_cvt_f32_f16_e32 v13, v13
	;; [unrolled: 1-line block ×4, first 2 shown]
	v_pack_b32_f16 v130, v130, v131
	s_nop 0
	v_mfma_f32_16x16x16f16 v[12:15], v[122:123], v[98:99], v[12:15]
	ds_read_u16 v16, v170 offset:11648
	ds_read_u16 v122, v191 offset:480
	;; [unrolled: 1-line block ×4, first 2 shown]
	s_waitcnt lgkmcnt(1)
	v_perm_b32 v123, v123, v122, s65
	s_waitcnt lgkmcnt(0)
	v_perm_b32 v122, v125, v16, s65
	v_cvt_f16_f32_e32 v125, v17
	s_nop 1
	v_cvt_f16_f32_e32 v12, v12
	v_cvt_f16_f32_e32 v13, v13
	v_cvt_f16_f32_e32 v14, v14
	v_cvt_f16_f32_e32 v15, v15
	v_cvt_f32_f16_e32 v12, v12
	v_cvt_f32_f16_e32 v13, v13
	;; [unrolled: 1-line block ×4, first 2 shown]
	s_nop 1
	v_mfma_f32_16x16x16f16 v[16:19], v[122:123], v[28:29], v[12:15]
	s_nop 6
	ds_read_u16 v15, v170 offset:160
	ds_read_u16 v122, v192 offset:480
	;; [unrolled: 1-line block ×4, first 2 shown]
	v_cvt_f32_f16_e32 v12, v126
	v_cvt_f32_f16_sdwa v13, v126 dst_sel:DWORD dst_unused:UNUSED_PAD src0_sel:WORD_1
	v_cvt_f32_f16_e32 v14, v141
	s_waitcnt lgkmcnt(1)
	v_perm_b32 v123, v123, v122, s65
	s_waitcnt lgkmcnt(0)
	v_perm_b32 v122, v136, v15, s65
	v_cvt_f32_f16_sdwa v15, v141 dst_sel:DWORD dst_unused:UNUSED_PAD src0_sel:WORD_1
	v_pack_b32_f16 v141, v124, v125
	v_cvt_f16_f32_e32 v124, v20
	v_mfma_f32_16x16x16f16 v[12:15], v[122:123], v[96:97], v[12:15]
	ds_read_u16 v20, v170 offset:4000
	ds_read_u16 v122, v193 offset:480
	;; [unrolled: 1-line block ×4, first 2 shown]
	s_waitcnt lgkmcnt(1)
	v_perm_b32 v123, v123, v122, s65
	s_waitcnt lgkmcnt(0)
	v_perm_b32 v122, v125, v20, s65
	v_cvt_f16_f32_e32 v125, v21
	s_nop 1
	v_cvt_f16_f32_e32 v12, v12
	v_cvt_f16_f32_e32 v13, v13
	;; [unrolled: 1-line block ×4, first 2 shown]
	v_cvt_f32_f16_e32 v12, v12
	v_cvt_f32_f16_e32 v13, v13
	;; [unrolled: 1-line block ×4, first 2 shown]
	v_pack_b32_f16 v126, v124, v125
	v_pack_b32_f16 v125, v22, v23
	v_mfma_f32_16x16x16f16 v[12:15], v[122:123], v[100:101], v[12:15]
	ds_read_u16 v20, v170 offset:7840
	ds_read_u16 v21, v194 offset:480
	;; [unrolled: 1-line block ×4, first 2 shown]
	s_waitcnt lgkmcnt(1)
	v_perm_b32 v21, v122, v21, s65
	s_waitcnt lgkmcnt(0)
	v_perm_b32 v20, v123, v20, s65
	v_cvt_f16_f32_e32 v122, v24
	s_nop 1
	v_cvt_f16_f32_e32 v12, v12
	v_cvt_f16_f32_e32 v13, v13
	;; [unrolled: 1-line block ×4, first 2 shown]
	v_cvt_f32_f16_e32 v12, v12
	v_cvt_f32_f16_e32 v13, v13
	;; [unrolled: 1-line block ×4, first 2 shown]
	v_cvt_f16_f32_e32 v123, v25
	s_nop 0
	v_mfma_f32_16x16x16f16 v[12:15], v[20:21], v[98:99], v[12:15]
	ds_read_u16 v20, v170 offset:11680
	ds_read_u16 v21, v195 offset:480
	ds_read_u16 v22, v172 offset:11680
	ds_read_u16 v23, v171 offset:11920
	s_waitcnt lgkmcnt(1)
	v_perm_b32 v21, v22, v21, s65
	s_waitcnt lgkmcnt(0)
	v_perm_b32 v20, v23, v20, s65
	ds_read_u16 v23, v170 offset:192
	ds_read_u16 v24, v196 offset:480
	;; [unrolled: 1-line block ×4, first 2 shown]
	v_cvt_f16_f32_e32 v12, v12
	v_cvt_f16_f32_e32 v13, v13
	;; [unrolled: 1-line block ×4, first 2 shown]
	v_cvt_f32_f16_e32 v12, v12
	v_cvt_f32_f16_e32 v13, v13
	;; [unrolled: 1-line block ×4, first 2 shown]
	s_waitcnt lgkmcnt(1)
	v_perm_b32 v25, v25, v24, s65
	s_waitcnt lgkmcnt(0)
	v_perm_b32 v24, v124, v23, s65
	v_mfma_f32_16x16x16f16 v[12:15], v[20:21], v[28:29], v[12:15]
	v_cvt_f32_f16_e32 v20, v121
	v_cvt_f32_f16_sdwa v21, v121 dst_sel:DWORD dst_unused:UNUSED_PAD src0_sel:WORD_1
	v_cvt_f32_f16_e32 v22, v129
	v_cvt_f32_f16_sdwa v23, v129 dst_sel:DWORD dst_unused:UNUSED_PAD src0_sel:WORD_1
	v_pack_b32_f16 v124, v122, v123
	v_pack_b32_f16 v123, v26, v27
	v_cvt_f16_f32_e32 v26, v16
	v_mfma_f32_16x16x16f16 v[20:23], v[24:25], v[96:97], v[20:23]
	ds_read_u16 v24, v170 offset:4032
	ds_read_u16 v25, v197 offset:480
	;; [unrolled: 1-line block ×4, first 2 shown]
	v_cvt_f16_f32_e32 v97, v19
	v_cvt_f16_f32_e32 v12, v12
	v_cvt_f16_f32_e32 v13, v13
	s_waitcnt lgkmcnt(1)
	v_perm_b32 v25, v27, v25, s65
	s_waitcnt lgkmcnt(0)
	v_perm_b32 v24, v96, v24, s65
	v_cvt_f16_f32_e32 v27, v17
	v_cvt_f16_f32_e32 v16, v20
	;; [unrolled: 1-line block ×5, first 2 shown]
	v_cvt_f32_f16_e32 v20, v16
	v_cvt_f32_f16_e32 v21, v21
	;; [unrolled: 1-line block ×4, first 2 shown]
	v_cvt_f16_f32_e32 v96, v18
	v_pack_b32_f16 v122, v26, v27
	v_mfma_f32_16x16x16f16 v[16:19], v[24:25], v[100:101], v[20:23]
	s_nop 6
	ds_read_u16 v20, v170 offset:7872
	ds_read_u16 v21, v198 offset:480
	;; [unrolled: 1-line block ×4, first 2 shown]
	v_cvt_f16_f32_e32 v24, v14
	v_cvt_f16_f32_e32 v25, v15
	v_pack_b32_f16 v121, v96, v97
	s_waitcnt lgkmcnt(1)
	v_perm_b32 v21, v22, v21, s65
	s_waitcnt lgkmcnt(0)
	v_perm_b32 v20, v23, v20, s65
	v_pack_b32_f16 v137, v12, v13
	v_cvt_f16_f32_e32 v16, v16
	v_cvt_f16_f32_e32 v17, v17
	v_cvt_f16_f32_e32 v18, v18
	v_cvt_f16_f32_e32 v19, v19
	v_cvt_f32_f16_e32 v16, v16
	v_cvt_f32_f16_e32 v17, v17
	;; [unrolled: 1-line block ×4, first 2 shown]
	v_pack_b32_f16 v136, v24, v25
	s_nop 0
	v_mfma_f32_16x16x16f16 v[16:19], v[20:21], v[98:99], v[16:19]
	s_nop 7
	s_nop 2
	v_cvt_f16_f32_e32 v20, v16
	v_cvt_f16_f32_e32 v21, v17
	v_cvt_f16_f32_e32 v22, v18
	v_cvt_f16_f32_e32 v16, v19
	ds_read_u16 v17, v170 offset:11712
	ds_read_u16 v18, v199 offset:480
	;; [unrolled: 1-line block ×4, first 2 shown]
	v_cvt_f32_f16_e32 v20, v20
	v_cvt_f32_f16_e32 v21, v21
	v_cvt_f32_f16_e32 v22, v22
	s_waitcnt lgkmcnt(1)
	v_perm_b32 v19, v19, v18, s65
	s_waitcnt lgkmcnt(0)
	v_perm_b32 v18, v23, v17, s65
	v_cvt_f32_f16_e32 v23, v16
	s_barrier
	s_nop 0
	v_mfma_f32_16x16x16f16 v[14:17], v[18:19], v[28:29], v[20:23]
	s_nop 7
	s_nop 2
	v_cvt_f16_f32_e32 v14, v14
	v_cvt_f16_f32_e32 v15, v15
	;; [unrolled: 1-line block ×4, first 2 shown]
	v_pack_b32_f16 v131, v14, v15
	v_pack_b32_f16 v129, v16, v17
	s_cbranch_vccz .LBB19_452
; %bb.450:                              ;   in Loop: Header=BB19_433 Depth=1
	v_mov_b32_e32 v208, v151
	v_mov_b32_e32 v96, v39
	s_branch .LBB19_433
.LBB19_451:
	v_mov_b32_e32 v151, 0
	v_mov_b32_e32 v39, 0xfeffffff
	v_mov_b32_e32 v131, 0
	v_mov_b32_e32 v139, 0
	v_mov_b32_e32 v140, 0
	v_mov_b32_e32 v130, 0
	v_mov_b32_e32 v141, 0
	v_mov_b32_e32 v125, 0
	v_mov_b32_e32 v126, 0
	v_mov_b32_e32 v123, 0
	v_mov_b32_e32 v124, 0
	v_mov_b32_e32 v121, 0
	v_mov_b32_e32 v122, 0
	v_mov_b32_e32 v136, 0
	v_mov_b32_e32 v137, 0
.LBB19_452:
	s_lshl_b32 s52, s58, 6
	v_readlane_b32 s4, v253, 4
	s_sub_i32 s54, s4, s52
	s_cmp_lg_u64 s[8:9], 0
	s_cselect_b64 s[6:7], -1, 0
	s_ashr_i32 s53, s52, 31
	s_cmp_eq_u64 s[8:9], 0
	v_readlane_b32 s55, v253, 16
	v_readlane_b32 s56, v253, 21
	;; [unrolled: 1-line block ×5, first 2 shown]
	s_cbranch_scc1 .LBB19_486
; %bb.453:
	s_lshl_b64 s[4:5], s[52:53], 1
	s_add_u32 s4, s8, s4
	s_addc_u32 s5, s9, s5
	v_mov_b32_e32 v13, s5
	v_add_co_u32_e64 v12, s[4:5], s4, v142
	v_cmp_gt_i32_e32 vcc, s54, v106
	v_mov_b32_e32 v14, 0
	v_addc_co_u32_e64 v13, s[4:5], 0, v13, s[4:5]
	v_mov_b32_e32 v16, 0
	s_and_saveexec_b64 s[8:9], vcc
	s_cbranch_execz .LBB19_455
; %bb.454:
	v_add_u32_e32 v15, s33, v120
	v_readlane_b32 s4, v253, 17
	v_mul_hi_u32 v16, s4, v15
	v_readlane_b32 s5, v253, 18
	v_add_u32_e32 v16, v15, v16
	v_lshrrev_b32_e32 v16, s5, v16
	v_readlane_b32 s12, v253, 7
	v_mul_lo_u32 v16, v16, s12
	v_readlane_b32 s4, v253, 56
	v_sub_u32_e32 v15, v15, v16
	v_readlane_b32 s5, v253, 57
	v_mad_i64_i32 v[16:17], s[4:5], v15, s4, 0
	v_lshlrev_b64 v[16:17], 1, v[16:17]
	v_add_co_u32_e64 v16, s[4:5], v12, v16
	v_addc_co_u32_e64 v17, s[4:5], v13, v17, s[4:5]
	flat_load_ushort v16, v[16:17]
	v_readlane_b32 s13, v253, 8
	v_readlane_b32 s14, v253, 9
	v_readlane_b32 s15, v253, 10
.LBB19_455:
	s_or_b64 exec, exec, s[8:9]
	s_movk_i32 s4, 0x90
	v_mad_u32_u24 v15, v120, s4, 0
	v_lshl_add_u32 v17, v106, 1, v15
	s_waitcnt vmcnt(0) lgkmcnt(0)
	ds_write_b16 v17, v16 offset:15360
	s_and_saveexec_b64 s[8:9], vcc
	s_cbranch_execz .LBB19_457
; %bb.456:
	v_add3_u32 v14, v120, s33, 4
	v_readlane_b32 s4, v253, 17
	v_mul_hi_u32 v16, s4, v14
	v_readlane_b32 s5, v253, 18
	v_add_u32_e32 v16, v14, v16
	v_lshrrev_b32_e32 v16, s5, v16
	v_readlane_b32 s12, v253, 7
	v_mul_lo_u32 v16, v16, s12
	v_readlane_b32 s4, v253, 56
	v_sub_u32_e32 v14, v14, v16
	v_readlane_b32 s5, v253, 57
	v_mad_i64_i32 v[16:17], s[4:5], v14, s4, 0
	v_lshlrev_b64 v[16:17], 1, v[16:17]
	v_add_co_u32_e64 v16, s[4:5], v12, v16
	v_addc_co_u32_e64 v17, s[4:5], v13, v17, s[4:5]
	flat_load_ushort v14, v[16:17]
	v_readlane_b32 s13, v253, 8
	v_readlane_b32 s14, v253, 9
	v_readlane_b32 s15, v253, 10
.LBB19_457:
	s_or_b64 exec, exec, s[8:9]
	v_add_u32_e32 v15, 0x240, v15
	v_lshl_add_u32 v16, v106, 1, v15
	s_waitcnt vmcnt(0) lgkmcnt(0)
	ds_write_b16 v16, v14 offset:15360
	v_mov_b32_e32 v14, 0
	v_mov_b32_e32 v16, 0
	s_and_saveexec_b64 s[8:9], vcc
	s_cbranch_execz .LBB19_459
; %bb.458:
	v_add3_u32 v16, v120, s33, 8
	v_readlane_b32 s4, v253, 17
	v_mul_hi_u32 v17, s4, v16
	v_readlane_b32 s5, v253, 18
	v_add_u32_e32 v17, v16, v17
	v_lshrrev_b32_e32 v17, s5, v17
	v_readlane_b32 s12, v253, 7
	v_mul_lo_u32 v17, v17, s12
	v_readlane_b32 s4, v253, 56
	v_sub_u32_e32 v16, v16, v17
	v_readlane_b32 s5, v253, 57
	v_mad_i64_i32 v[16:17], s[4:5], v16, s4, 0
	v_lshlrev_b64 v[16:17], 1, v[16:17]
	v_add_co_u32_e64 v16, s[4:5], v12, v16
	v_addc_co_u32_e64 v17, s[4:5], v13, v17, s[4:5]
	flat_load_ushort v16, v[16:17]
	v_readlane_b32 s13, v253, 8
	v_readlane_b32 s14, v253, 9
	v_readlane_b32 s15, v253, 10
.LBB19_459:
	s_or_b64 exec, exec, s[8:9]
	v_add_u32_e32 v15, 0x240, v15
	v_lshl_add_u32 v17, v106, 1, v15
	s_waitcnt vmcnt(0) lgkmcnt(0)
	ds_write_b16 v17, v16 offset:15360
	s_and_saveexec_b64 s[8:9], vcc
	s_cbranch_execz .LBB19_461
; %bb.460:
	v_add3_u32 v14, v120, s33, 12
	v_readlane_b32 s4, v253, 17
	v_mul_hi_u32 v16, s4, v14
	v_readlane_b32 s5, v253, 18
	v_add_u32_e32 v16, v14, v16
	v_lshrrev_b32_e32 v16, s5, v16
	v_readlane_b32 s12, v253, 7
	v_mul_lo_u32 v16, v16, s12
	v_readlane_b32 s4, v253, 56
	v_sub_u32_e32 v14, v14, v16
	v_readlane_b32 s5, v253, 57
	v_mad_i64_i32 v[16:17], s[4:5], v14, s4, 0
	v_lshlrev_b64 v[16:17], 1, v[16:17]
	v_add_co_u32_e64 v16, s[4:5], v12, v16
	v_addc_co_u32_e64 v17, s[4:5], v13, v17, s[4:5]
	flat_load_ushort v14, v[16:17]
	v_readlane_b32 s13, v253, 8
	v_readlane_b32 s14, v253, 9
	v_readlane_b32 s15, v253, 10
.LBB19_461:
	s_or_b64 exec, exec, s[8:9]
	v_add_u32_e32 v15, 0x240, v15
	v_lshl_add_u32 v16, v106, 1, v15
	s_waitcnt vmcnt(0) lgkmcnt(0)
	ds_write_b16 v16, v14 offset:15360
	v_mov_b32_e32 v14, 0
	v_mov_b32_e32 v16, 0
	s_and_saveexec_b64 s[8:9], vcc
	s_cbranch_execz .LBB19_463
; %bb.462:
	v_add3_u32 v16, v120, s33, 16
	v_readlane_b32 s4, v253, 17
	v_mul_hi_u32 v17, s4, v16
	v_readlane_b32 s5, v253, 18
	v_add_u32_e32 v17, v16, v17
	v_lshrrev_b32_e32 v17, s5, v17
	v_readlane_b32 s12, v253, 7
	v_mul_lo_u32 v17, v17, s12
	v_readlane_b32 s4, v253, 56
	v_sub_u32_e32 v16, v16, v17
	v_readlane_b32 s5, v253, 57
	v_mad_i64_i32 v[16:17], s[4:5], v16, s4, 0
	v_lshlrev_b64 v[16:17], 1, v[16:17]
	v_add_co_u32_e64 v16, s[4:5], v12, v16
	v_addc_co_u32_e64 v17, s[4:5], v13, v17, s[4:5]
	flat_load_ushort v16, v[16:17]
	v_readlane_b32 s13, v253, 8
	v_readlane_b32 s14, v253, 9
	v_readlane_b32 s15, v253, 10
.LBB19_463:
	s_or_b64 exec, exec, s[8:9]
	v_add_u32_e32 v15, 0x240, v15
	;; [unrolled: 58-line block ×7, first 2 shown]
	v_lshl_add_u32 v15, v106, 1, v15
	s_waitcnt vmcnt(0) lgkmcnt(0)
	ds_write_b16 v15, v16 offset:15360
	s_and_saveexec_b64 s[4:5], vcc
	s_cbranch_execz .LBB19_485
; %bb.484:
	v_add3_u32 v14, v120, s33, 60
	v_readlane_b32 s8, v253, 17
	v_mul_hi_u32 v16, s8, v14
	v_readlane_b32 s9, v253, 18
	v_add_u32_e32 v16, v14, v16
	v_lshrrev_b32_e32 v16, s9, v16
	v_readlane_b32 s8, v253, 7
	v_readlane_b32 s9, v253, 8
	v_mul_lo_u32 v16, v16, s8
	v_readlane_b32 s8, v253, 56
	v_sub_u32_e32 v14, v14, v16
	v_readlane_b32 s9, v253, 57
	v_mad_i64_i32 v[16:17], s[8:9], v14, s8, 0
	v_lshlrev_b64 v[16:17], 1, v[16:17]
	v_add_co_u32_e32 v12, vcc, v12, v16
	v_addc_co_u32_e32 v13, vcc, v13, v17, vcc
	flat_load_ushort v14, v[12:13]
	v_readlane_b32 s10, v253, 9
	v_readlane_b32 s11, v253, 10
.LBB19_485:
	s_or_b64 exec, exec, s[4:5]
	s_waitcnt vmcnt(0) lgkmcnt(0)
	ds_write_b16 v15, v14 offset:15936
.LBB19_486:
	v_readlane_b32 s4, v253, 58
	v_readlane_b32 s5, v253, 59
	s_mul_hi_i32 s5, s52, s4
	s_mul_i32 s4, s52, s4
	s_lshl_b64 s[4:5], s[4:5], 2
	s_add_u32 s10, s50, s4
	v_lshl_add_u32 v49, v120, 5, v138
	s_addc_u32 s11, s51, s5
	s_mov_b64 s[4:5], src_private_base
	v_mov_b32_e32 v12, 0
	v_cmp_gt_u32_e64 s[42:43], 64, v49
	buffer_store_dword v12, off, s[0:3], 0
	buffer_store_dword v12, off, s[0:3], 0 offset:4
	buffer_store_dword v12, off, s[0:3], 0 offset:8
	;; [unrolled: 1-line block ×3, first 2 shown]
                                        ; implicit-def: $vgpr50
	s_and_saveexec_b64 s[8:9], s[42:43]
	s_xor_b64 s[8:9], exec, s[8:9]
	s_cbranch_execz .LBB19_488
; %bb.487:
	v_readlane_b32 s12, v253, 58
	v_mul_lo_u32 v12, s12, v49
	v_ashrrev_i32_e32 v13, 31, v12
	v_lshlrev_b64 v[12:13], 2, v[12:13]
	v_mov_b32_e32 v14, s11
	v_add_co_u32_e32 v12, vcc, s10, v12
	v_addc_co_u32_e32 v13, vcc, v14, v13, vcc
	v_lshlrev_b32_e32 v14, 4, v106
	v_and_b32_e32 v16, 16, v14
	v_add_co_u32_e32 v12, vcc, v12, v16
	v_addc_co_u32_e32 v13, vcc, 0, v13, vcc
	v_add_co_u32_e32 v12, vcc, 0xc0, v12
	v_addc_co_u32_e32 v13, vcc, 0, v13, vcc
	v_mov_b32_e32 v14, s5
	v_cmp_gt_i32_e32 vcc, s54, v49
	v_cndmask_b32_e32 v13, v14, v13, vcc
	v_mov_b32_e32 v14, 0
	v_cndmask_b32_e32 v12, v14, v12, vcc
	flat_load_dwordx4 v[12:15], v[12:13]
	v_mul_u32_u24_e32 v17, 0xf0, v49
	v_add3_u32 v16, 0, v17, v16
	v_readlane_b32 s13, v253, 59
	v_lshlrev_b32_e32 v50, 2, v106
	s_waitcnt vmcnt(0) lgkmcnt(0)
	ds_write_b128 v16, v[12:15] offset:192
.LBB19_488:
	s_andn2_saveexec_b64 s[8:9], s[8:9]
; %bb.489:
	v_lshlrev_b32_e32 v50, 2, v106
; %bb.490:
	s_or_b64 exec, exec, s[8:9]
	buffer_load_dword v68, off, s[0:3], 0 offset:124 ; 4-byte Folded Reload
	v_readlane_b32 s8, v253, 58
	v_mov_b32_e32 v14, s11
	s_movk_i32 s4, 0x80
	v_mov_b32_e32 v18, s5
	v_mov_b32_e32 v19, 0
	v_lshlrev_b64 v[16:17], 2, v[42:43]
	v_and_b32_e32 v20, 28, v50
	v_mov_b32_e32 v21, s11
	v_lshlrev_b32_e32 v43, 2, v20
	v_cmp_gt_i32_e64 s[38:39], s54, v115
	v_ashrrev_i32_e32 v33, 31, v32
	v_mov_b32_e32 v20, s11
	v_cmp_gt_i32_e64 s[36:37], s54, v132
	v_and_b32_e32 v46, 0xfc, v128
	v_readlane_b32 s9, v253, 59
	s_waitcnt vmcnt(0)
	v_add_u32_e32 v48, v68, v128
	v_mul_lo_u32 v12, s8, v48
	v_ashrrev_i32_e32 v13, 31, v12
	v_lshlrev_b64 v[12:13], 2, v[12:13]
	v_add_co_u32_e32 v12, vcc, s10, v12
	v_addc_co_u32_e32 v13, vcc, v14, v13, vcc
	v_and_b32_e32 v14, 12, v50
	v_lshlrev_b32_e32 v47, 2, v14
	v_add_co_u32_e32 v12, vcc, v12, v47
	v_addc_co_u32_e32 v13, vcc, 0, v13, vcc
	v_add_co_u32_e32 v12, vcc, s4, v12
	v_addc_co_u32_e32 v13, vcc, 0, v13, vcc
	v_cmp_gt_i32_e64 s[40:41], s54, v48
	v_cndmask_b32_e64 v13, v18, v13, s[40:41]
	v_cndmask_b32_e64 v12, v19, v12, s[40:41]
	flat_load_dwordx4 v[12:15], v[12:13]
	v_add_co_u32_e32 v16, vcc, s10, v16
	v_addc_co_u32_e32 v17, vcc, v21, v17, vcc
	v_mul_u32_u24_e32 v22, 0xf0, v48
	v_add_co_u32_e32 v16, vcc, v16, v43
	v_add3_u32 v51, 0, v22, v47
	v_addc_co_u32_e32 v17, vcc, 0, v17, vcc
	v_cndmask_b32_e64 v17, v18, v17, s[38:39]
	v_cndmask_b32_e64 v16, v19, v16, s[38:39]
	s_movk_i32 s4, 0xf0
	v_mad_u32_u24 v42, v115, s4, 0
	v_add_u32_e32 v44, v42, v43
	s_waitcnt vmcnt(0) lgkmcnt(0)
	ds_write_b128 v51, v[12:15] offset:128
	flat_load_dwordx4 v[12:15], v[16:17]
	v_lshlrev_b64 v[16:17], 2, v[32:33]
	v_add_co_u32_e32 v16, vcc, s10, v16
	v_addc_co_u32_e32 v17, vcc, v20, v17, vcc
	v_add_co_u32_e32 v16, vcc, v16, v43
	v_addc_co_u32_e32 v17, vcc, 0, v17, vcc
	v_cndmask_b32_e64 v17, v18, v17, s[36:37]
	v_cndmask_b32_e64 v16, v19, v16, s[36:37]
	v_add3_u32 v32, 0, v134, v135
	v_add_u32_e32 v28, 0x800, v32
	v_add_u32_e32 v29, 0x1800, v32
	;; [unrolled: 1-line block ×3, first 2 shown]
	s_and_b64 vcc, exec, s[6:7]
	s_waitcnt vmcnt(0) lgkmcnt(0)
	ds_write_b128 v44, v[12:15]
	flat_load_dwordx4 v[12:15], v[16:17]
	s_waitcnt vmcnt(0) lgkmcnt(0)
	ds_write_b128 v44, v[12:15] offset:7680
	s_waitcnt lgkmcnt(0)
	s_barrier
	ds_read2_b64 v[12:15], v32 offset1:4
	ds_read2_b64 v[20:23], v28 offset0:224 offset1:228
	ds_read2_b64 v[52:55], v29 offset0:192 offset1:196
	ds_read2_b64 v[60:63], v33 offset0:160 offset1:164
	s_waitcnt lgkmcnt(3)
	v_mfma_f32_16x16x16f16 v[16:19], v[12:13], v[8:9], 0
	s_waitcnt lgkmcnt(2)
	v_mfma_f32_16x16x16f16 v[24:27], v[20:21], v[8:9], 0
	;; [unrolled: 2-line block ×4, first 2 shown]
	v_mfma_f32_16x16x16f16 v[12:15], v[14:15], v[10:11], v[16:19]
	v_mfma_f32_16x16x16f16 v[16:19], v[22:23], v[10:11], v[24:27]
	;; [unrolled: 1-line block ×3, first 2 shown]
	s_nop 5
	ds_read2_b64 v[24:27], v32 offset0:8 offset1:12
	ds_read2_b64 v[52:55], v28 offset0:232 offset1:236
	v_mfma_f32_16x16x16f16 v[8:11], v[62:63], v[10:11], v[64:67]
	ds_read2_b64 v[56:59], v29 offset0:200 offset1:204
	ds_read2_b64 v[60:63], v33 offset0:168 offset1:172
	s_waitcnt lgkmcnt(3)
	v_mfma_f32_16x16x16f16 v[12:15], v[24:25], v[4:5], v[12:15]
	s_waitcnt lgkmcnt(2)
	v_mfma_f32_16x16x16f16 v[16:19], v[52:53], v[4:5], v[16:19]
	;; [unrolled: 2-line block ×4, first 2 shown]
	v_mfma_f32_16x16x16f16 v[12:15], v[26:27], v[6:7], v[12:15]
	ds_read2_b64 v[24:27], v28 offset0:240 offset1:244
	v_mfma_f32_16x16x16f16 v[16:19], v[54:55], v[6:7], v[16:19]
	ds_read2_b64 v[52:55], v29 offset0:208 offset1:212
	;; [unrolled: 2-line block ×3, first 2 shown]
	v_mfma_f32_16x16x16f16 v[4:7], v[62:63], v[6:7], v[8:11]
	s_nop 6
	ds_read2_b64 v[8:11], v32 offset0:16 offset1:20
	s_waitcnt lgkmcnt(0)
	v_mfma_f32_16x16x16f16 v[12:15], v[8:9], v[0:1], v[12:15]
	v_mfma_f32_16x16x16f16 v[16:19], v[24:25], v[0:1], v[16:19]
	;; [unrolled: 1-line block ×3, first 2 shown]
	v_add_u32_e32 v53, 32, v46
	v_mfma_f32_16x16x16f16 v[4:7], v[56:57], v[0:1], v[4:7]
	v_add_u32_e32 v56, 48, v46
	v_add_u32_e32 v57, 50, v46
	v_mfma_f32_16x16x16f16 v[8:11], v[10:11], v[2:3], v[12:15]
	v_mfma_f32_16x16x16f16 v[12:15], v[26:27], v[2:3], v[16:19]
	;; [unrolled: 1-line block ×3, first 2 shown]
	v_add_u32_e32 v55, 34, v46
	v_mfma_f32_16x16x16f16 v[0:3], v[58:59], v[2:3], v[4:7]
	s_nop 6
	ds_read_b64 v[4:5], v32 offset:192
	ds_read_b64 v[6:7], v32 offset:4032
	;; [unrolled: 1-line block ×4, first 2 shown]
	s_waitcnt lgkmcnt(0)
	s_barrier
	v_mfma_f32_16x16x16f16 v[18:21], v[4:5], v[30:31], v[8:11]
	v_mfma_f32_16x16x16f16 v[22:25], v[6:7], v[30:31], v[12:15]
	;; [unrolled: 1-line block ×4, first 2 shown]
	s_nop 6
	v_add_u32_e32 v0, 16, v46
	v_add_u32_e32 v1, 18, v46
	s_cbranch_vccz .LBB19_498
; %bb.491:
	v_or_b32_e32 v2, v68, v109
	s_movk_i32 s4, 0x90
	v_mad_u32_u24 v59, v2, s4, 0
	v_lshl_add_u32 v2, v46, 1, v59
	v_add_u32_e32 v3, v59, v133
	ds_read_b32 v9, v2 offset:15360
	ds_read_b32 v7, v3 offset:15360
	v_add_u32_e32 v52, 16, v46
	v_add_u32_e32 v54, 32, v46
	v_lshlrev_b32_e32 v4, 1, v52
	s_movk_i32 s4, 0x3c00
	v_lshlrev_b32_e32 v2, 1, v54
	v_add3_u32 v4, v59, v4, s4
	v_add3_u32 v5, v59, v2, s4
	ds_read2_b32 v[2:3], v4 offset1:1
	ds_read2_b32 v[4:5], v5 offset1:1
	s_waitcnt lgkmcnt(2)
	v_cvt_f32_f16_e32 v6, v7
	v_cvt_f32_f16_sdwa v7, v7 dst_sel:DWORD dst_unused:UNUSED_PAD src0_sel:WORD_1
	v_add_u32_e32 v58, 48, v46
	s_waitcnt lgkmcnt(1)
	v_cvt_f32_f16_e32 v10, v3
	v_cvt_f32_f16_sdwa v11, v3 dst_sel:DWORD dst_unused:UNUSED_PAD src0_sel:WORD_1
	v_pk_fma_f32 v[16:17], v[38:39], v[6:7], v[20:21] op_sel_hi:[0,1,1]
	v_cvt_f32_f16_e32 v6, v2
	v_cvt_f32_f16_sdwa v7, v2 dst_sel:DWORD dst_unused:UNUSED_PAD src0_sel:WORD_1
	s_waitcnt lgkmcnt(0)
	v_cvt_f32_f16_e32 v2, v5
	v_cvt_f32_f16_sdwa v3, v5 dst_sel:DWORD dst_unused:UNUSED_PAD src0_sel:WORD_1
	v_lshlrev_b32_e32 v5, 1, v58
	v_add3_u32 v5, v59, v5, s4
	v_pk_fma_f32 v[12:13], v[38:39], v[10:11], v[24:25] op_sel_hi:[0,1,1]
	v_pk_fma_f32 v[10:11], v[38:39], v[6:7], v[22:23] op_sel_hi:[0,1,1]
	ds_read2_b32 v[6:7], v5 offset1:1
	v_cvt_f32_f16_e32 v8, v9
	v_cvt_f32_f16_sdwa v9, v9 dst_sel:DWORD dst_unused:UNUSED_PAD src0_sel:WORD_1
	v_cvt_f32_f16_e32 v62, v4
	v_cvt_f32_f16_sdwa v63, v4 dst_sel:DWORD dst_unused:UNUSED_PAD src0_sel:WORD_1
	s_waitcnt lgkmcnt(0)
	v_cvt_f32_f16_e32 v4, v7
	v_pk_fma_f32 v[14:15], v[38:39], v[8:9], v[18:19] op_sel_hi:[0,1,1]
	v_pk_fma_f32 v[8:9], v[38:39], v[2:3], v[28:29] op_sel_hi:[0,1,1]
	v_cvt_f32_f16_e32 v2, v6
	v_cvt_f32_f16_sdwa v5, v7 dst_sel:DWORD dst_unused:UNUSED_PAD src0_sel:WORD_1
	v_cvt_f32_f16_sdwa v3, v6 dst_sel:DWORD dst_unused:UNUSED_PAD src0_sel:WORD_1
	v_add_u32_e32 v60, 18, v46
	v_add_u32_e32 v61, 34, v46
	v_pk_fma_f32 v[6:7], v[38:39], v[62:63], v[26:27] op_sel_hi:[0,1,1]
	v_add_u32_e32 v59, 50, v46
	v_pk_fma_f32 v[4:5], v[38:39], v[4:5], v[32:33] op_sel_hi:[0,1,1]
	v_pk_fma_f32 v[2:3], v[38:39], v[2:3], v[30:31] op_sel_hi:[0,1,1]
	s_cbranch_execnz .LBB19_493
.LBB19_492:
	v_pk_mov_b32 v[2:3], v[30:31], v[30:31] op_sel:[0,1]
	v_pk_mov_b32 v[6:7], v[26:27], v[26:27] op_sel:[0,1]
	;; [unrolled: 1-line block ×4, first 2 shown]
	v_mov_b32_e32 v59, v57
	v_mov_b32_e32 v58, v56
	;; [unrolled: 1-line block ×6, first 2 shown]
	v_pk_mov_b32 v[4:5], v[32:33], v[32:33] op_sel:[0,1]
	v_pk_mov_b32 v[8:9], v[28:29], v[28:29] op_sel:[0,1]
	;; [unrolled: 1-line block ×4, first 2 shown]
.LBB19_493:
	v_add_f32_e32 v0, 0x40051340, v14
	v_max_f32_e32 v1, v39, v39
	v_max_f32_e32 v0, v1, v0
	v_cmp_gt_u32_e64 s[44:45], s54, v46
	v_cndmask_b32_e64 v0, v39, v0, s[44:45]
	v_or_b32_e32 v1, 1, v46
	v_add_f32_e32 v18, 0x40051340, v15
	v_max_f32_e32 v19, v0, v0
	v_max_f32_e32 v18, v19, v18
	v_cmp_gt_u32_e64 s[34:35], s54, v1
	v_cndmask_b32_e64 v0, v0, v18, s[34:35]
	v_or_b32_e32 v1, 2, v46
	;; [unrolled: 6-line block ×3, first 2 shown]
	v_add_f32_e32 v1, 0x40051340, v17
	v_max_f32_e32 v18, v0, v0
	v_max_f32_e32 v1, v18, v1
	v_cmp_gt_u32_e64 s[30:31], s54, v26
	v_cndmask_b32_e64 v0, v0, v1, s[30:31]
	v_add_f32_e32 v1, 0x40051340, v10
	v_max_f32_e32 v18, v0, v0
	v_max_f32_e32 v1, v18, v1
	v_cmp_gt_u32_e64 s[26:27], s54, v52
	v_cndmask_b32_e64 v0, v0, v1, s[26:27]
	v_add_u32_e32 v1, 17, v46
	v_add_f32_e32 v18, 0x40051340, v11
	v_max_f32_e32 v19, v0, v0
	v_max_f32_e32 v18, v19, v18
	v_cmp_gt_u32_e64 s[24:25], s54, v1
	v_cndmask_b32_e64 v0, v0, v18, s[24:25]
	v_add_f32_e32 v1, 0x40051340, v12
	v_max_f32_e32 v18, v0, v0
	v_max_f32_e32 v1, v18, v1
	v_cmp_gt_u32_e64 s[22:23], s54, v60
	v_cndmask_b32_e64 v0, v0, v1, s[22:23]
	v_add_u32_e32 v1, 19, v46
	;; [unrolled: 11-line block ×6, first 2 shown]
	v_add_f32_e32 v18, 0x40051340, v5
	v_max_f32_e32 v19, v0, v0
	v_max_f32_e32 v18, v19, v18
	v_cmp_gt_u32_e64 s[4:5], s54, v1
	v_cndmask_b32_e64 v0, v0, v18, s[4:5]
	v_mbcnt_hi_u32_b32 v18, -1, v127
	v_and_b32_e32 v1, 64, v18
	v_add_u32_e32 v19, 64, v1
	v_xor_b32_e32 v1, 32, v18
	v_cmp_lt_i32_e32 vcc, v1, v19
	v_cndmask_b32_e32 v1, v18, v1, vcc
	v_lshlrev_b32_e32 v1, 2, v1
	ds_bpermute_b32 v20, v1, v0
	v_max_f32_e32 v0, v0, v0
	s_mul_hi_i32 s9, s52, s58
	s_mul_i32 s8, s52, s58
	s_lshl_b64 s[8:9], s[8:9], 2
	s_waitcnt lgkmcnt(0)
	v_max_f32_e32 v20, v20, v20
	v_max_f32_e32 v0, v0, v20
	v_xor_b32_e32 v20, 16, v18
	v_cmp_lt_i32_e32 vcc, v20, v19
	v_cndmask_b32_e32 v18, v18, v20, vcc
	v_lshlrev_b32_e32 v31, 2, v18
	ds_bpermute_b32 v18, v31, v0
	s_add_u32 s8, s48, s8
	v_add_u32_e32 v24, 0x80, v51
	v_add_u32_e32 v27, 0x1e00, v44
	s_addc_u32 s33, s49, s9
	s_mov_b64 s[48:49], src_private_base
	s_mov_b32 s9, 0
	v_mov_b32_e32 v19, 0
	buffer_store_dword v19, off, s[0:3], 0
	buffer_store_dword v19, off, s[0:3], 0 offset:4
	buffer_store_dword v19, off, s[0:3], 0 offset:8
	;; [unrolled: 1-line block ×3, first 2 shown]
	s_and_saveexec_b64 s[52:53], s[42:43]
	s_cbranch_execz .LBB19_495
; %bb.494:
	v_mul_lo_u32 v20, s58, v49
	v_ashrrev_i32_e32 v21, 31, v20
	v_lshlrev_b64 v[20:21], 2, v[20:21]
	v_lshlrev_b32_e32 v19, 2, v50
	v_mov_b32_e32 v22, s33
	v_add_co_u32_e32 v20, vcc, s8, v20
	v_and_b32_e32 v19, 16, v19
	v_addc_co_u32_e32 v21, vcc, v22, v21, vcc
	v_add_co_u32_e32 v20, vcc, v20, v19
	v_addc_co_u32_e32 v21, vcc, 0, v21, vcc
	v_add_co_u32_e32 v20, vcc, 0xc0, v20
	v_addc_co_u32_e32 v21, vcc, 0, v21, vcc
	v_mov_b32_e32 v22, s49
	v_cmp_gt_i32_e32 vcc, s54, v49
	v_cndmask_b32_e32 v21, v22, v21, vcc
	v_mov_b32_e32 v22, 0
	v_cndmask_b32_e32 v20, v22, v20, vcc
	flat_load_dwordx4 v[20:23], v[20:21]
	v_mul_u32_u24_e32 v25, 0xf0, v49
	v_add3_u32 v19, 0, v25, v19
	s_waitcnt vmcnt(0) lgkmcnt(0)
	ds_write_b128 v19, v[20:23] offset:192
.LBB19_495:
	s_or_b64 exec, exec, s[52:53]
	s_waitcnt lgkmcnt(0)
	v_max_f32_e32 v18, v18, v18
	v_max_f32_e32 v0, v0, v0
	;; [unrolled: 1-line block ×3, first 2 shown]
	v_sub_f32_e32 v0, v14, v30
	s_mov_b32 s48, 0x3fb8aa3b
	v_mul_f32_e32 v14, 0x3fb8aa3b, v0
	v_fma_f32 v18, v0, s48, -v14
	v_rndne_f32_e32 v19, v14
	v_fmac_f32_e32 v18, 0x32a5705f, v0
	v_sub_f32_e32 v14, v14, v19
	v_add_f32_e32 v14, v14, v18
	v_exp_f32_e32 v14, v14
	v_cvt_i32_f32_e32 v18, v19
	v_sub_f32_e32 v15, v15, v30
	s_mov_b32 s42, 0xc2ce8ed0
	v_cmp_ngt_f32_e32 vcc, s42, v0
	v_ldexp_f32 v14, v14, v18
	v_mul_f32_e32 v18, 0x3fb8aa3b, v15
	v_fma_f32 v19, v15, s48, -v18
	v_rndne_f32_e32 v20, v18
	v_fmac_f32_e32 v19, 0x32a5705f, v15
	v_sub_f32_e32 v18, v18, v20
	v_add_f32_e32 v18, v18, v19
	v_exp_f32_e32 v18, v18
	v_cvt_i32_f32_e32 v19, v20
	s_mov_b32 s43, 0x42b17218
	v_cndmask_b32_e32 v14, 0, v14, vcc
	v_mov_b32_e32 v28, 0x7f800000
	v_cmp_nlt_f32_e32 vcc, s43, v0
	v_cndmask_b32_e32 v0, v28, v14, vcc
	v_ldexp_f32 v14, v18, v19
	v_cmp_ngt_f32_e32 vcc, s42, v15
	v_cndmask_b32_e32 v14, 0, v14, vcc
	v_cmp_nlt_f32_e32 vcc, s43, v15
	v_cndmask_b32_e64 v15, v16, v16, s[34:35]
	v_sub_f32_e32 v18, v15, v30
	v_mul_f32_e32 v15, 0x3fb8aa3b, v18
	v_fma_f32 v16, v18, s48, -v15
	v_rndne_f32_e32 v19, v15
	v_fmac_f32_e32 v16, 0x32a5705f, v18
	v_sub_f32_e32 v15, v15, v19
	v_add_f32_e32 v15, v15, v16
	v_exp_f32_e32 v20, v15
	v_cvt_i32_f32_e32 v19, v19
	v_cndmask_b32_e32 v14, v28, v14, vcc
	v_mov_b32_e32 v15, s9
	v_cndmask_b32_e64 v17, v17, v17, s[34:35]
	v_cndmask_b32_e64 v16, v15, v14, s[34:35]
	v_ldexp_f32 v15, v20, v19
	v_sub_f32_e32 v20, v17, v30
	v_mul_f32_e32 v17, 0x3fb8aa3b, v20
	v_fma_f32 v19, v20, s48, -v17
	v_rndne_f32_e32 v21, v17
	v_fmac_f32_e32 v19, 0x32a5705f, v20
	v_sub_f32_e32 v17, v17, v21
	v_add_f32_e32 v17, v17, v19
	v_cmp_ngt_f32_e32 vcc, s42, v18
	v_exp_f32_e32 v19, v17
	v_cvt_i32_f32_e32 v21, v21
	v_cndmask_b32_e32 v15, 0, v15, vcc
	v_cmp_nlt_f32_e32 vcc, s43, v18
	v_cndmask_b32_e32 v15, v28, v15, vcc
	v_mov_b32_e32 v18, s9
	v_sub_f32_e32 v10, v10, v30
	v_cndmask_b32_e64 v17, v18, v15, s[28:29]
	v_mul_f32_e32 v18, 0x3fb8aa3b, v10
	v_ldexp_f32 v21, v19, v21
	v_fma_f32 v19, v10, s48, -v18
	v_rndne_f32_e32 v22, v18
	v_fmac_f32_e32 v19, 0x32a5705f, v10
	v_sub_f32_e32 v18, v18, v22
	v_add_f32_e32 v18, v18, v19
	v_exp_f32_e32 v23, v18
	v_mul_lo_u32 v18, s58, v48
	v_ashrrev_i32_e32 v19, 31, v18
	v_lshlrev_b64 v[18:19], 2, v[18:19]
	v_mov_b32_e32 v25, s33
	v_add_co_u32_e32 v18, vcc, s8, v18
	v_addc_co_u32_e32 v19, vcc, v25, v19, vcc
	v_add_co_u32_e32 v18, vcc, v18, v47
	v_cndmask_b32_e64 v0, 0, v0, s[44:45]
	v_addc_co_u32_e32 v19, vcc, 0, v19, vcc
	s_movk_i32 s44, 0x80
	v_add_co_u32_e32 v18, vcc, s44, v18
	v_addc_co_u32_e32 v19, vcc, 0, v19, vcc
	v_mov_b32_e32 v29, s49
	v_mov_b32_e32 v32, 0
	v_cndmask_b32_e64 v19, v29, v19, s[40:41]
	v_cndmask_b32_e64 v18, v32, v18, s[40:41]
	flat_load_dwordx4 v[48:51], v[18:19]
	v_cndmask_b32_e64 v11, v11, v11, s[26:27]
	v_cmp_ngt_f32_e32 vcc, s42, v20
	v_sub_f32_e32 v11, v11, v30
	v_cndmask_b32_e32 v19, 0, v21, vcc
	v_cmp_nlt_f32_e32 vcc, s43, v20
	v_mul_f32_e32 v20, 0x3fb8aa3b, v11
	v_cvt_i32_f32_e32 v18, v22
	v_fma_f32 v21, v11, s48, -v20
	v_rndne_f32_e32 v22, v20
	v_fmac_f32_e32 v21, 0x32a5705f, v11
	v_sub_f32_e32 v20, v20, v22
	v_add_f32_e32 v20, v20, v21
	v_exp_f32_e32 v20, v20
	v_cvt_i32_f32_e32 v21, v22
	v_cndmask_b32_e32 v19, v28, v19, vcc
	v_ldexp_f32 v18, v23, v18
	v_cmp_ngt_f32_e32 vcc, s42, v10
	v_cndmask_b32_e32 v18, 0, v18, vcc
	v_cmp_nlt_f32_e32 vcc, s43, v10
	v_cndmask_b32_e64 v12, v12, v12, s[26:27]
	v_cndmask_b32_e32 v18, v28, v18, vcc
	v_mov_b32_e32 v10, s9
	v_sub_f32_e32 v12, v12, v30
	v_cndmask_b32_e64 v56, v10, v18, s[26:27]
	v_ldexp_f32 v10, v20, v21
	v_mul_f32_e32 v20, 0x3fb8aa3b, v12
	v_fma_f32 v21, v12, s48, -v20
	v_rndne_f32_e32 v22, v20
	v_fmac_f32_e32 v21, 0x32a5705f, v12
	v_sub_f32_e32 v20, v20, v22
	v_cmp_ngt_f32_e32 vcc, s42, v11
	v_add_f32_e32 v20, v20, v21
	v_cndmask_b32_e32 v10, 0, v10, vcc
	v_exp_f32_e32 v21, v20
	v_cvt_i32_f32_e32 v22, v22
	v_cmp_nlt_f32_e32 vcc, s43, v11
	v_cndmask_b32_e64 v13, v13, v13, s[26:27]
	v_cndmask_b32_e32 v20, v28, v10, vcc
	v_mov_b32_e32 v11, s9
	v_cndmask_b32_e64 v57, v11, v20, s[24:25]
	v_sub_f32_e32 v11, v13, v30
	v_mul_f32_e32 v13, 0x3fb8aa3b, v11
	v_ldexp_f32 v10, v21, v22
	v_fma_f32 v21, v11, s48, -v13
	v_rndne_f32_e32 v22, v13
	v_fmac_f32_e32 v21, 0x32a5705f, v11
	v_sub_f32_e32 v13, v13, v22
	v_add_f32_e32 v13, v13, v21
	v_exp_f32_e32 v13, v13
	v_cvt_i32_f32_e32 v22, v22
	v_cmp_ngt_f32_e32 vcc, s42, v12
	v_cndmask_b32_e32 v10, 0, v10, vcc
	v_cmp_nlt_f32_e32 vcc, s43, v12
	v_sub_f32_e32 v6, v6, v30
	v_cndmask_b32_e32 v21, v28, v10, vcc
	v_mov_b32_e32 v10, s9
	v_mul_f32_e32 v12, 0x3fb8aa3b, v6
	v_cndmask_b32_e64 v58, v10, v21, s[22:23]
	v_ldexp_f32 v10, v13, v22
	v_fma_f32 v13, v6, s48, -v12
	v_rndne_f32_e32 v22, v12
	v_fmac_f32_e32 v13, 0x32a5705f, v6
	v_sub_f32_e32 v12, v12, v22
	v_add_f32_e32 v12, v12, v13
	v_exp_f32_e32 v12, v12
	v_cvt_i32_f32_e32 v13, v22
	v_cmp_ngt_f32_e32 vcc, s42, v11
	v_cndmask_b32_e32 v10, 0, v10, vcc
	v_cmp_nlt_f32_e32 vcc, s43, v11
	v_cndmask_b32_e32 v23, v28, v10, vcc
	v_ldexp_f32 v10, v12, v13
	v_cmp_ngt_f32_e32 vcc, s42, v6
	v_cndmask_b32_e32 v10, 0, v10, vcc
	v_cmp_nlt_f32_e32 vcc, s43, v6
	v_cndmask_b32_e32 v22, v28, v10, vcc
	v_lshlrev_b64 v[10:11], 2, v[40:41]
	v_mov_b32_e32 v12, s33
	v_add_co_u32_e32 v10, vcc, s8, v10
	v_addc_co_u32_e32 v11, vcc, v12, v11, vcc
	v_add_co_u32_e32 v10, vcc, v10, v43
	v_addc_co_u32_e32 v11, vcc, 0, v11, vcc
	s_waitcnt vmcnt(0) lgkmcnt(0)
	ds_write_b128 v24, v[48:51]
	v_cndmask_b32_e64 v11, v29, v11, s[38:39]
	v_cndmask_b32_e64 v10, v32, v10, s[38:39]
	flat_load_dwordx4 v[10:13], v[10:11]
	v_cndmask_b32_e64 v7, v7, v7, s[18:19]
	v_sub_f32_e32 v7, v7, v30
	v_mul_f32_e32 v25, 0x3fb8aa3b, v7
	v_fma_f32 v24, v7, s48, -v25
	v_rndne_f32_e32 v33, v25
	v_fmac_f32_e32 v24, 0x32a5705f, v7
	v_sub_f32_e32 v25, v25, v33
	v_add_f32_e32 v24, v25, v24
	v_exp_f32_e32 v24, v24
	v_cvt_i32_f32_e32 v25, v33
	v_cndmask_b32_e64 v8, v8, v8, s[18:19]
	v_mov_b32_e32 v6, s9
	v_sub_f32_e32 v8, v8, v30
	v_cndmask_b32_e64 v33, v6, v22, s[18:19]
	v_ldexp_f32 v6, v24, v25
	v_mul_f32_e32 v24, 0x3fb8aa3b, v8
	v_fma_f32 v25, v8, s48, -v24
	v_rndne_f32_e32 v38, v24
	v_fmac_f32_e32 v25, 0x32a5705f, v8
	v_sub_f32_e32 v24, v24, v38
	v_cmp_ngt_f32_e32 vcc, s42, v7
	v_add_f32_e32 v24, v24, v25
	v_cndmask_b32_e32 v6, 0, v6, vcc
	v_exp_f32_e32 v25, v24
	v_cvt_i32_f32_e32 v38, v38
	v_cmp_nlt_f32_e32 vcc, s43, v7
	v_cndmask_b32_e64 v9, v9, v9, s[18:19]
	v_cndmask_b32_e32 v24, v28, v6, vcc
	v_mov_b32_e32 v7, s9
	v_cndmask_b32_e64 v49, v7, v24, s[14:15]
	v_sub_f32_e32 v7, v9, v30
	v_mul_f32_e32 v9, 0x3fb8aa3b, v7
	v_ldexp_f32 v6, v25, v38
	v_fma_f32 v25, v7, s48, -v9
	v_rndne_f32_e32 v38, v9
	v_fmac_f32_e32 v25, 0x32a5705f, v7
	v_sub_f32_e32 v9, v9, v38
	v_add_f32_e32 v9, v9, v25
	v_exp_f32_e32 v9, v9
	v_cvt_i32_f32_e32 v38, v38
	v_cmp_ngt_f32_e32 vcc, s42, v8
	v_cndmask_b32_e32 v6, 0, v6, vcc
	v_cmp_nlt_f32_e32 vcc, s43, v8
	v_sub_f32_e32 v2, v2, v30
	v_cndmask_b32_e32 v25, v28, v6, vcc
	v_mov_b32_e32 v6, s9
	v_mul_f32_e32 v8, 0x3fb8aa3b, v2
	v_cndmask_b32_e64 v50, v6, v25, s[16:17]
	v_ldexp_f32 v6, v9, v38
	v_fma_f32 v9, v2, s48, -v8
	v_rndne_f32_e32 v38, v8
	v_fmac_f32_e32 v9, 0x32a5705f, v2
	v_sub_f32_e32 v8, v8, v38
	v_add_f32_e32 v8, v8, v9
	v_exp_f32_e32 v8, v8
	v_cvt_i32_f32_e32 v9, v38
	v_cmp_ngt_f32_e32 vcc, s42, v7
	v_cndmask_b32_e32 v6, 0, v6, vcc
	v_cmp_nlt_f32_e32 vcc, s43, v7
	v_cndmask_b32_e32 v40, v28, v6, vcc
	v_ldexp_f32 v6, v8, v9
	v_cmp_ngt_f32_e32 vcc, s42, v2
	v_cndmask_b32_e32 v6, 0, v6, vcc
	v_cmp_nlt_f32_e32 vcc, s43, v2
	v_cndmask_b32_e64 v3, v3, v3, s[46:47]
	v_cndmask_b32_e32 v38, v28, v6, vcc
	v_sub_f32_e32 v6, v3, v30
	v_mul_f32_e32 v3, 0x3fb8aa3b, v6
	v_fma_f32 v7, v6, s48, -v3
	v_rndne_f32_e32 v8, v3
	v_fmac_f32_e32 v7, 0x32a5705f, v6
	v_sub_f32_e32 v3, v3, v8
	v_add_f32_e32 v3, v3, v7
	v_exp_f32_e32 v3, v3
	v_cvt_i32_f32_e32 v7, v8
	v_mov_b32_e32 v2, s9
	v_cndmask_b32_e64 v8, v2, v38, s[46:47]
	v_cmp_ngt_f32_e32 vcc, s42, v6
	v_ldexp_f32 v2, v3, v7
	v_cndmask_b32_e32 v7, 0, v2, vcc
	v_lshlrev_b64 v[2:3], 2, v[36:37]
	v_mov_b32_e32 v9, s33
	v_add_co_u32_e32 v2, vcc, s8, v2
	v_addc_co_u32_e32 v3, vcc, v9, v3, vcc
	v_add_co_u32_e32 v2, vcc, v2, v43
	v_addc_co_u32_e32 v3, vcc, 0, v3, vcc
	s_waitcnt vmcnt(0) lgkmcnt(0)
	ds_write_b128 v44, v[10:13]
	v_cndmask_b32_e64 v3, v29, v3, s[36:37]
	v_cndmask_b32_e64 v2, v32, v2, s[36:37]
	flat_load_dwordx4 v[52:55], v[2:3]
	v_cndmask_b32_e64 v4, v4, v4, s[46:47]
	v_sub_f32_e32 v4, v4, v30
	v_mul_f32_e32 v2, 0x3fb8aa3b, v4
	v_fma_f32 v3, v4, s48, -v2
	v_rndne_f32_e32 v9, v2
	v_fmac_f32_e32 v3, 0x32a5705f, v4
	v_sub_f32_e32 v2, v2, v9
	v_add_f32_e32 v2, v2, v3
	v_exp_f32_e32 v2, v2
	v_cvt_i32_f32_e32 v9, v9
	v_cmp_nlt_f32_e32 vcc, s43, v6
	v_cndmask_b32_e64 v5, v5, v5, s[46:47]
	v_cndmask_b32_e32 v43, v28, v7, vcc
	v_mov_b32_e32 v3, s9
	v_ldexp_f32 v2, v2, v9
	v_cmp_ngt_f32_e32 vcc, s42, v4
	v_cndmask_b32_e64 v10, v3, v43, s[10:11]
	v_cndmask_b32_e32 v2, 0, v2, vcc
	v_cmp_nlt_f32_e32 vcc, s43, v4
	v_sub_f32_e32 v3, v5, v30
	v_cndmask_b32_e32 v41, v28, v2, vcc
	v_mul_f32_e32 v2, 0x3fb8aa3b, v3
	v_fma_f32 v4, v3, s48, -v2
	v_rndne_f32_e32 v5, v2
	v_fmac_f32_e32 v4, 0x32a5705f, v3
	v_sub_f32_e32 v2, v2, v5
	v_add_f32_e32 v2, v2, v4
	v_sub_f32_e32 v6, v39, v30
	v_exp_f32_e32 v4, v2
	v_mul_f32_e32 v2, 0x3fb8aa3b, v6
	v_fma_f32 v7, v6, s48, -v2
	v_rndne_f32_e32 v9, v2
	v_fmac_f32_e32 v7, 0x32a5705f, v6
	v_sub_f32_e32 v2, v2, v9
	v_add_f32_e32 v2, v2, v7
	v_cvt_i32_f32_e32 v5, v5
	v_exp_f32_e32 v7, v2
	v_cvt_i32_f32_e32 v9, v9
	v_cmp_ngt_f32_e32 vcc, s42, v6
	v_ldexp_f32 v4, v4, v5
	s_mov_b32 s8, 0xc1a00000
	v_ldexp_f32 v5, v7, v9
	v_cndmask_b32_e32 v5, 0, v5, vcc
	v_cmp_nlt_f32_e32 vcc, s43, v6
	v_cndmask_b32_e32 v5, v28, v5, vcc
	v_cmp_le_f32_e32 vcc, s8, v6
	v_cndmask_b32_e32 v39, 0, v5, vcc
	v_cvt_f16_f32_e32 v47, v39
	v_cmp_ngt_f32_e32 vcc, s42, v3
	v_mul_u32_u24_e32 v12, 0xf0, v26
	v_mul_u32_u24_e32 v7, 0x78, v46
	v_cndmask_b32_e32 v4, 0, v4, vcc
	v_cmp_nlt_f32_e32 vcc, s43, v3
	v_mul_u32_u24_e32 v51, 0xf0, v46
	v_or_b32_e32 v59, v7, v109
	v_cvt_f16_f32_e32 v7, v8
	v_cvt_f16_f32_e32 v8, v10
	v_add3_u32 v10, 0, v12, v119
	v_cndmask_b32_e32 v44, v28, v4, vcc
	v_mov_b32_e32 v3, s9
	v_cvt_f16_f32_e32 v46, v16
	v_add3_u32 v16, 0, v51, v119
	s_mov_b32 s8, 0x5040100
	v_mov_b32_e32 v2, s9
	v_cndmask_b32_e64 v11, v3, v44, s[4:5]
	v_cndmask_b32_e64 v28, v3, v40, s[12:13]
	;; [unrolled: 1-line block ×4, first 2 shown]
	v_cvt_f16_f32_e32 v32, v49
	v_cvt_f16_f32_e32 v29, v56
	v_cvt_f16_f32_e32 v36, v57
	v_cvt_f16_f32_e32 v37, v58
	v_cvt_f16_f32_e32 v49, v17
	v_lshl_add_u32 v17, v59, 1, 0
	v_cndmask_b32_e64 v2, v2, v41, s[6:7]
	v_pk_mul_f16 v4, v47, v140 op_sel_hi:[0,1]
	v_pk_mul_f16 v5, v47, v139 op_sel_hi:[0,1]
	v_cvt_f16_f32_e32 v13, v33
	v_cvt_f16_f32_e32 v33, v50
	s_waitcnt vmcnt(0) lgkmcnt(0)
	ds_write_b128 v27, v[52:55]
	s_waitcnt lgkmcnt(0)
	s_barrier
	ds_read_u16 v27, v10
	ds_read_u16 v12, v10 offset:32
	ds_read_u16 v51, v10 offset:64
	;; [unrolled: 1-line block ×10, first 2 shown]
	s_waitcnt lgkmcnt(6)
	v_perm_b32 v57, v27, v55, s8
	ds_read_u16 v27, v16 offset:240
	ds_read_u16 v55, v16 offset:272
	;; [unrolled: 1-line block ×4, first 2 shown]
	ds_read_u16 v56, v17
	ds_read_u16 v66, v17 offset:32
	ds_read_u16 v67, v17 offset:64
	;; [unrolled: 1-line block ×8, first 2 shown]
	v_cvt_f16_f32_e32 v26, v0
	v_cvt_f16_f32_e32 v50, v3
	s_waitcnt lgkmcnt(8)
	v_perm_b32 v56, v27, v56, s8
	v_cvt_f16_f32_e32 v9, v2
	v_cvt_f32_f16_e32 v2, v4
	v_cvt_f32_f16_sdwa v3, v4 dst_sel:DWORD dst_unused:UNUSED_PAD src0_sel:WORD_1
	v_cvt_f32_f16_e32 v4, v5
	v_cvt_f32_f16_sdwa v5, v5 dst_sel:DWORD dst_unused:UNUSED_PAD src0_sel:WORD_1
	v_pack_b32_f16 v26, v26, v46
	v_pack_b32_f16 v27, v49, v50
	v_cvt_f16_f32_e32 v59, v48
	ds_read_u16 v46, v10 offset:3872
	ds_read_u16 v73, v10 offset:3904
	;; [unrolled: 1-line block ×14, first 2 shown]
	v_mfma_f32_16x16x16f16 v[2:5], v[56:57], v[26:27], v[2:5]
	s_waitcnt lgkmcnt(7)
	v_perm_b32 v49, v48, v49, s8
	ds_read_u16 v48, v16 offset:4080
	ds_read_u16 v83, v16 offset:4112
	;; [unrolled: 1-line block ×7, first 2 shown]
	s_waitcnt lgkmcnt(6)
	v_perm_b32 v48, v48, v58, s8
	v_cvt_f16_f32_e32 v56, v28
	v_pack_b32_f16 v28, v29, v36
	v_pack_b32_f16 v29, v37, v59
	ds_read_u16 v36, v17 offset:7680
	ds_read_u16 v37, v16 offset:8160
	v_cvt_f16_f32_e32 v2, v2
	v_cvt_f16_f32_e32 v3, v3
	;; [unrolled: 1-line block ×4, first 2 shown]
	v_cvt_f32_f16_e32 v2, v2
	v_cvt_f32_f16_e32 v3, v3
	;; [unrolled: 1-line block ×4, first 2 shown]
	v_pack_b32_f16 v32, v13, v32
	v_pack_b32_f16 v33, v33, v56
	v_mfma_f32_16x16x16f16 v[2:5], v[48:49], v[28:29], v[2:5]
	ds_read_u16 v48, v16 offset:7920
	ds_read_u16 v89, v16 offset:7952
	;; [unrolled: 1-line block ×14, first 2 shown]
	s_waitcnt lgkmcnt(7)
	v_perm_b32 v37, v49, v37, s8
	v_perm_b32 v36, v48, v36, s8
	ds_read_u16 v101, v17 offset:7712
	ds_read_u16 v119, v17 offset:4032
	v_pk_mul_f16 v6, v47, v141 op_sel_hi:[0,1]
	v_cvt_f32_f16_e32 v56, v6
	v_cvt_f32_f16_sdwa v57, v6 dst_sel:DWORD dst_unused:UNUSED_PAD src0_sel:WORD_1
	v_cvt_f16_f32_e32 v2, v2
	v_cvt_f16_f32_e32 v3, v3
	;; [unrolled: 1-line block ×4, first 2 shown]
	v_cvt_f32_f16_e32 v2, v2
	v_cvt_f32_f16_e32 v3, v3
	;; [unrolled: 1-line block ×4, first 2 shown]
	v_perm_b32 v6, v55, v66, s8
	v_cvt_f16_f32_e32 v11, v11
	v_mfma_f32_16x16x16f16 v[2:5], v[36:37], v[32:33], v[2:5]
	ds_read_u16 v13, v16 offset:12000
	ds_read_u16 v120, v16 offset:12032
	;; [unrolled: 1-line block ×12, first 2 shown]
	s_waitcnt lgkmcnt(8)
	v_perm_b32 v49, v36, v13, s8
	ds_read_u16 v13, v16 offset:11760
	ds_read_u16 v141, v16 offset:11792
	;; [unrolled: 1-line block ×7, first 2 shown]
	s_waitcnt lgkmcnt(4)
	v_perm_b32 v48, v13, v36, s8
	v_pk_mul_f16 v13, v47, v130 op_sel_hi:[0,1]
	v_pack_b32_f16 v36, v7, v8
	v_perm_b32 v7, v12, v60, s8
	v_cvt_f32_f16_e32 v58, v13
	v_cvt_f32_f16_sdwa v59, v13 dst_sel:DWORD dst_unused:UNUSED_PAD src0_sel:WORD_1
	v_pack_b32_f16 v37, v9, v11
	ds_read_u16 v11, v17 offset:3872
	ds_read_u16 v55, v17 offset:3904
	;; [unrolled: 1-line block ×5, first 2 shown]
	v_mfma_f32_16x16x16f16 v[6:9], v[6:7], v[26:27], v[56:59]
	v_perm_b32 v13, v46, v50, s8
	s_waitcnt lgkmcnt(4)
	v_perm_b32 v12, v83, v11, s8
	ds_read_u16 v11, v16 offset:8192
	ds_read_u16 v46, v16 offset:8224
	s_nop 1
	ds_read_u16 v56, v16 offset:8256
	ds_read_u16 v57, v16 offset:8288
	;; [unrolled: 1-line block ×3, first 2 shown]
	v_cvt_f16_f32_e32 v2, v2
	v_cvt_f16_f32_e32 v3, v3
	v_cvt_f16_f32_e32 v4, v4
	v_cvt_f16_f32_e32 v5, v5
	v_cvt_f16_f32_e32 v6, v6
	v_cvt_f16_f32_e32 v7, v7
	v_cvt_f16_f32_e32 v8, v8
	v_cvt_f16_f32_e32 v9, v9
	v_cvt_f32_f16_e32 v6, v6
	v_cvt_f32_f16_e32 v7, v7
	;; [unrolled: 1-line block ×6, first 2 shown]
	v_mfma_f32_16x16x16f16 v[6:9], v[12:13], v[28:29], v[6:9]
	s_waitcnt lgkmcnt(4)
	v_perm_b32 v13, v94, v11, s8
	v_perm_b32 v12, v89, v101, s8
	v_cvt_f32_f16_e32 v4, v4
	v_cvt_f32_f16_e32 v5, v5
	v_pk_mul_f16 v11, v47, v126 op_sel_hi:[0,1]
	v_pk_mul_f16 v89, v47, v125 op_sel_hi:[0,1]
	v_cvt_f32_f16_e32 v50, v89
	s_nop 2
	v_cvt_f16_f32_e32 v6, v6
	v_cvt_f16_f32_e32 v7, v7
	;; [unrolled: 1-line block ×4, first 2 shown]
	v_cvt_f32_f16_e32 v6, v6
	v_cvt_f32_f16_e32 v7, v7
	;; [unrolled: 1-line block ×4, first 2 shown]
	v_mfma_f32_16x16x16f16 v[2:5], v[48:49], v[36:37], v[2:5]
	v_cvt_f32_f16_e32 v48, v11
	v_cvt_f32_f16_sdwa v49, v11 dst_sel:DWORD dst_unused:UNUSED_PAD src0_sel:WORD_1
	ds_read_u16 v59, v16 offset:368
	ds_read_u16 v83, v16 offset:400
	v_pk_mul_f16 v94, v47, v124 op_sel_hi:[0,1]
	v_perm_b32 v53, v52, v53, s8
	v_perm_b32 v52, v65, v68, s8
	v_add_f32_e32 v14, v14, v0
	v_mfma_f32_16x16x16f16 v[6:9], v[12:13], v[32:33], v[6:9]
	v_perm_b32 v13, v128, v120, s8
	v_perm_b32 v12, v141, v142, s8
	v_cndmask_b32_e64 v0, v0, v14, s[34:35]
	v_cmp_gt_u32_e32 vcc, 16, v106
	s_nop 6
	v_cvt_f16_f32_e32 v6, v6
	v_cvt_f16_f32_e32 v7, v7
	;; [unrolled: 1-line block ×4, first 2 shown]
	v_cvt_f32_f16_e32 v6, v6
	v_cvt_f32_f16_e32 v7, v7
	;; [unrolled: 1-line block ×4, first 2 shown]
	s_nop 1
	v_mfma_f32_16x16x16f16 v[6:9], v[12:13], v[36:37], v[6:9]
	v_perm_b32 v13, v51, v61, s8
	v_perm_b32 v12, v64, v67, s8
	v_cvt_f32_f16_sdwa v51, v89 dst_sel:DWORD dst_unused:UNUSED_PAD src0_sel:WORD_1
	ds_read_u16 v61, v16 offset:640
	ds_read_u16 v64, v10 offset:128
	;; [unrolled: 1-line block ×3, first 2 shown]
	v_mfma_f32_16x16x16f16 v[48:51], v[12:13], v[26:27], v[48:51]
	s_nop 7
	s_nop 2
	v_cvt_f16_f32_e32 v12, v49
	v_cvt_f16_f32_e32 v13, v50
	;; [unrolled: 1-line block ×4, first 2 shown]
	v_cvt_f32_f16_e32 v49, v12
	v_cvt_f32_f16_e32 v50, v13
	v_perm_b32 v13, v73, v77, s8
	v_perm_b32 v12, v84, v55, s8
	v_cvt_f32_f16_e32 v48, v11
	v_cvt_f32_f16_e32 v51, v51
	ds_read_u16 v11, v17 offset:7744
	ds_read_u16 v55, v17 offset:7776
	;; [unrolled: 1-line block ×4, first 2 shown]
	v_mfma_f32_16x16x16f16 v[48:51], v[12:13], v[28:29], v[48:51]
	s_nop 7
	s_nop 2
	v_cvt_f16_f32_e32 v12, v48
	v_cvt_f16_f32_e32 v13, v49
	;; [unrolled: 1-line block ×4, first 2 shown]
	v_cvt_f32_f16_e32 v48, v12
	v_cvt_f32_f16_e32 v49, v13
	s_waitcnt lgkmcnt(12)
	v_perm_b32 v13, v95, v46, s8
	s_waitcnt lgkmcnt(3)
	v_perm_b32 v12, v90, v11, s8
	v_cvt_f32_f16_e32 v50, v50
	v_cvt_f32_f16_e32 v51, v51
	ds_read_u16 v11, v16 offset:11824
	ds_read_u16 v46, v16 offset:11856
	;; [unrolled: 1-line block ×4, first 2 shown]
	v_mfma_f32_16x16x16f16 v[48:51], v[12:13], v[32:33], v[48:51]
	v_pk_mul_f16 v95, v47, v123 op_sel_hi:[0,1]
	ds_read_u16 v90, v10 offset:4000
	s_nop 7
	s_nop 0
	v_cvt_f16_f32_e32 v12, v48
	v_cvt_f16_f32_e32 v13, v49
	;; [unrolled: 1-line block ×4, first 2 shown]
	v_cvt_f32_f16_e32 v48, v12
	v_cvt_f32_f16_e32 v49, v13
	v_perm_b32 v13, v132, v127, s8
	s_waitcnt lgkmcnt(4)
	v_perm_b32 v12, v11, v143, s8
	v_cvt_f32_f16_e32 v50, v50
	v_cvt_f32_f16_e32 v51, v51
	s_nop 1
	v_mfma_f32_16x16x16f16 v[10:13], v[12:13], v[36:37], v[48:51]
	s_nop 6
	v_cvt_f32_f16_e32 v48, v94
	v_cvt_f32_f16_sdwa v49, v94 dst_sel:DWORD dst_unused:UNUSED_PAD src0_sel:WORD_1
	v_cvt_f32_f16_e32 v50, v95
	v_cvt_f32_f16_sdwa v51, v95 dst_sel:DWORD dst_unused:UNUSED_PAD src0_sel:WORD_1
	ds_read_u16 v65, v17 offset:11616
	ds_read_u16 v68, v17 offset:11648
	;; [unrolled: 1-line block ×3, first 2 shown]
	v_mfma_f32_16x16x16f16 v[48:51], v[52:53], v[26:27], v[48:51]
	v_perm_b32 v53, v74, v78, s8
	v_perm_b32 v52, v85, v60, s8
	ds_read_u16 v60, v16 offset:12096
	ds_read_u16 v74, v16 offset:12128
	;; [unrolled: 1-line block ×3, first 2 shown]
	s_waitcnt lgkmcnt(0)
	s_barrier
	s_nop 3
	v_cvt_f16_f32_e32 v17, v48
	v_cvt_f16_f32_e32 v49, v49
	;; [unrolled: 1-line block ×4, first 2 shown]
	v_cvt_f32_f16_e32 v48, v17
	v_cvt_f32_f16_e32 v49, v49
	;; [unrolled: 1-line block ×4, first 2 shown]
	s_barrier
	s_nop 0
	v_mfma_f32_16x16x16f16 v[48:51], v[52:53], v[28:29], v[48:51]
	v_perm_b32 v53, v96, v56, s8
	v_perm_b32 v52, v91, v55, s8
	v_pk_mul_f16 v55, v47, v121 op_sel_hi:[0,1]
	s_nop 7
	v_cvt_f16_f32_e32 v16, v48
	v_cvt_f16_f32_e32 v17, v49
	;; [unrolled: 1-line block ×4, first 2 shown]
	v_cvt_f32_f16_e32 v48, v16
	v_cvt_f32_f16_e32 v49, v17
	;; [unrolled: 1-line block ×4, first 2 shown]
	s_nop 1
	v_mfma_f32_16x16x16f16 v[48:51], v[52:53], v[32:33], v[48:51]
	v_pk_mul_f16 v52, v47, v122 op_sel_hi:[0,1]
	v_perm_b32 v53, v64, v54, s8
	s_nop 7
	s_nop 0
	v_cvt_f16_f32_e32 v16, v49
	v_cvt_f16_f32_e32 v17, v50
	v_cvt_f16_f32_e32 v14, v48
	v_cvt_f16_f32_e32 v51, v51
	v_cvt_f32_f16_e32 v49, v16
	v_cvt_f32_f16_e32 v50, v17
	v_perm_b32 v17, v133, v60, s8
	v_perm_b32 v16, v46, v65, s8
	v_cvt_f32_f16_e32 v48, v14
	v_cvt_f32_f16_e32 v51, v51
	v_add_f32_e32 v46, v0, v15
	v_cndmask_b32_e64 v0, v0, v46, s[28:29]
	v_mfma_f32_16x16x16f16 v[14:17], v[16:17], v[36:37], v[48:51]
	v_add_f32_e32 v19, v0, v19
	v_cndmask_b32_e64 v19, v0, v19, s[30:31]
	s_nop 4
	v_cvt_f32_f16_e32 v48, v52
	v_cvt_f32_f16_sdwa v49, v52 dst_sel:DWORD dst_unused:UNUSED_PAD src0_sel:WORD_1
	v_perm_b32 v52, v59, v69, s8
	v_cvt_f32_f16_e32 v50, v55
	v_cvt_f32_f16_sdwa v51, v55 dst_sel:DWORD dst_unused:UNUSED_PAD src0_sel:WORD_1
	s_nop 1
	v_mfma_f32_16x16x16f16 v[48:51], v[52:53], v[26:27], v[48:51]
	v_perm_b32 v53, v75, v79, s8
	v_perm_b32 v52, v86, v66, s8
	s_nop 7
	s_nop 0
	v_cvt_f16_f32_e32 v0, v48
	v_cvt_f16_f32_e32 v46, v49
	;; [unrolled: 1-line block ×4, first 2 shown]
	v_cvt_f32_f16_e32 v48, v0
	v_cvt_f32_f16_e32 v49, v46
	;; [unrolled: 1-line block ×4, first 2 shown]
	v_add_f32_e32 v0, v18, v19
	v_cndmask_b32_e64 v0, v19, v0, s[26:27]
	v_mfma_f32_16x16x16f16 v[48:51], v[52:53], v[28:29], v[48:51]
	v_add_f32_e32 v20, v20, v0
	v_cndmask_b32_e64 v0, v0, v20, s[24:25]
	v_perm_b32 v53, v67, v61, s8
	v_perm_b32 v52, v83, v70, s8
	s_nop 6
	v_cvt_f16_f32_e32 v18, v48
	v_cvt_f16_f32_e32 v19, v49
	;; [unrolled: 1-line block ×4, first 2 shown]
	v_cvt_f32_f16_e32 v48, v18
	v_cvt_f32_f16_e32 v49, v19
	v_perm_b32 v19, v97, v57, s8
	v_perm_b32 v18, v92, v73, s8
	v_cvt_f32_f16_e32 v50, v46
	v_cvt_f32_f16_e32 v51, v51
	v_add_f32_e32 v46, v21, v0
	v_cndmask_b32_e64 v0, v0, v46, s[22:23]
	v_mfma_f32_16x16x16f16 v[18:21], v[18:19], v[32:33], v[48:51]
	v_pk_mul_f16 v46, v47, v137 op_sel_hi:[0,1]
	v_add_f32_e32 v23, v23, v0
	v_cndmask_b32_e64 v23, v0, v23, s[20:21]
	s_nop 3
	v_perm_b32 v49, v134, v74, s8
	s_nop 2
	v_cvt_f16_f32_e32 v18, v18
	v_cvt_f16_f32_e32 v19, v19
	v_cvt_f16_f32_e32 v20, v20
	v_cvt_f16_f32_e32 v21, v21
	v_perm_b32 v48, v84, v68, s8
	v_cvt_f32_f16_e32 v18, v18
	v_cvt_f32_f16_e32 v19, v19
	;; [unrolled: 1-line block ×4, first 2 shown]
	v_pk_mul_f16 v51, v47, v136 op_sel_hi:[0,1]
	v_cvt_f32_f16_e32 v50, v51
	v_mfma_f32_16x16x16f16 v[18:21], v[48:49], v[36:37], v[18:21]
	v_cvt_f32_f16_e32 v48, v46
	v_cvt_f32_f16_sdwa v49, v46 dst_sel:DWORD dst_unused:UNUSED_PAD src0_sel:WORD_1
	v_cvt_f32_f16_sdwa v51, v51 dst_sel:DWORD dst_unused:UNUSED_PAD src0_sel:WORD_1
	s_nop 1
	v_mfma_f32_16x16x16f16 v[48:51], v[52:53], v[26:27], v[48:51]
	v_perm_b32 v53, v90, v80, s8
	v_perm_b32 v52, v87, v130, s8
	s_nop 7
	s_nop 0
	v_cvt_f16_f32_e32 v0, v48
	v_cvt_f16_f32_e32 v46, v49
	;; [unrolled: 1-line block ×4, first 2 shown]
	v_cvt_f32_f16_e32 v48, v0
	v_cvt_f32_f16_e32 v49, v46
	;; [unrolled: 1-line block ×4, first 2 shown]
	v_add_f32_e32 v0, v22, v23
	v_cndmask_b32_e64 v0, v23, v0, s[18:19]
	v_mfma_f32_16x16x16f16 v[48:51], v[52:53], v[28:29], v[48:51]
	v_add_f32_e32 v24, v24, v0
	v_cndmask_b32_e64 v0, v0, v24, s[14:15]
	v_add_f32_e32 v24, v25, v0
	v_cndmask_b32_e64 v0, v0, v24, s[16:17]
	v_pk_mul_f16 v52, v47, v129 op_sel_hi:[0,1]
	v_add_f32_e32 v40, v40, v0
	v_cndmask_b32_e64 v40, v0, v40, s[12:13]
	s_nop 3
	v_cvt_f16_f32_e32 v22, v48
	v_cvt_f16_f32_e32 v23, v49
	;; [unrolled: 1-line block ×4, first 2 shown]
	v_cvt_f32_f16_e32 v48, v22
	v_cvt_f32_f16_e32 v49, v23
	v_perm_b32 v23, v98, v58, s8
	v_perm_b32 v22, v93, v77, s8
	v_cvt_f32_f16_e32 v50, v46
	v_cvt_f32_f16_e32 v51, v51
	v_add_f32_e32 v0, v38, v40
	v_cndmask_b32_e64 v0, v40, v0, s[46:47]
	v_mfma_f32_16x16x16f16 v[22:25], v[22:23], v[32:33], v[48:51]
	s_nop 6
	v_perm_b32 v49, v135, v78, s8
	s_nop 2
	v_cvt_f16_f32_e32 v22, v22
	v_cvt_f16_f32_e32 v23, v23
	;; [unrolled: 1-line block ×4, first 2 shown]
	v_perm_b32 v48, v89, v94, s8
	v_cvt_f32_f16_e32 v22, v22
	v_cvt_f32_f16_e32 v23, v23
	;; [unrolled: 1-line block ×4, first 2 shown]
	v_pk_mul_f16 v50, v47, v131 op_sel_hi:[0,1]
	v_cvt_f32_f16_e32 v46, v50
	v_cvt_f32_f16_sdwa v47, v50 dst_sel:DWORD dst_unused:UNUSED_PAD src0_sel:WORD_1
	v_perm_b32 v51, v76, v88, s8
	v_perm_b32 v50, v62, v71, s8
	v_mfma_f32_16x16x16f16 v[22:25], v[48:49], v[36:37], v[22:25]
	v_cvt_f32_f16_e32 v48, v52
	v_cvt_f32_f16_sdwa v49, v52 dst_sel:DWORD dst_unused:UNUSED_PAD src0_sel:WORD_1
	s_nop 1
	v_mfma_f32_16x16x16f16 v[46:49], v[50:51], v[26:27], v[46:49]
	s_nop 7
	s_nop 2
	v_cvt_f16_f32_e32 v26, v46
	v_cvt_f16_f32_e32 v27, v47
	;; [unrolled: 1-line block ×4, first 2 shown]
	v_cvt_f32_f16_e32 v46, v26
	v_cvt_f32_f16_e32 v47, v27
	v_perm_b32 v27, v99, v81, s8
	v_perm_b32 v26, v82, v119, s8
	v_cvt_f32_f16_e32 v48, v38
	v_cvt_f32_f16_e32 v49, v49
	v_add_f32_e32 v38, v43, v0
	v_cndmask_b32_e64 v0, v0, v38, s[10:11]
	v_mfma_f32_16x16x16f16 v[26:29], v[26:27], v[28:29], v[46:49]
	v_add_f32_e32 v38, v41, v0
	v_cndmask_b32_e64 v0, v0, v38, s[6:7]
	v_add_f32_e32 v38, v44, v0
	v_cndmask_b32_e64 v0, v0, v38, s[4:5]
	s_nop 2
	v_perm_b32 v47, v139, v145, s8
	v_perm_b32 v46, v100, v144, s8
	v_fmac_f32_e32 v0, v151, v39
	s_nop 0
	v_cvt_f16_f32_e32 v26, v26
	v_cvt_f16_f32_e32 v27, v27
	;; [unrolled: 1-line block ×4, first 2 shown]
	v_cvt_f32_f16_e32 v26, v26
	v_cvt_f32_f16_e32 v27, v27
	;; [unrolled: 1-line block ×4, first 2 shown]
	ds_bpermute_b32 v1, v1, v0
	s_waitcnt lgkmcnt(0)
	v_add_f32_e32 v0, v0, v1
	v_mfma_f32_16x16x16f16 v[26:29], v[46:47], v[32:33], v[26:29]
	v_perm_b32 v33, v138, v63, s8
	v_perm_b32 v32, v140, v72, s8
	ds_bpermute_b32 v1, v31, v0
	s_nop 7
	v_cvt_f16_f32_e32 v26, v26
	v_cvt_f16_f32_e32 v27, v27
	;; [unrolled: 1-line block ×4, first 2 shown]
	v_cvt_f32_f16_e32 v26, v26
	v_cvt_f32_f16_e32 v27, v27
	;; [unrolled: 1-line block ×4, first 2 shown]
	s_nop 1
	v_mfma_f32_16x16x16f16 v[26:29], v[32:33], v[36:37], v[26:29]
	s_and_saveexec_b64 s[4:5], vcc
	s_cbranch_execz .LBB19_497
; %bb.496:
	buffer_load_dword v31, off, s[0:3], 0 offset:124 ; 4-byte Folded Reload
	s_add_i32 s6, s56, s55
	v_readlane_b32 s12, v253, 34
	s_lshl_b32 s8, s6, 6
	v_readlane_b32 s18, v253, 40
	v_readlane_b32 s19, v253, 41
	;; [unrolled: 1-line block ×4, first 2 shown]
	s_lshl_b64 s[6:7], s[8:9], 3
	s_mov_b64 s[18:19], s[26:27]
	s_add_u32 s6, s18, s6
	s_addc_u32 s7, s19, s7
	v_readlane_b32 s13, v253, 35
	v_readlane_b32 s14, v253, 36
	;; [unrolled: 1-line block ×11, first 2 shown]
	s_waitcnt vmcnt(0)
	v_or_b32_e32 v31, v31, v106
	v_lshlrev_b32_e32 v32, 3, v31
	s_waitcnt lgkmcnt(0)
	v_add_f32_e32 v31, v0, v1
	global_store_dwordx2 v32, v[30:31], s[6:7]
.LBB19_497:
	s_or_b64 exec, exec, s[4:5]
	v_cvt_f16_f32_e32 v0, v2
	s_waitcnt lgkmcnt(0)
	v_cvt_f16_f32_e32 v1, v4
	v_cvt_f16_f32_e32 v2, v5
	;; [unrolled: 1-line block ×3, first 2 shown]
	v_readlane_b32 s10, v253, 12
	v_readlane_b32 s11, v253, 13
	s_load_dword s6, s[10:11], 0x0
	s_load_dword s4, s[10:11], 0x10
	v_pack_b32_f16 v1, v1, v2
	v_pack_b32_f16 v0, v0, v3
	v_cvt_f16_f32_e32 v2, v6
	v_cvt_f16_f32_e32 v3, v7
	;; [unrolled: 1-line block ×8, first 2 shown]
	s_waitcnt lgkmcnt(0)
	s_lshr_b32 s4, s4, 16
	v_pack_b32_f16 v4, v4, v5
	v_pack_b32_f16 v2, v2, v3
	;; [unrolled: 1-line block ×4, first 2 shown]
	v_cvt_f16_f32_e32 v6, v14
	v_cvt_f16_f32_e32 v7, v15
	;; [unrolled: 1-line block ×8, first 2 shown]
	s_cmp_lg_u32 s4, 0
	s_cselect_b64 s[4:5], -1, 0
	s_cmp_lg_u64 s[4:5], 0
	s_addc_u32 s4, s6, 0
	v_readlane_b32 s12, v253, 34
	v_pack_b32_f16 v8, v8, v9
	v_pack_b32_f16 v6, v6, v7
	;; [unrolled: 1-line block ×4, first 2 shown]
	v_cvt_f16_f32_e32 v10, v22
	v_cvt_f16_f32_e32 v11, v23
	;; [unrolled: 1-line block ×8, first 2 shown]
	s_lshl_b32 s8, s4, 7
	v_readlane_b32 s18, v253, 40
	v_readlane_b32 s19, v253, 41
	;; [unrolled: 1-line block ×4, first 2 shown]
	s_lshl_b64 s[4:5], s[8:9], 3
	s_mov_b64 s[18:19], s[26:27]
	s_add_u32 s6, s18, s4
	s_mul_i32 s8, s55, 0xe00
	s_addc_u32 s7, s19, s5
	s_lshl_b64 s[4:5], s[8:9], 3
	v_pack_b32_f16 v12, v12, v13
	v_pack_b32_f16 v10, v10, v11
	;; [unrolled: 1-line block ×4, first 2 shown]
	s_add_u32 s4, s6, s4
	ds_write2_b32 v118, v0, v1 offset1:1
	ds_write2_b32 v118, v2, v4 offset0:8 offset1:9
	ds_write2_b32 v118, v5, v3 offset0:16 offset1:17
	;; [unrolled: 1-line block ×6, first 2 shown]
	v_and_b32_e32 v4, 15, v103
	s_movk_i32 s6, 0x1ff0
	v_and_or_b32 v5, v105, s6, v4
	v_and_or_b32 v7, v108, s6, v4
	;; [unrolled: 1-line block ×3, first 2 shown]
	v_and_b32_e32 v9, 15, v110
	s_movk_i32 s6, 0x3ff0
	v_and_or_b32 v11, v113, s6, v9
	v_and_or_b32 v12, v116, s6, v9
	v_mad_u32_u24 v5, v5, 60, v34
	v_mad_u32_u24 v4, v4, 60, v34
	;; [unrolled: 1-line block ×4, first 2 shown]
	v_and_or_b32 v9, v117, s6, v9
	v_lshl_add_u32 v6, v35, 2, 0
	v_lshl_add_u32 v5, v5, 2, 0
	v_mad_u32_u24 v7, v7, 60, v34
	v_lshl_add_u32 v4, v4, 2, 0
	v_lshl_add_u32 v11, v11, 2, 0
	;; [unrolled: 1-line block ×3, first 2 shown]
	v_mad_u32_u24 v9, v9, 60, v109
	s_waitcnt lgkmcnt(0)
	s_barrier
	v_lshlrev_b32_e32 v0, 2, v103
	v_lshl_add_u32 v7, v7, 2, 0
	v_lshl_add_u32 v8, v112, 2, 0
	;; [unrolled: 1-line block ×3, first 2 shown]
	ds_read_b32 v13, v6
	ds_read_b32 v14, v5
	;; [unrolled: 1-line block ×4, first 2 shown]
	ds_read_b32 v17, v8 offset:128
	ds_read_b32 v11, v11 offset:128
	;; [unrolled: 1-line block ×4, first 2 shown]
	s_waitcnt lgkmcnt(7)
	v_cvt_f32_f16_e32 v4, v13
	v_cvt_f32_f16_sdwa v5, v13 dst_sel:DWORD dst_unused:UNUSED_PAD src0_sel:WORD_1
	v_sub_u32_e32 v0, v35, v0
	v_mov_b32_e32 v1, 0
	s_addc_u32 s5, s7, s5
	v_lshlrev_b64 v[2:3], 3, v[0:1]
	v_mov_b32_e32 v0, s5
	v_add_co_u32_e32 v2, vcc, s4, v2
	v_addc_co_u32_e32 v3, vcc, v0, v3, vcc
	v_pk_add_f32 v[4:5], v[4:5], 0 op_sel_hi:[1,0]
	v_add_u32_e32 v19, 0x80, v6
	global_store_dwordx2 v[2:3], v[4:5], off
	ds_read2st64_b32 v[2:3], v19 offset0:7 offset1:22
	v_add_u32_e32 v13, 0x1e0, v35
	v_lshlrev_b32_e32 v0, 2, v45
	v_sub_u32_e32 v0, v13, v0
	s_waitcnt lgkmcnt(7)
	v_cvt_f32_f16_e32 v8, v14
	s_waitcnt lgkmcnt(0)
	v_cvt_f32_f16_e32 v6, v2
	v_cvt_f32_f16_sdwa v7, v2 dst_sel:DWORD dst_unused:UNUSED_PAD src0_sel:WORD_1
	v_cvt_f32_f16_sdwa v9, v14 dst_sel:DWORD dst_unused:UNUSED_PAD src0_sel:WORD_1
	v_lshlrev_b64 v[4:5], 3, v[0:1]
	v_mul_u32_u24_e32 v10, 56, v103
	v_mov_b32_e32 v0, s5
	v_add_co_u32_e32 v4, vcc, s4, v4
	v_addc_co_u32_e32 v5, vcc, v0, v5, vcc
	v_pk_add_f32 v[6:7], v[6:7], 0 op_sel_hi:[1,0]
	v_add_lshl_u32 v10, v10, v34, 3
	global_store_dwordx2 v[4:5], v[6:7], off
	v_add_u32_e32 v0, 0x1c00, v10
	v_pk_add_f32 v[4:5], v[8:9], 0 op_sel_hi:[1,0]
	global_store_dwordx2 v0, v[4:5], s[4:5]
	v_lshlrev_b32_e32 v0, 2, v102
	v_sub_u32_e32 v0, v13, v0
	v_cvt_f32_f16_e32 v2, v3
	v_cvt_f32_f16_sdwa v3, v3 dst_sel:DWORD dst_unused:UNUSED_PAD src0_sel:WORD_1
	v_add_u32_e32 v0, 0x3c0, v0
	v_cvt_f32_f16_e32 v6, v15
	v_cvt_f32_f16_sdwa v7, v15 dst_sel:DWORD dst_unused:UNUSED_PAD src0_sel:WORD_1
	v_lshlrev_b64 v[4:5], 3, v[0:1]
	v_mov_b32_e32 v0, s5
	v_add_co_u32_e32 v4, vcc, s4, v4
	v_addc_co_u32_e32 v5, vcc, v0, v5, vcc
	v_pk_add_f32 v[2:3], v[2:3], 0 op_sel_hi:[1,0]
	global_store_dwordx2 v[4:5], v[2:3], off
	v_add_u32_e32 v0, 0x3800, v10
	v_pk_add_f32 v[2:3], v[6:7], 0 op_sel_hi:[1,0]
	global_store_dwordx2 v0, v[2:3], s[4:5]
	ds_read2st64_b32 v[2:3], v19 offset0:37 offset1:52
	v_add_u32_e32 v13, 0x960, v35
	v_lshlrev_b32_e32 v0, 2, v104
	v_sub_u32_e32 v0, v13, v0
	v_cvt_f32_f16_e32 v8, v16
	s_waitcnt lgkmcnt(0)
	v_cvt_f32_f16_e32 v6, v2
	v_cvt_f32_f16_sdwa v7, v2 dst_sel:DWORD dst_unused:UNUSED_PAD src0_sel:WORD_1
	v_cvt_f32_f16_sdwa v9, v16 dst_sel:DWORD dst_unused:UNUSED_PAD src0_sel:WORD_1
	v_lshlrev_b64 v[4:5], 3, v[0:1]
	v_mov_b32_e32 v0, s5
	v_add_co_u32_e32 v4, vcc, s4, v4
	v_addc_co_u32_e32 v5, vcc, v0, v5, vcc
	v_pk_add_f32 v[6:7], v[6:7], 0 op_sel_hi:[1,0]
	global_store_dwordx2 v[4:5], v[6:7], off
	v_add_u32_e32 v0, 0x5400, v10
	v_pk_add_f32 v[4:5], v[8:9], 0 op_sel_hi:[1,0]
	global_store_dwordx2 v0, v[4:5], s[4:5]
	v_lshlrev_b32_e32 v0, 2, v107
	v_sub_u32_e32 v0, v13, v0
	v_add_u32_e32 v0, 0x3c0, v0
	v_lshlrev_b64 v[0:1], 3, v[0:1]
	v_cvt_f32_f16_e32 v2, v3
	v_cvt_f32_f16_sdwa v3, v3 dst_sel:DWORD dst_unused:UNUSED_PAD src0_sel:WORD_1
	v_mov_b32_e32 v4, s5
	v_add_co_u32_e32 v0, vcc, s4, v0
	v_addc_co_u32_e32 v1, vcc, v4, v1, vcc
	v_cvt_f32_f16_e32 v4, v17
	v_cvt_f32_f16_sdwa v5, v17 dst_sel:DWORD dst_unused:UNUSED_PAD src0_sel:WORD_1
	v_pk_add_f32 v[2:3], v[2:3], 0 op_sel_hi:[1,0]
	global_store_dwordx2 v[0:1], v[2:3], off
	v_mul_u32_u24_e32 v0, 56, v110
	v_add_lshl_u32 v6, v0, v109, 3
	v_pk_add_f32 v[0:1], v[4:5], 0 op_sel_hi:[1,0]
	global_store_dwordx2 v6, v[0:1], s[4:5] offset:256
	v_cvt_f32_f16_e32 v0, v11
	v_cvt_f32_f16_sdwa v1, v11 dst_sel:DWORD dst_unused:UNUSED_PAD src0_sel:WORD_1
	v_cvt_f32_f16_e32 v2, v12
	v_cvt_f32_f16_sdwa v3, v12 dst_sel:DWORD dst_unused:UNUSED_PAD src0_sel:WORD_1
	v_add_u32_e32 v4, 0x1c00, v6
	v_pk_add_f32 v[0:1], v[0:1], 0 op_sel_hi:[1,0]
	global_store_dwordx2 v4, v[0:1], s[4:5] offset:256
	v_add_u32_e32 v4, 0x3800, v6
	v_pk_add_f32 v[0:1], v[2:3], 0 op_sel_hi:[1,0]
	v_lshl_add_u32 v2, v114, 2, v42
	global_store_dwordx2 v4, v[0:1], s[4:5] offset:256
	v_cvt_f32_f16_e32 v0, v18
	v_cvt_f32_f16_sdwa v1, v18 dst_sel:DWORD dst_unused:UNUSED_PAD src0_sel:WORD_1
	v_add_u32_e32 v2, 0xc0, v2
	ds_read2st64_b32 v[2:3], v2 offset1:30
	v_add_u32_e32 v4, 0x5400, v6
	v_pk_add_f32 v[0:1], v[0:1], 0 op_sel_hi:[1,0]
	global_store_dwordx2 v4, v[0:1], s[4:5] offset:256
	v_mul_u32_u24_e32 v0, 56, v115
	v_or_b32_e32 v4, v0, v114
	s_waitcnt lgkmcnt(0)
	v_cvt_f32_f16_e32 v0, v2
	v_cvt_f32_f16_sdwa v1, v2 dst_sel:DWORD dst_unused:UNUSED_PAD src0_sel:WORD_1
	v_cvt_f32_f16_e32 v2, v3
	v_cvt_f32_f16_sdwa v3, v3 dst_sel:DWORD dst_unused:UNUSED_PAD src0_sel:WORD_1
	v_lshlrev_b32_e32 v4, 3, v4
	v_pk_add_f32 v[0:1], v[0:1], 0 op_sel_hi:[1,0]
	global_store_dwordx2 v4, v[0:1], s[4:5] offset:384
	v_add_u32_e32 v4, 0x3800, v4
	v_pk_add_f32 v[0:1], v[2:3], 0 op_sel_hi:[1,0]
	v_readlane_b32 s13, v253, 35
	v_readlane_b32 s14, v253, 36
	;; [unrolled: 1-line block ×11, first 2 shown]
	global_store_dwordx2 v4, v[0:1], s[4:5] offset:384
	s_endpgm
.LBB19_498:
                                        ; implicit-def: $vgpr14_vgpr15_vgpr16_vgpr17
                                        ; implicit-def: $vgpr10_vgpr11_vgpr12_vgpr13
                                        ; implicit-def: $vgpr6_vgpr7_vgpr8_vgpr9
                                        ; implicit-def: $vgpr2_vgpr3_vgpr4_vgpr5
                                        ; implicit-def: $vgpr52
                                        ; implicit-def: $vgpr60
                                        ; implicit-def: $vgpr54
                                        ; implicit-def: $vgpr61
                                        ; implicit-def: $vgpr58
                                        ; implicit-def: $vgpr59
	s_branch .LBB19_492
	.section	.rodata,"a",@progbits
	.p2align	6, 0x0
	.amdhsa_kernel _ZL18flash_attn_ext_f16ILi112ELi112ELi64ELi1ELb0ELb0EEvPKcS1_S1_S1_S1_PKiPfP15HIP_vector_typeIfLj2EEffffjfiS5_IjLj3EEiiiiiiiiiiiliiliiiiil
		.amdhsa_group_segment_fixed_size 0
		.amdhsa_private_segment_fixed_size 176
		.amdhsa_kernarg_size 464
		.amdhsa_user_sgpr_count 8
		.amdhsa_user_sgpr_private_segment_buffer 1
		.amdhsa_user_sgpr_dispatch_ptr 0
		.amdhsa_user_sgpr_queue_ptr 0
		.amdhsa_user_sgpr_kernarg_segment_ptr 1
		.amdhsa_user_sgpr_dispatch_id 0
		.amdhsa_user_sgpr_flat_scratch_init 1
		.amdhsa_user_sgpr_kernarg_preload_length 0
		.amdhsa_user_sgpr_kernarg_preload_offset 0
		.amdhsa_user_sgpr_private_segment_size 0
		.amdhsa_uses_dynamic_stack 0
		.amdhsa_system_sgpr_private_segment_wavefront_offset 1
		.amdhsa_system_sgpr_workgroup_id_x 1
		.amdhsa_system_sgpr_workgroup_id_y 0
		.amdhsa_system_sgpr_workgroup_id_z 0
		.amdhsa_system_sgpr_workgroup_info 0
		.amdhsa_system_vgpr_workitem_id 1
		.amdhsa_next_free_vgpr 256
		.amdhsa_next_free_sgpr 100
		.amdhsa_accum_offset 256
		.amdhsa_reserve_vcc 1
		.amdhsa_reserve_flat_scratch 1
		.amdhsa_float_round_mode_32 0
		.amdhsa_float_round_mode_16_64 0
		.amdhsa_float_denorm_mode_32 3
		.amdhsa_float_denorm_mode_16_64 3
		.amdhsa_dx10_clamp 1
		.amdhsa_ieee_mode 1
		.amdhsa_fp16_overflow 0
		.amdhsa_tg_split 0
		.amdhsa_exception_fp_ieee_invalid_op 0
		.amdhsa_exception_fp_denorm_src 0
		.amdhsa_exception_fp_ieee_div_zero 0
		.amdhsa_exception_fp_ieee_overflow 0
		.amdhsa_exception_fp_ieee_underflow 0
		.amdhsa_exception_fp_ieee_inexact 0
		.amdhsa_exception_int_div_zero 0
	.end_amdhsa_kernel
	.section	.text._ZL18flash_attn_ext_f16ILi112ELi112ELi64ELi1ELb0ELb0EEvPKcS1_S1_S1_S1_PKiPfP15HIP_vector_typeIfLj2EEffffjfiS5_IjLj3EEiiiiiiiiiiiliiliiiiil,"axG",@progbits,_ZL18flash_attn_ext_f16ILi112ELi112ELi64ELi1ELb0ELb0EEvPKcS1_S1_S1_S1_PKiPfP15HIP_vector_typeIfLj2EEffffjfiS5_IjLj3EEiiiiiiiiiiiliiliiiiil,comdat
.Lfunc_end19:
	.size	_ZL18flash_attn_ext_f16ILi112ELi112ELi64ELi1ELb0ELb0EEvPKcS1_S1_S1_S1_PKiPfP15HIP_vector_typeIfLj2EEffffjfiS5_IjLj3EEiiiiiiiiiiiliiliiiiil, .Lfunc_end19-_ZL18flash_attn_ext_f16ILi112ELi112ELi64ELi1ELb0ELb0EEvPKcS1_S1_S1_S1_PKiPfP15HIP_vector_typeIfLj2EEffffjfiS5_IjLj3EEiiiiiiiiiiiliiliiiiil
                                        ; -- End function
	.section	.AMDGPU.csdata,"",@progbits
; Kernel info:
; codeLenInByte = 83448
; NumSgprs: 106
; NumVgprs: 256
; NumAgprs: 0
; TotalNumVgprs: 256
; ScratchSize: 176
; MemoryBound: 0
; FloatMode: 240
; IeeeMode: 1
; LDSByteSize: 0 bytes/workgroup (compile time only)
; SGPRBlocks: 13
; VGPRBlocks: 31
; NumSGPRsForWavesPerEU: 106
; NumVGPRsForWavesPerEU: 256
; AccumOffset: 256
; Occupancy: 2
; WaveLimiterHint : 0
; COMPUTE_PGM_RSRC2:SCRATCH_EN: 1
; COMPUTE_PGM_RSRC2:USER_SGPR: 8
; COMPUTE_PGM_RSRC2:TRAP_HANDLER: 0
; COMPUTE_PGM_RSRC2:TGID_X_EN: 1
; COMPUTE_PGM_RSRC2:TGID_Y_EN: 0
; COMPUTE_PGM_RSRC2:TGID_Z_EN: 0
; COMPUTE_PGM_RSRC2:TIDIG_COMP_CNT: 1
; COMPUTE_PGM_RSRC3_GFX90A:ACCUM_OFFSET: 63
; COMPUTE_PGM_RSRC3_GFX90A:TG_SPLIT: 0
	.section	.text._ZL18flash_attn_ext_f16ILi112ELi112ELi64ELi1ELb1ELb0EEvPKcS1_S1_S1_S1_PKiPfP15HIP_vector_typeIfLj2EEffffjfiS5_IjLj3EEiiiiiiiiiiiliiliiiiil,"axG",@progbits,_ZL18flash_attn_ext_f16ILi112ELi112ELi64ELi1ELb1ELb0EEvPKcS1_S1_S1_S1_PKiPfP15HIP_vector_typeIfLj2EEffffjfiS5_IjLj3EEiiiiiiiiiiiliiliiiiil,comdat
	.globl	_ZL18flash_attn_ext_f16ILi112ELi112ELi64ELi1ELb1ELb0EEvPKcS1_S1_S1_S1_PKiPfP15HIP_vector_typeIfLj2EEffffjfiS5_IjLj3EEiiiiiiiiiiiliiliiiiil ; -- Begin function _ZL18flash_attn_ext_f16ILi112ELi112ELi64ELi1ELb1ELb0EEvPKcS1_S1_S1_S1_PKiPfP15HIP_vector_typeIfLj2EEffffjfiS5_IjLj3EEiiiiiiiiiiiliiliiiiil
	.p2align	8
	.type	_ZL18flash_attn_ext_f16ILi112ELi112ELi64ELi1ELb1ELb0EEvPKcS1_S1_S1_S1_PKiPfP15HIP_vector_typeIfLj2EEffffjfiS5_IjLj3EEiiiiiiiiiiiliiliiiiil,@function
_ZL18flash_attn_ext_f16ILi112ELi112ELi64ELi1ELb1ELb0EEvPKcS1_S1_S1_S1_PKiPfP15HIP_vector_typeIfLj2EEffffjfiS5_IjLj3EEiiiiiiiiiiiliiliiiiil: ; @_ZL18flash_attn_ext_f16ILi112ELi112ELi64ELi1ELb1ELb0EEvPKcS1_S1_S1_S1_PKiPfP15HIP_vector_typeIfLj2EEffffjfiS5_IjLj3EEiiiiiiiiiiiliiliiiiil
; %bb.0:
	s_add_u32 flat_scratch_lo, s6, s9
	s_addc_u32 flat_scratch_hi, s7, 0
	s_add_u32 s0, s0, s9
	s_addc_u32 s1, s1, 0
	s_add_u32 s8, s4, 0xd0
	s_addc_u32 s9, s5, 0
	s_mov_b32 s32, 0
	s_getpc_b64 s[4:5]
	s_add_u32 s4, s4, _ZL14no_device_codePKciS0_iS0_@rel32@lo+4
	s_addc_u32 s5, s5, _ZL14no_device_codePKciS0_iS0_@rel32@hi+12
	s_swappc_b64 s[30:31], s[4:5]
	.section	.rodata,"a",@progbits
	.p2align	6, 0x0
	.amdhsa_kernel _ZL18flash_attn_ext_f16ILi112ELi112ELi64ELi1ELb1ELb0EEvPKcS1_S1_S1_S1_PKiPfP15HIP_vector_typeIfLj2EEffffjfiS5_IjLj3EEiiiiiiiiiiiliiliiiiil
		.amdhsa_group_segment_fixed_size 0
		.amdhsa_private_segment_fixed_size 16
		.amdhsa_kernarg_size 464
		.amdhsa_user_sgpr_count 8
		.amdhsa_user_sgpr_private_segment_buffer 1
		.amdhsa_user_sgpr_dispatch_ptr 0
		.amdhsa_user_sgpr_queue_ptr 0
		.amdhsa_user_sgpr_kernarg_segment_ptr 1
		.amdhsa_user_sgpr_dispatch_id 0
		.amdhsa_user_sgpr_flat_scratch_init 1
		.amdhsa_user_sgpr_kernarg_preload_length 0
		.amdhsa_user_sgpr_kernarg_preload_offset 0
		.amdhsa_user_sgpr_private_segment_size 0
		.amdhsa_uses_dynamic_stack 0
		.amdhsa_system_sgpr_private_segment_wavefront_offset 1
		.amdhsa_system_sgpr_workgroup_id_x 1
		.amdhsa_system_sgpr_workgroup_id_y 0
		.amdhsa_system_sgpr_workgroup_id_z 0
		.amdhsa_system_sgpr_workgroup_info 0
		.amdhsa_system_vgpr_workitem_id 0
		.amdhsa_next_free_vgpr 39
		.amdhsa_next_free_sgpr 34
		.amdhsa_accum_offset 40
		.amdhsa_reserve_vcc 1
		.amdhsa_reserve_flat_scratch 1
		.amdhsa_float_round_mode_32 0
		.amdhsa_float_round_mode_16_64 0
		.amdhsa_float_denorm_mode_32 3
		.amdhsa_float_denorm_mode_16_64 3
		.amdhsa_dx10_clamp 1
		.amdhsa_ieee_mode 1
		.amdhsa_fp16_overflow 0
		.amdhsa_tg_split 0
		.amdhsa_exception_fp_ieee_invalid_op 0
		.amdhsa_exception_fp_denorm_src 0
		.amdhsa_exception_fp_ieee_div_zero 0
		.amdhsa_exception_fp_ieee_overflow 0
		.amdhsa_exception_fp_ieee_underflow 0
		.amdhsa_exception_fp_ieee_inexact 0
		.amdhsa_exception_int_div_zero 0
	.end_amdhsa_kernel
	.section	.text._ZL18flash_attn_ext_f16ILi112ELi112ELi64ELi1ELb1ELb0EEvPKcS1_S1_S1_S1_PKiPfP15HIP_vector_typeIfLj2EEffffjfiS5_IjLj3EEiiiiiiiiiiiliiliiiiil,"axG",@progbits,_ZL18flash_attn_ext_f16ILi112ELi112ELi64ELi1ELb1ELb0EEvPKcS1_S1_S1_S1_PKiPfP15HIP_vector_typeIfLj2EEffffjfiS5_IjLj3EEiiiiiiiiiiiliiliiiiil,comdat
.Lfunc_end20:
	.size	_ZL18flash_attn_ext_f16ILi112ELi112ELi64ELi1ELb1ELb0EEvPKcS1_S1_S1_S1_PKiPfP15HIP_vector_typeIfLj2EEffffjfiS5_IjLj3EEiiiiiiiiiiiliiliiiiil, .Lfunc_end20-_ZL18flash_attn_ext_f16ILi112ELi112ELi64ELi1ELb1ELb0EEvPKcS1_S1_S1_S1_PKiPfP15HIP_vector_typeIfLj2EEffffjfiS5_IjLj3EEiiiiiiiiiiiliiliiiiil
                                        ; -- End function
	.section	.AMDGPU.csdata,"",@progbits
; Kernel info:
; codeLenInByte = 56
; NumSgprs: 40
; NumVgprs: 39
; NumAgprs: 0
; TotalNumVgprs: 39
; ScratchSize: 16
; MemoryBound: 0
; FloatMode: 240
; IeeeMode: 1
; LDSByteSize: 0 bytes/workgroup (compile time only)
; SGPRBlocks: 4
; VGPRBlocks: 4
; NumSGPRsForWavesPerEU: 40
; NumVGPRsForWavesPerEU: 39
; AccumOffset: 40
; Occupancy: 8
; WaveLimiterHint : 1
; COMPUTE_PGM_RSRC2:SCRATCH_EN: 1
; COMPUTE_PGM_RSRC2:USER_SGPR: 8
; COMPUTE_PGM_RSRC2:TRAP_HANDLER: 0
; COMPUTE_PGM_RSRC2:TGID_X_EN: 1
; COMPUTE_PGM_RSRC2:TGID_Y_EN: 0
; COMPUTE_PGM_RSRC2:TGID_Z_EN: 0
; COMPUTE_PGM_RSRC2:TIDIG_COMP_CNT: 0
; COMPUTE_PGM_RSRC3_GFX90A:ACCUM_OFFSET: 9
; COMPUTE_PGM_RSRC3_GFX90A:TG_SPLIT: 0
	.section	.text._ZL33flash_attn_stream_k_fixup_uniformILi112ELi64ELi1EEvPfPK15HIP_vector_typeIfLj2EEiiiiiiS1_IjLj3EES5_S5_,"axG",@progbits,_ZL33flash_attn_stream_k_fixup_uniformILi112ELi64ELi1EEvPfPK15HIP_vector_typeIfLj2EEiiiiiiS1_IjLj3EES5_S5_,comdat
	.globl	_ZL33flash_attn_stream_k_fixup_uniformILi112ELi64ELi1EEvPfPK15HIP_vector_typeIfLj2EEiiiiiiS1_IjLj3EES5_S5_ ; -- Begin function _ZL33flash_attn_stream_k_fixup_uniformILi112ELi64ELi1EEvPfPK15HIP_vector_typeIfLj2EEiiiiiiS1_IjLj3EES5_S5_
	.p2align	8
	.type	_ZL33flash_attn_stream_k_fixup_uniformILi112ELi64ELi1EEvPfPK15HIP_vector_typeIfLj2EEiiiiiiS1_IjLj3EES5_S5_,@function
_ZL33flash_attn_stream_k_fixup_uniformILi112ELi64ELi1EEvPfPK15HIP_vector_typeIfLj2EEiiiiiiS1_IjLj3EES5_S5_: ; @_ZL33flash_attn_stream_k_fixup_uniformILi112ELi64ELi1EEvPfPK15HIP_vector_typeIfLj2EEiiiiiiS1_IjLj3EES5_S5_
; %bb.0:
	s_load_dwordx8 s[12:19], s[4:5], 0x1c
	s_load_dwordx2 s[10:11], s[4:5], 0x10
	s_load_dwordx4 s[0:3], s[4:5], 0x3c
	s_waitcnt lgkmcnt(0)
	s_mul_hi_u32 s9, s15, s6
	s_add_i32 s9, s6, s9
	s_lshr_b32 s9, s9, s16
	s_mul_i32 s15, s9, s17
	s_sub_i32 s16, s6, s15
	s_mul_hi_u32 s15, s16, s18
	s_add_i32 s15, s16, s15
	s_lshr_b32 s15, s15, s19
	s_mul_i32 s0, s15, s0
	s_sub_i32 s0, s16, s0
	s_mul_hi_u32 s1, s0, s1
	s_add_i32 s1, s0, s1
	s_lshr_b32 s17, s1, s2
	s_mul_i32 s1, s17, s3
	s_sub_i32 s16, s0, s1
	s_lshl_b32 s0, s16, 6
	s_add_i32 s0, s0, s7
	s_cmp_lt_i32 s0, s10
	s_cselect_b64 s[0:1], -1, 0
	s_add_i32 s17, s17, s8
	s_cmp_lt_i32 s17, s13
	s_cselect_b64 s[2:3], -1, 0
	s_and_b64 s[0:1], s[0:1], s[2:3]
	s_andn2_b64 vcc, exec, s[0:1]
	s_cbranch_vccnz .LBB21_6
; %bb.1:
	s_load_dwordx4 s[0:3], s[4:5], 0x0
	s_mul_i32 s4, s9, s10
	s_mul_i32 s15, s15, s13
	s_add_i32 s4, s4, s7
	s_mul_i32 s5, s11, s16
	s_mul_i32 s4, s4, s11
	s_add_i32 s9, s17, s15
	s_mulk_i32 s5, 0x1c00
	s_add_i32 s4, s9, s4
	s_mulk_i32 s4, 0x70
	v_or_b32_e32 v1, s5, v0
	v_add_u32_e32 v2, s4, v1
	v_ashrrev_i32_e32 v3, 31, v2
	v_lshlrev_b64 v[2:3], 2, v[2:3]
	s_waitcnt lgkmcnt(0)
	v_mov_b32_e32 v1, s1
	v_add_co_u32_e32 v2, vcc, s0, v2
	v_addc_co_u32_e32 v3, vcc, v1, v3, vcc
	global_load_dword v8, v[2:3], off
	s_add_i32 s4, s7, s8
	s_mul_i32 s7, s6, s14
	s_add_i32 s5, s7, s14
	s_lshl_b32 s0, s5, 6
	s_add_i32 s0, s4, s0
	s_sub_i32 s0, s0, 64
	s_ashr_i32 s1, s0, 31
	s_lshl_b64 s[0:1], s[0:1], 3
	s_add_u32 s0, s2, s0
	s_addc_u32 s1, s3, s1
	s_load_dword s10, s[0:1], 0x4
	s_add_i32 s8, s5, -2
	s_cmp_lt_i32 s8, s7
	s_cbranch_scc1 .LBB21_4
; %bb.2:
	s_lshl_b32 s8, s12, 8
	s_ashr_i32 s9, s8, 31
	s_lshl_b64 s[8:9], s[8:9], 2
	s_add_u32 s8, s2, s8
	s_addc_u32 s11, s3, s9
	s_load_dword s0, s[0:1], 0x0
	s_add_i32 s6, s6, 1
	s_add_i32 s9, s5, -1
	s_mul_i32 s5, s14, s6
	s_mul_i32 s1, s4, 0x70
	s_lshl_b32 s6, s5, 6
	s_mulk_i32 s5, 0x1c00
	s_add_i32 s4, s4, s6
	s_lshl_b32 s6, s12, 6
	s_add_i32 s1, s1, s5
	s_add_i32 s4, s4, s6
	v_add_u32_e32 v0, s1, v0
	s_addk_i32 s4, 0xff80
	v_add_u32_e32 v0, 0xffffc800, v0
	s_waitcnt lgkmcnt(0)
	v_mov_b32_e32 v7, s10
	v_mov_b32_e32 v6, s0
	;; [unrolled: 1-line block ×3, first 2 shown]
	s_mov_b32 s6, 0x3fb8aa3b
	s_mov_b32 s10, 0xc2ce8ed0
	;; [unrolled: 1-line block ×3, first 2 shown]
	v_mov_b32_e32 v5, 0x7f800000
	s_mov_b32 s12, 0xc1a00000
.LBB21_3:                               ; =>This Inner Loop Header: Depth=1
	v_ashrrev_i32_e32 v1, 31, v0
	v_lshlrev_b64 v[10:11], 2, v[0:1]
	v_add_co_u32_e32 v10, vcc, s8, v10
	v_addc_co_u32_e32 v11, vcc, v4, v11, vcc
	global_load_dword v1, v[10:11], off
	s_ashr_i32 s5, s4, 31
	s_lshl_b64 s[0:1], s[4:5], 3
	s_add_u32 s0, s2, s0
	s_addc_u32 s1, s3, s1
	s_load_dwordx2 s[14:15], s[0:1], 0x0
	s_waitcnt vmcnt(1)
	v_mov_b32_e32 v9, v8
	v_max_f32_e32 v8, v6, v6
	v_mov_b32_e32 v10, v7
	s_add_i32 s9, s9, -1
	s_waitcnt lgkmcnt(0)
	v_max_f32_e64 v7, s14, s14
	v_max_f32_e32 v7, v8, v7
	v_sub_f32_e32 v11, s14, v7
	v_sub_f32_e32 v8, v6, v7
	v_mul_f32_e32 v12, 0x3fb8aa3b, v11
	v_mov_b32_e32 v6, v7
	v_mul_f32_e32 v7, 0x3fb8aa3b, v8
	v_fma_f32 v15, v11, s6, -v12
	v_rndne_f32_e32 v16, v12
	v_fma_f32 v13, v8, s6, -v7
	v_rndne_f32_e32 v14, v7
	v_fmac_f32_e32 v15, 0x32a5705f, v11
	v_sub_f32_e32 v12, v12, v16
	v_fmac_f32_e32 v13, 0x32a5705f, v8
	v_sub_f32_e32 v7, v7, v14
	v_add_f32_e32 v12, v12, v15
	v_cvt_i32_f32_e32 v16, v16
	v_add_f32_e32 v7, v7, v13
	v_exp_f32_e32 v12, v12
	v_cvt_i32_f32_e32 v14, v14
	v_exp_f32_e32 v7, v7
	v_cmp_ngt_f32_e32 vcc, s10, v11
	v_ldexp_f32 v12, v12, v16
	v_cmp_ngt_f32_e64 s[0:1], s10, v8
	v_ldexp_f32 v7, v7, v14
	v_cndmask_b32_e32 v12, 0, v12, vcc
	v_cmp_nlt_f32_e32 vcc, s11, v11
	v_cndmask_b32_e64 v7, 0, v7, s[0:1]
	v_cmp_nlt_f32_e64 s[0:1], s11, v8
	v_cndmask_b32_e32 v12, v5, v12, vcc
	v_cmp_le_f32_e32 vcc, s12, v11
	v_cndmask_b32_e64 v7, v5, v7, s[0:1]
	v_cmp_le_f32_e64 s[0:1], s12, v8
	v_cndmask_b32_e32 v8, 0, v12, vcc
	s_sub_i32 s4, s4, 64
	v_cndmask_b32_e64 v11, 0, v7, s[0:1]
	v_mul_f32_e32 v7, s15, v8
	v_add_u32_e32 v0, 0xffffe400, v0
	s_cmp_le_i32 s9, s7
	v_fmac_f32_e32 v7, v10, v11
	s_waitcnt vmcnt(0)
	v_mul_f32_e32 v8, v1, v8
	v_fmac_f32_e32 v8, v9, v11
	s_cbranch_scc0 .LBB21_3
	s_branch .LBB21_5
.LBB21_4:
	s_waitcnt lgkmcnt(0)
	v_mov_b32_e32 v7, s10
.LBB21_5:
	s_waitcnt vmcnt(0)
	v_div_scale_f32 v0, s[0:1], v7, v7, v8
	v_rcp_f32_e32 v1, v0
	v_div_scale_f32 v4, vcc, v8, v7, v8
	v_fma_f32 v5, -v0, v1, 1.0
	v_fmac_f32_e32 v1, v5, v1
	v_mul_f32_e32 v5, v4, v1
	v_fma_f32 v6, -v0, v5, v4
	v_fmac_f32_e32 v5, v6, v1
	v_fma_f32 v0, -v0, v5, v4
	v_div_fmas_f32 v0, v0, v1, v5
	v_div_fixup_f32 v0, v0, v7, v8
	global_store_dword v[2:3], v0, off
.LBB21_6:
	s_endpgm
	.section	.rodata,"a",@progbits
	.p2align	6, 0x0
	.amdhsa_kernel _ZL33flash_attn_stream_k_fixup_uniformILi112ELi64ELi1EEvPfPK15HIP_vector_typeIfLj2EEiiiiiiS1_IjLj3EES5_S5_
		.amdhsa_group_segment_fixed_size 0
		.amdhsa_private_segment_fixed_size 0
		.amdhsa_kernarg_size 76
		.amdhsa_user_sgpr_count 6
		.amdhsa_user_sgpr_private_segment_buffer 1
		.amdhsa_user_sgpr_dispatch_ptr 0
		.amdhsa_user_sgpr_queue_ptr 0
		.amdhsa_user_sgpr_kernarg_segment_ptr 1
		.amdhsa_user_sgpr_dispatch_id 0
		.amdhsa_user_sgpr_flat_scratch_init 0
		.amdhsa_user_sgpr_kernarg_preload_length 0
		.amdhsa_user_sgpr_kernarg_preload_offset 0
		.amdhsa_user_sgpr_private_segment_size 0
		.amdhsa_uses_dynamic_stack 0
		.amdhsa_system_sgpr_private_segment_wavefront_offset 0
		.amdhsa_system_sgpr_workgroup_id_x 1
		.amdhsa_system_sgpr_workgroup_id_y 1
		.amdhsa_system_sgpr_workgroup_id_z 1
		.amdhsa_system_sgpr_workgroup_info 0
		.amdhsa_system_vgpr_workitem_id 0
		.amdhsa_next_free_vgpr 17
		.amdhsa_next_free_sgpr 20
		.amdhsa_accum_offset 20
		.amdhsa_reserve_vcc 1
		.amdhsa_reserve_flat_scratch 0
		.amdhsa_float_round_mode_32 0
		.amdhsa_float_round_mode_16_64 0
		.amdhsa_float_denorm_mode_32 3
		.amdhsa_float_denorm_mode_16_64 3
		.amdhsa_dx10_clamp 1
		.amdhsa_ieee_mode 1
		.amdhsa_fp16_overflow 0
		.amdhsa_tg_split 0
		.amdhsa_exception_fp_ieee_invalid_op 0
		.amdhsa_exception_fp_denorm_src 0
		.amdhsa_exception_fp_ieee_div_zero 0
		.amdhsa_exception_fp_ieee_overflow 0
		.amdhsa_exception_fp_ieee_underflow 0
		.amdhsa_exception_fp_ieee_inexact 0
		.amdhsa_exception_int_div_zero 0
	.end_amdhsa_kernel
	.section	.text._ZL33flash_attn_stream_k_fixup_uniformILi112ELi64ELi1EEvPfPK15HIP_vector_typeIfLj2EEiiiiiiS1_IjLj3EES5_S5_,"axG",@progbits,_ZL33flash_attn_stream_k_fixup_uniformILi112ELi64ELi1EEvPfPK15HIP_vector_typeIfLj2EEiiiiiiS1_IjLj3EES5_S5_,comdat
.Lfunc_end21:
	.size	_ZL33flash_attn_stream_k_fixup_uniformILi112ELi64ELi1EEvPfPK15HIP_vector_typeIfLj2EEiiiiiiS1_IjLj3EES5_S5_, .Lfunc_end21-_ZL33flash_attn_stream_k_fixup_uniformILi112ELi64ELi1EEvPfPK15HIP_vector_typeIfLj2EEiiiiiiS1_IjLj3EES5_S5_
                                        ; -- End function
	.section	.AMDGPU.csdata,"",@progbits
; Kernel info:
; codeLenInByte = 836
; NumSgprs: 24
; NumVgprs: 17
; NumAgprs: 0
; TotalNumVgprs: 17
; ScratchSize: 0
; MemoryBound: 0
; FloatMode: 240
; IeeeMode: 1
; LDSByteSize: 0 bytes/workgroup (compile time only)
; SGPRBlocks: 2
; VGPRBlocks: 2
; NumSGPRsForWavesPerEU: 24
; NumVGPRsForWavesPerEU: 17
; AccumOffset: 20
; Occupancy: 8
; WaveLimiterHint : 0
; COMPUTE_PGM_RSRC2:SCRATCH_EN: 0
; COMPUTE_PGM_RSRC2:USER_SGPR: 6
; COMPUTE_PGM_RSRC2:TRAP_HANDLER: 0
; COMPUTE_PGM_RSRC2:TGID_X_EN: 1
; COMPUTE_PGM_RSRC2:TGID_Y_EN: 1
; COMPUTE_PGM_RSRC2:TGID_Z_EN: 1
; COMPUTE_PGM_RSRC2:TIDIG_COMP_CNT: 0
; COMPUTE_PGM_RSRC3_GFX90A:ACCUM_OFFSET: 4
; COMPUTE_PGM_RSRC3_GFX90A:TG_SPLIT: 0
	.section	.text._ZL33flash_attn_stream_k_fixup_generalILi112ELi64ELi1EEvPfPK15HIP_vector_typeIfLj2EEiiiiS1_IjLj3EES5_S5_S5_,"axG",@progbits,_ZL33flash_attn_stream_k_fixup_generalILi112ELi64ELi1EEvPfPK15HIP_vector_typeIfLj2EEiiiiS1_IjLj3EES5_S5_S5_,comdat
	.globl	_ZL33flash_attn_stream_k_fixup_generalILi112ELi64ELi1EEvPfPK15HIP_vector_typeIfLj2EEiiiiS1_IjLj3EES5_S5_S5_ ; -- Begin function _ZL33flash_attn_stream_k_fixup_generalILi112ELi64ELi1EEvPfPK15HIP_vector_typeIfLj2EEiiiiS1_IjLj3EES5_S5_S5_
	.p2align	8
	.type	_ZL33flash_attn_stream_k_fixup_generalILi112ELi64ELi1EEvPfPK15HIP_vector_typeIfLj2EEiiiiS1_IjLj3EES5_S5_S5_,@function
_ZL33flash_attn_stream_k_fixup_generalILi112ELi64ELi1EEvPfPK15HIP_vector_typeIfLj2EEiiiiS1_IjLj3EES5_S5_S5_: ; @_ZL33flash_attn_stream_k_fixup_generalILi112ELi64ELi1EEvPfPK15HIP_vector_typeIfLj2EEiiiiS1_IjLj3EES5_S5_S5_
; %bb.0:
	s_load_dwordx4 s[12:15], s[4:5], 0x10
	s_load_dword s9, s[4:5], 0x50
	s_mov_b32 s2, 0
	s_waitcnt lgkmcnt(0)
	s_mul_hi_i32 s3, s15, s6
	s_cmp_lg_u64 s[2:3], 0
	s_mul_i32 s2, s15, s6
	s_cbranch_scc0 .LBB22_21
; %bb.1:
	v_cvt_f32_u32_e32 v1, s9
	v_cvt_f32_ubyte0_e32 v2, 0
	s_sub_u32 s10, 0, s9
	s_subb_u32 s11, 0, 0
	v_madmk_f32 v1, v2, 0x4f800000, v1
	v_rcp_f32_e32 v1, v1
	v_mul_f32_e32 v1, 0x5f7ffffc, v1
	v_mul_f32_e32 v2, 0x2f800000, v1
	v_trunc_f32_e32 v2, v2
	v_madmk_f32 v1, v2, 0xcf800000, v1
	v_cvt_u32_f32_e32 v2, v2
	v_cvt_u32_f32_e32 v1, v1
	v_readfirstlane_b32 s16, v2
	v_readfirstlane_b32 s17, v1
	s_mul_i32 s18, s10, s16
	s_mul_hi_u32 s20, s10, s17
	s_mul_i32 s19, s11, s17
	s_add_i32 s18, s20, s18
	s_add_i32 s18, s18, s19
	s_mul_i32 s21, s10, s17
	s_mul_hi_u32 s19, s17, s18
	s_mul_i32 s20, s17, s18
	s_mul_hi_u32 s17, s17, s21
	s_add_u32 s17, s17, s20
	s_addc_u32 s19, 0, s19
	s_mul_hi_u32 s22, s16, s21
	s_mul_i32 s21, s16, s21
	s_add_u32 s17, s17, s21
	s_mul_hi_u32 s20, s16, s18
	s_addc_u32 s17, s19, s22
	s_addc_u32 s19, s20, 0
	s_mul_i32 s18, s16, s18
	s_add_u32 s17, s17, s18
	s_addc_u32 s18, 0, s19
	v_add_co_u32_e32 v1, vcc, s17, v1
	s_cmp_lg_u64 vcc, 0
	s_addc_u32 s16, s16, s18
	v_readfirstlane_b32 s18, v1
	s_mul_i32 s17, s10, s16
	s_mul_hi_u32 s19, s10, s18
	s_add_i32 s17, s19, s17
	s_mul_i32 s11, s11, s18
	s_add_i32 s17, s17, s11
	s_mul_i32 s10, s10, s18
	s_mul_hi_u32 s19, s16, s10
	s_mul_i32 s20, s16, s10
	s_mul_i32 s22, s18, s17
	s_mul_hi_u32 s10, s18, s10
	s_mul_hi_u32 s21, s18, s17
	s_add_u32 s10, s10, s22
	s_addc_u32 s18, 0, s21
	s_add_u32 s10, s10, s20
	s_mul_hi_u32 s11, s16, s17
	s_addc_u32 s10, s18, s19
	s_addc_u32 s11, s11, 0
	s_mul_i32 s17, s16, s17
	s_add_u32 s10, s10, s17
	s_addc_u32 s11, 0, s11
	v_add_co_u32_e32 v1, vcc, s10, v1
	s_cmp_lg_u64 vcc, 0
	s_addc_u32 s18, s16, s11
	s_ashr_i32 s10, s3, 31
	s_add_u32 s16, s2, s10
	s_mov_b32 s11, s10
	s_addc_u32 s17, s3, s10
	s_xor_b64 s[16:17], s[16:17], s[10:11]
	v_readfirstlane_b32 s20, v1
	s_mul_i32 s19, s16, s18
	s_mul_hi_u32 s21, s16, s20
	s_mul_hi_u32 s3, s16, s18
	s_add_u32 s19, s21, s19
	s_addc_u32 s3, 0, s3
	s_mul_hi_u32 s22, s17, s20
	s_mul_i32 s20, s17, s20
	s_add_u32 s19, s19, s20
	s_mul_hi_u32 s21, s17, s18
	s_addc_u32 s3, s3, s22
	s_addc_u32 s19, s21, 0
	s_mul_i32 s18, s17, s18
	s_add_u32 s3, s3, s18
	s_addc_u32 s18, 0, s19
	s_add_u32 s19, s3, 1
	s_addc_u32 s20, s18, 0
	s_add_u32 s21, s3, 2
	s_mul_i32 s23, s9, s18
	s_mul_hi_u32 s24, s9, s3
	s_addc_u32 s22, s18, 0
	s_add_i32 s24, s24, s23
	s_mul_i32 s23, s9, s3
	v_mov_b32_e32 v1, s23
	v_sub_co_u32_e32 v1, vcc, s16, v1
	s_cmp_lg_u64 vcc, 0
	s_subb_u32 s16, s17, s24
	v_subrev_co_u32_e32 v2, vcc, s9, v1
	s_cmp_lg_u64 vcc, 0
	s_subb_u32 s17, s16, 0
	v_readfirstlane_b32 s23, v2
	s_cmp_ge_u32 s23, s9
	s_cselect_b32 s23, -1, 0
	s_cmp_eq_u32 s17, 0
	s_cselect_b32 s17, s23, -1
	s_cmp_lg_u32 s17, 0
	s_cselect_b32 s17, s22, s20
	v_readfirstlane_b32 s20, v1
	s_cselect_b32 s19, s21, s19
	s_cmp_ge_u32 s20, s9
	s_cselect_b32 s20, -1, 0
	s_cmp_eq_u32 s16, 0
	s_cselect_b32 s16, s20, -1
	s_cmp_lg_u32 s16, 0
	s_cselect_b32 s17, s17, s18
	s_cselect_b32 s16, s19, s3
	s_xor_b64 s[16:17], s[16:17], s[10:11]
	s_sub_u32 s20, s16, s10
	s_load_dwordx4 s[16:19], s[4:5], 0x44
	s_cbranch_execnz .LBB22_3
.LBB22_2:
	v_cvt_f32_u32_e32 v1, s9
	s_sub_i32 s0, 0, s9
	v_rcp_iflag_f32_e32 v1, v1
	v_mul_f32_e32 v1, 0x4f7ffffe, v1
	v_cvt_u32_f32_e32 v1, v1
	v_readfirstlane_b32 s1, v1
	s_mul_i32 s0, s0, s1
	s_mul_hi_u32 s0, s1, s0
	s_add_i32 s1, s1, s0
	s_mul_hi_u32 s0, s2, s1
	s_mul_i32 s3, s0, s9
	s_sub_i32 s2, s2, s3
	s_add_i32 s1, s0, 1
	s_sub_i32 s3, s2, s9
	s_cmp_ge_u32 s2, s9
	s_cselect_b32 s0, s1, s0
	s_cselect_b32 s2, s3, s2
	s_add_i32 s1, s0, 1
	s_cmp_ge_u32 s2, s9
	s_cselect_b32 s20, s1, s0
.LBB22_3:
	s_add_i32 s0, s6, 1
	s_mul_hi_i32 s3, s15, s0
	s_mov_b32 s2, 0
	s_cmp_lg_u64 s[2:3], 0
	s_mul_i32 s2, s15, s0
	s_cbranch_scc0 .LBB22_22
; %bb.4:
	v_cvt_f32_u32_e32 v1, s9
	v_cvt_f32_ubyte0_e32 v2, 0
	s_sub_u32 s10, 0, s9
	s_subb_u32 s11, 0, 0
	v_madmk_f32 v1, v2, 0x4f800000, v1
	v_rcp_f32_e32 v1, v1
	v_mul_f32_e32 v1, 0x5f7ffffc, v1
	v_mul_f32_e32 v2, 0x2f800000, v1
	v_trunc_f32_e32 v2, v2
	v_madmk_f32 v1, v2, 0xcf800000, v1
	v_cvt_u32_f32_e32 v2, v2
	v_cvt_u32_f32_e32 v1, v1
	s_waitcnt lgkmcnt(0)
	v_readfirstlane_b32 s19, v2
	v_readfirstlane_b32 s21, v1
	s_mul_i32 s22, s10, s19
	s_mul_hi_u32 s24, s10, s21
	s_mul_i32 s23, s11, s21
	s_add_i32 s22, s24, s22
	s_add_i32 s22, s22, s23
	s_mul_i32 s25, s10, s21
	s_mul_hi_u32 s23, s21, s22
	s_mul_i32 s24, s21, s22
	s_mul_hi_u32 s21, s21, s25
	s_add_u32 s21, s21, s24
	s_addc_u32 s23, 0, s23
	s_mul_hi_u32 s26, s19, s25
	s_mul_i32 s25, s19, s25
	s_add_u32 s21, s21, s25
	s_mul_hi_u32 s24, s19, s22
	s_addc_u32 s21, s23, s26
	s_addc_u32 s23, s24, 0
	s_mul_i32 s22, s19, s22
	s_add_u32 s21, s21, s22
	s_addc_u32 s22, 0, s23
	v_add_co_u32_e32 v1, vcc, s21, v1
	s_cmp_lg_u64 vcc, 0
	s_addc_u32 s19, s19, s22
	v_readfirstlane_b32 s22, v1
	s_mul_i32 s21, s10, s19
	s_mul_hi_u32 s23, s10, s22
	s_add_i32 s21, s23, s21
	s_mul_i32 s11, s11, s22
	s_add_i32 s21, s21, s11
	s_mul_i32 s10, s10, s22
	s_mul_hi_u32 s23, s19, s10
	s_mul_i32 s24, s19, s10
	s_mul_i32 s26, s22, s21
	s_mul_hi_u32 s10, s22, s10
	s_mul_hi_u32 s25, s22, s21
	s_add_u32 s10, s10, s26
	s_addc_u32 s22, 0, s25
	s_add_u32 s10, s10, s24
	s_mul_hi_u32 s11, s19, s21
	s_addc_u32 s10, s22, s23
	s_addc_u32 s11, s11, 0
	s_mul_i32 s21, s19, s21
	s_add_u32 s10, s10, s21
	s_addc_u32 s11, 0, s11
	v_add_co_u32_e32 v1, vcc, s10, v1
	s_cmp_lg_u64 vcc, 0
	s_addc_u32 s19, s19, s11
	s_ashr_i32 s10, s3, 31
	s_add_u32 s22, s2, s10
	s_mov_b32 s11, s10
	s_addc_u32 s23, s3, s10
	s_xor_b64 s[22:23], s[22:23], s[10:11]
	v_readfirstlane_b32 s21, v1
	s_mul_i32 s11, s22, s19
	s_mul_hi_u32 s24, s22, s21
	s_mul_hi_u32 s3, s22, s19
	s_add_u32 s11, s24, s11
	s_addc_u32 s3, 0, s3
	s_mul_hi_u32 s25, s23, s21
	s_mul_i32 s21, s23, s21
	s_add_u32 s11, s11, s21
	s_mul_hi_u32 s24, s23, s19
	s_addc_u32 s3, s3, s25
	s_addc_u32 s11, s24, 0
	s_mul_i32 s19, s23, s19
	s_add_u32 s3, s3, s19
	s_addc_u32 s11, 0, s11
	s_mul_i32 s11, s9, s11
	s_mul_hi_u32 s24, s9, s3
	s_add_i32 s24, s24, s11
	s_mul_i32 s11, s9, s3
	v_mov_b32_e32 v1, s11
	s_add_u32 s19, s3, 1
	s_add_u32 s21, s3, 2
	v_sub_co_u32_e32 v1, vcc, s22, v1
	s_cmp_lg_u64 vcc, 0
	s_subb_u32 s11, s23, s24
	v_subrev_co_u32_e32 v2, vcc, s9, v1
	s_cmp_lg_u64 vcc, 0
	s_subb_u32 s22, s11, 0
	v_cmp_le_u32_e32 vcc, s9, v2
	s_cmp_eq_u32 s22, 0
	v_cndmask_b32_e64 v2, 0, -1, vcc
	s_cselect_b64 vcc, -1, 0
	v_cndmask_b32_e32 v2, -1, v2, vcc
	v_mov_b32_e32 v3, s19
	v_mov_b32_e32 v4, s21
	v_cmp_ne_u32_e32 vcc, 0, v2
	v_cndmask_b32_e32 v2, v3, v4, vcc
	v_cmp_le_u32_e32 vcc, s9, v1
	s_cmp_eq_u32 s11, 0
	v_cndmask_b32_e64 v1, 0, -1, vcc
	s_cselect_b64 vcc, -1, 0
	v_cndmask_b32_e32 v1, -1, v1, vcc
	v_mov_b32_e32 v3, s3
	v_cmp_ne_u32_e32 vcc, 0, v1
	v_cndmask_b32_e32 v1, v3, v2, vcc
	v_xor_b32_e32 v1, s10, v1
	v_subrev_co_u32_e32 v2, vcc, s10, v1
	s_cbranch_execnz .LBB22_6
.LBB22_5:
	v_cvt_f32_u32_e32 v1, s9
	s_sub_i32 s0, 0, s9
	s_mov_b32 s1, 0
	v_rcp_iflag_f32_e32 v1, v1
	v_mul_f32_e32 v1, 0x4f7ffffe, v1
	v_cvt_u32_f32_e32 v1, v1
	v_readfirstlane_b32 s3, v1
	s_mul_i32 s0, s0, s3
	s_mul_hi_u32 s0, s3, s0
	s_add_i32 s3, s3, s0
	s_mul_hi_u32 s0, s2, s3
	s_mul_i32 s10, s0, s9
	s_sub_i32 s2, s2, s10
	s_add_i32 s3, s0, 1
	s_sub_i32 s10, s2, s9
	s_cmp_ge_u32 s2, s9
	s_cselect_b32 s0, s3, s0
	s_cselect_b32 s2, s10, s2
	s_add_i32 s3, s0, 1
	s_cmp_ge_u32 s2, s9
	s_cselect_b32 s0, s3, s0
	v_pk_mov_b32 v[2:3], s[0:1], s[0:1] op_sel:[0,1]
.LBB22_6:
	s_waitcnt lgkmcnt(0)
	s_mul_hi_u32 s0, s20, s16
	s_add_i32 s0, s0, s20
	v_mul_hi_u32 v1, v2, s16
	s_lshr_b32 s19, s0, s17
	v_add_u32_e32 v1, v1, v2
	s_mul_i32 s0, s19, s18
	v_lshrrev_b32_e32 v1, s17, v1
	s_cmp_eq_u32 s0, s20
	v_cmp_eq_u32_e64 s[0:1], s19, v1
	v_mul_lo_u32 v1, v1, s18
	v_cmp_eq_u32_e32 vcc, s20, v2
	s_cselect_b64 s[10:11], -1, 0
	v_cmp_ne_u32_e64 s[2:3], v1, v2
	s_and_b64 s[0:1], s[0:1], s[2:3]
	s_or_b64 s[2:3], vcc, s[10:11]
	s_or_b64 s[0:1], s[2:3], s[0:1]
	s_and_b64 vcc, exec, s[0:1]
	s_cbranch_vccnz .LBB22_24
; %bb.7:
	s_load_dwordx8 s[24:31], s[4:5], 0x20
	s_load_dword s0, s[4:5], 0x40
	s_mov_b32 s10, 0
	s_waitcnt lgkmcnt(0)
	s_mul_hi_u32 s1, s20, s24
	s_add_i32 s1, s1, s20
	s_lshr_b32 s11, s1, s25
	s_mul_i32 s1, s11, s26
	s_sub_i32 s1, s20, s1
	s_mul_hi_u32 s2, s1, s27
	s_add_i32 s2, s1, s2
	s_lshr_b32 s23, s2, s28
	s_mul_i32 s2, s23, s29
	s_sub_i32 s1, s1, s2
	;; [unrolled: 5-line block ×3, first 2 shown]
	s_mul_hi_u32 s1, s0, s16
	s_add_i32 s0, s0, s1
	s_lshr_b32 s24, s0, s17
	s_lshl_b32 s0, s24, 6
	s_add_i32 s0, s0, s7
	s_cmp_lt_i32 s0, s12
	s_cselect_b64 s[0:1], -1, 0
	s_add_i32 s25, s25, s8
	s_cmp_lt_i32 s25, s14
	s_cselect_b64 s[2:3], -1, 0
	s_and_b64 s[0:1], s[0:1], s[2:3]
	s_andn2_b64 vcc, exec, s[0:1]
	s_cbranch_vccnz .LBB22_24
; %bb.8:
	s_load_dwordx4 s[0:3], s[4:5], 0x0
	s_lshl_b32 s4, s9, 8
	s_mov_b32 s5, s10
	s_add_i32 s8, s7, s8
	s_lshl_b64 s[4:5], s[4:5], 2
	s_waitcnt lgkmcnt(0)
	s_add_u32 s21, s2, s4
	s_mul_i32 s4, s11, s12
	s_addc_u32 s22, s3, s5
	s_mul_i32 s23, s23, s14
	s_add_i32 s4, s4, s7
	s_mul_i32 s4, s4, s13
	s_add_i32 s7, s25, s23
	;; [unrolled: 2-line block ×3, first 2 shown]
	s_mulk_i32 s5, 0x1c00
	s_mulk_i32 s4, 0x70
	s_add_i32 s5, s5, s4
	v_add_u32_e32 v2, s5, v0
	v_ashrrev_i32_e32 v3, 31, v2
	v_lshlrev_b64 v[2:3], 2, v[2:3]
	v_mov_b32_e32 v1, s1
	v_add_co_u32_e32 v2, vcc, s0, v2
	v_addc_co_u32_e32 v3, vcc, v1, v3, vcc
	global_load_dword v5, v[2:3], off
	s_mul_i32 s4, s8, 0x70
	v_add_u32_e32 v4, s4, v0
	v_cvt_f32_u32_e32 v0, s9
	v_cvt_f32_ubyte0_e32 v1, 0
	s_lshl_b32 s0, s6, 6
	s_add_i32 s0, s0, s8
	v_mac_f32_e32 v0, 0x4f800000, v1
	v_rcp_f32_e32 v0, v0
	v_cvt_f32_u32_e32 v1, s9
	s_ashr_i32 s1, s0, 31
	s_lshl_b64 s[0:1], s[0:1], 3
	v_mul_f32_e32 v0, 0x5f7ffffc, v0
	v_rcp_iflag_f32_e32 v1, v1
	s_add_u32 s0, s2, s0
	v_mul_f32_e32 v9, 0x2f800000, v0
	s_addc_u32 s1, s3, s1
	v_trunc_f32_e32 v10, v9
	s_load_dwordx2 s[0:1], s[0:1], 0x0
	v_mac_f32_e32 v0, 0xcf800000, v10
	v_cvt_u32_f32_e32 v9, v0
	v_mul_f32_e32 v0, 0x4f7ffffe, v1
	v_cvt_u32_f32_e32 v10, v10
	v_cvt_u32_f32_e32 v11, v0
	s_add_i32 s12, s6, -1
	s_waitcnt lgkmcnt(0)
	v_mov_b32_e32 v6, s1
	v_mov_b32_e32 v7, s0
	;; [unrolled: 1-line block ×3, first 2 shown]
	s_mov_b32 s6, 0x3fb8aa3b
	s_mov_b32 s7, 0xc2ce8ed0
	;; [unrolled: 1-line block ×4, first 2 shown]
	v_mov_b32_e32 v12, 0x7f800000
	s_mul_hi_i32 s11, s12, s15
	s_cmp_lg_u64 s[10:11], 0
	s_mul_i32 s4, s12, s15
	s_cbranch_scc0 .LBB22_15
.LBB22_9:
	s_sub_u32 s0, 0, s9
	v_readfirstlane_b32 s5, v9
	v_readfirstlane_b32 s24, v10
	s_subb_u32 s1, 0, 0
	s_mul_hi_u32 s23, s0, s5
	s_mul_i32 s25, s0, s24
	s_mul_i32 s20, s1, s5
	s_add_i32 s23, s23, s25
	s_add_i32 s23, s23, s20
	s_mul_i32 s26, s0, s5
	s_mul_hi_u32 s20, s5, s23
	s_mul_i32 s25, s5, s23
	s_mul_hi_u32 s5, s5, s26
	s_add_u32 s5, s5, s25
	s_addc_u32 s20, 0, s20
	s_mul_hi_u32 s27, s24, s26
	s_mul_i32 s26, s24, s26
	s_add_u32 s5, s5, s26
	s_mul_hi_u32 s25, s24, s23
	s_addc_u32 s5, s20, s27
	s_addc_u32 s20, s25, 0
	s_mul_i32 s23, s24, s23
	s_add_u32 s5, s5, s23
	s_addc_u32 s20, 0, s20
	v_add_co_u32_e32 v0, vcc, s5, v9
	s_cmp_lg_u64 vcc, 0
	s_addc_u32 s5, s24, s20
	v_readfirstlane_b32 s23, v0
	s_mul_i32 s20, s0, s5
	s_mul_hi_u32 s24, s0, s23
	s_add_i32 s20, s24, s20
	s_mul_i32 s1, s1, s23
	s_add_i32 s20, s20, s1
	s_mul_i32 s0, s0, s23
	s_mul_hi_u32 s24, s5, s0
	s_mul_i32 s25, s5, s0
	s_mul_i32 s27, s23, s20
	s_mul_hi_u32 s0, s23, s0
	s_mul_hi_u32 s26, s23, s20
	s_add_u32 s0, s0, s27
	s_addc_u32 s23, 0, s26
	s_add_u32 s0, s0, s25
	s_mul_hi_u32 s1, s5, s20
	s_addc_u32 s0, s23, s24
	s_addc_u32 s1, s1, 0
	s_mul_i32 s20, s5, s20
	s_add_u32 s0, s0, s20
	s_addc_u32 s1, 0, s1
	v_add_co_u32_e32 v0, vcc, s0, v0
	s_cmp_lg_u64 vcc, 0
	s_addc_u32 s5, s5, s1
	s_ashr_i32 s0, s11, 31
	s_add_u32 s24, s4, s0
	s_mov_b32 s1, s0
	s_addc_u32 s25, s11, s0
	s_xor_b64 s[24:25], s[24:25], s[0:1]
	v_readfirstlane_b32 s20, v0
	s_mul_i32 s11, s24, s5
	s_mul_hi_u32 s23, s24, s20
	s_mul_hi_u32 s1, s24, s5
	s_add_u32 s11, s23, s11
	s_addc_u32 s1, 0, s1
	s_mul_hi_u32 s26, s25, s20
	s_mul_i32 s20, s25, s20
	s_add_u32 s11, s11, s20
	s_mul_hi_u32 s23, s25, s5
	s_addc_u32 s1, s1, s26
	s_addc_u32 s11, s23, 0
	s_mul_i32 s5, s25, s5
	s_add_u32 s1, s1, s5
	s_addc_u32 s5, 0, s11
	s_mul_i32 s5, s9, s5
	s_mul_hi_u32 s23, s9, s1
	s_add_i32 s23, s23, s5
	s_mul_i32 s5, s9, s1
	v_mov_b32_e32 v0, s5
	s_add_u32 s11, s1, 1
	s_add_u32 s20, s1, 2
	v_sub_co_u32_e32 v0, vcc, s24, v0
	s_cmp_lg_u64 vcc, 0
	s_subb_u32 s5, s25, s23
	v_subrev_co_u32_e32 v1, vcc, s9, v0
	s_cmp_lg_u64 vcc, 0
	s_subb_u32 s23, s5, 0
	v_cmp_le_u32_e32 vcc, s9, v1
	s_cmp_eq_u32 s23, 0
	v_cndmask_b32_e64 v1, 0, -1, vcc
	s_cselect_b64 vcc, -1, 0
	v_cndmask_b32_e32 v1, -1, v1, vcc
	v_mov_b32_e32 v13, s11
	v_mov_b32_e32 v14, s20
	v_cmp_ne_u32_e32 vcc, 0, v1
	v_cndmask_b32_e32 v1, v13, v14, vcc
	v_cmp_le_u32_e32 vcc, s9, v0
	s_cmp_eq_u32 s5, 0
	v_cndmask_b32_e64 v0, 0, -1, vcc
	s_cselect_b64 vcc, -1, 0
	v_cndmask_b32_e32 v0, -1, v0, vcc
	v_mov_b32_e32 v13, s1
	v_cmp_ne_u32_e32 vcc, 0, v0
	v_cndmask_b32_e32 v0, v13, v1, vcc
	v_xor_b32_e32 v0, s0, v0
	v_subrev_co_u32_e32 v0, vcc, s0, v0
	s_cbranch_execnz .LBB22_11
.LBB22_10:
	s_sub_i32 s0, 0, s9
	v_mul_lo_u32 v0, s0, v11
	v_mul_hi_u32 v0, v11, v0
	v_add_u32_e32 v0, v11, v0
	v_mul_hi_u32 v0, s4, v0
	v_mul_lo_u32 v13, v0, s9
	v_sub_u32_e32 v13, s4, v13
	v_add_u32_e32 v1, 1, v0
	v_subrev_u32_e32 v14, s9, v13
	v_cmp_le_u32_e32 vcc, s9, v13
	v_cndmask_b32_e32 v13, v13, v14, vcc
	v_cndmask_b32_e32 v0, v0, v1, vcc
	v_add_u32_e32 v1, 1, v0
	v_cmp_le_u32_e32 vcc, s9, v13
	v_cndmask_b32_e32 v0, v0, v1, vcc
.LBB22_11:
	v_cmp_ne_u32_e32 vcc, v8, v0
	s_cbranch_vccz .LBB22_14
; %bb.12:
	s_add_i32 s0, s12, s9
	s_lshl_b32 s0, s0, 6
	v_mul_hi_u32 v1, v0, s16
	s_add_i32 s0, s0, s8
	s_mov_b32 s1, s10
	v_add_u32_e32 v1, v1, v0
	s_lshl_b64 s[0:1], s[0:1], 3
	v_lshrrev_b32_e32 v1, s17, v1
	s_add_u32 s4, s2, s0
	v_mul_lo_u32 v13, v1, s18
	s_addc_u32 s5, s3, s1
	v_cmp_eq_u32_e32 vcc, v13, v0
	v_cmp_gt_u32_e64 s[0:1], s19, v1
	s_or_b64 s[0:1], s[0:1], vcc
	s_and_b64 vcc, exec, s[0:1]
	s_cbranch_vccnz .LBB22_16
; %bb.13:
	s_add_i32 s11, s12, -1
	s_mov_b64 s[0:1], 0
	s_branch .LBB22_17
.LBB22_14:
                                        ; implicit-def: $sgpr0_sgpr1
                                        ; implicit-def: $vgpr14
                                        ; implicit-def: $vgpr1
                                        ; implicit-def: $vgpr13
                                        ; implicit-def: $sgpr11
                                        ; implicit-def: $vgpr0
	s_branch .LBB22_18
.LBB22_15:
                                        ; implicit-def: $vgpr0_vgpr1
	s_branch .LBB22_10
.LBB22_16:
	s_mov_b64 s[0:1], -1
	s_mov_b32 s11, s12
	v_mov_b32_e32 v0, v8
.LBB22_17:
	s_mul_i32 s20, s12, 0x1c00
	v_add_u32_e32 v14, s20, v4
	v_ashrrev_i32_e32 v15, 31, v14
	v_lshlrev_b64 v[14:15], 2, v[14:15]
	v_mov_b32_e32 v1, s22
	v_add_co_u32_e32 v14, vcc, s21, v14
	v_addc_co_u32_e32 v15, vcc, v1, v15, vcc
	global_load_dword v14, v[14:15], off
	s_load_dwordx2 s[4:5], s[4:5], 0x0
	v_max_f32_e32 v1, v7, v7
	s_waitcnt lgkmcnt(0)
	v_max_f32_e64 v13, s4, s4
	v_max_f32_e32 v1, v1, v13
	v_sub_f32_e32 v13, v7, v1
	v_sub_f32_e32 v15, s4, v1
	v_mul_f32_e32 v16, 0x3fb8aa3b, v13
	v_mul_f32_e32 v17, 0x3fb8aa3b, v15
	v_fma_f32 v18, v13, s6, -v16
	v_rndne_f32_e32 v19, v16
	v_fma_f32 v20, v15, s6, -v17
	v_rndne_f32_e32 v21, v17
	v_fmac_f32_e32 v18, 0x32a5705f, v13
	v_sub_f32_e32 v16, v16, v19
	v_fmac_f32_e32 v20, 0x32a5705f, v15
	v_sub_f32_e32 v17, v17, v21
	v_add_f32_e32 v16, v16, v18
	v_cvt_i32_f32_e32 v19, v19
	v_add_f32_e32 v17, v17, v20
	v_exp_f32_e32 v16, v16
	v_cvt_i32_f32_e32 v21, v21
	v_exp_f32_e32 v17, v17
	v_cmp_ngt_f32_e32 vcc, s7, v13
	v_ldexp_f32 v16, v16, v19
	v_cndmask_b32_e32 v16, 0, v16, vcc
	v_ldexp_f32 v17, v17, v21
	v_cmp_ngt_f32_e32 vcc, s7, v15
	v_cndmask_b32_e32 v17, 0, v17, vcc
	v_cmp_nlt_f32_e32 vcc, s13, v13
	v_cndmask_b32_e32 v16, v12, v16, vcc
	v_cmp_nlt_f32_e32 vcc, s13, v15
	v_cndmask_b32_e32 v17, v12, v17, vcc
	v_cmp_le_f32_e32 vcc, s14, v13
	v_cndmask_b32_e32 v16, 0, v16, vcc
	v_cmp_le_f32_e32 vcc, s14, v15
	v_cndmask_b32_e32 v15, 0, v17, vcc
	v_mul_f32_e32 v13, s5, v15
	v_fmac_f32_e32 v13, v6, v16
	s_waitcnt vmcnt(0)
	v_mul_f32_e32 v14, v14, v15
	v_fmac_f32_e32 v14, v5, v16
	s_cbranch_execnz .LBB22_19
.LBB22_18:
	s_add_i32 s11, s12, -1
	s_mov_b64 s[0:1], 0
	v_mov_b32_e32 v0, v8
	v_mov_b32_e32 v13, v6
	;; [unrolled: 1-line block ×3, first 2 shown]
	s_waitcnt vmcnt(0)
	v_mov_b32_e32 v14, v5
.LBB22_19:
	s_andn2_b64 vcc, exec, s[0:1]
	s_cbranch_vccz .LBB22_23
; %bb.20:
	v_mov_b32_e32 v8, v0
	s_mov_b32 s12, s11
	v_mov_b32_e32 v6, v13
	v_mov_b32_e32 v7, v1
	s_waitcnt vmcnt(0)
	v_mov_b32_e32 v5, v14
	s_mul_hi_i32 s11, s12, s15
	s_cmp_lg_u64 s[10:11], 0
	s_mul_i32 s4, s12, s15
	s_cbranch_scc1 .LBB22_9
	s_branch .LBB22_15
.LBB22_21:
                                        ; implicit-def: $sgpr20_sgpr21
	s_load_dwordx4 s[16:19], s[4:5], 0x44
	s_branch .LBB22_2
.LBB22_22:
                                        ; implicit-def: $vgpr2_vgpr3
	s_branch .LBB22_5
.LBB22_23:
	v_div_scale_f32 v0, s[0:1], v13, v13, v14
	v_rcp_f32_e32 v1, v0
	v_div_scale_f32 v4, vcc, v14, v13, v14
	s_waitcnt vmcnt(0)
	v_fma_f32 v5, -v0, v1, 1.0
	v_fmac_f32_e32 v1, v5, v1
	v_mul_f32_e32 v5, v4, v1
	v_fma_f32 v6, -v0, v5, v4
	v_fmac_f32_e32 v5, v6, v1
	v_fma_f32 v0, -v0, v5, v4
	v_div_fmas_f32 v0, v0, v1, v5
	v_div_fixup_f32 v0, v0, v13, v14
	global_store_dword v[2:3], v0, off
.LBB22_24:
	s_endpgm
	.section	.rodata,"a",@progbits
	.p2align	6, 0x0
	.amdhsa_kernel _ZL33flash_attn_stream_k_fixup_generalILi112ELi64ELi1EEvPfPK15HIP_vector_typeIfLj2EEiiiiS1_IjLj3EES5_S5_S5_
		.amdhsa_group_segment_fixed_size 0
		.amdhsa_private_segment_fixed_size 0
		.amdhsa_kernarg_size 336
		.amdhsa_user_sgpr_count 6
		.amdhsa_user_sgpr_private_segment_buffer 1
		.amdhsa_user_sgpr_dispatch_ptr 0
		.amdhsa_user_sgpr_queue_ptr 0
		.amdhsa_user_sgpr_kernarg_segment_ptr 1
		.amdhsa_user_sgpr_dispatch_id 0
		.amdhsa_user_sgpr_flat_scratch_init 0
		.amdhsa_user_sgpr_kernarg_preload_length 0
		.amdhsa_user_sgpr_kernarg_preload_offset 0
		.amdhsa_user_sgpr_private_segment_size 0
		.amdhsa_uses_dynamic_stack 0
		.amdhsa_system_sgpr_private_segment_wavefront_offset 0
		.amdhsa_system_sgpr_workgroup_id_x 1
		.amdhsa_system_sgpr_workgroup_id_y 1
		.amdhsa_system_sgpr_workgroup_id_z 1
		.amdhsa_system_sgpr_workgroup_info 0
		.amdhsa_system_vgpr_workitem_id 0
		.amdhsa_next_free_vgpr 22
		.amdhsa_next_free_sgpr 32
		.amdhsa_accum_offset 24
		.amdhsa_reserve_vcc 1
		.amdhsa_reserve_flat_scratch 0
		.amdhsa_float_round_mode_32 0
		.amdhsa_float_round_mode_16_64 0
		.amdhsa_float_denorm_mode_32 3
		.amdhsa_float_denorm_mode_16_64 3
		.amdhsa_dx10_clamp 1
		.amdhsa_ieee_mode 1
		.amdhsa_fp16_overflow 0
		.amdhsa_tg_split 0
		.amdhsa_exception_fp_ieee_invalid_op 0
		.amdhsa_exception_fp_denorm_src 0
		.amdhsa_exception_fp_ieee_div_zero 0
		.amdhsa_exception_fp_ieee_overflow 0
		.amdhsa_exception_fp_ieee_underflow 0
		.amdhsa_exception_fp_ieee_inexact 0
		.amdhsa_exception_int_div_zero 0
	.end_amdhsa_kernel
	.section	.text._ZL33flash_attn_stream_k_fixup_generalILi112ELi64ELi1EEvPfPK15HIP_vector_typeIfLj2EEiiiiS1_IjLj3EES5_S5_S5_,"axG",@progbits,_ZL33flash_attn_stream_k_fixup_generalILi112ELi64ELi1EEvPfPK15HIP_vector_typeIfLj2EEiiiiS1_IjLj3EES5_S5_S5_,comdat
.Lfunc_end22:
	.size	_ZL33flash_attn_stream_k_fixup_generalILi112ELi64ELi1EEvPfPK15HIP_vector_typeIfLj2EEiiiiS1_IjLj3EES5_S5_S5_, .Lfunc_end22-_ZL33flash_attn_stream_k_fixup_generalILi112ELi64ELi1EEvPfPK15HIP_vector_typeIfLj2EEiiiiS1_IjLj3EES5_S5_S5_
                                        ; -- End function
	.section	.AMDGPU.csdata,"",@progbits
; Kernel info:
; codeLenInByte = 2820
; NumSgprs: 36
; NumVgprs: 22
; NumAgprs: 0
; TotalNumVgprs: 22
; ScratchSize: 0
; MemoryBound: 0
; FloatMode: 240
; IeeeMode: 1
; LDSByteSize: 0 bytes/workgroup (compile time only)
; SGPRBlocks: 4
; VGPRBlocks: 2
; NumSGPRsForWavesPerEU: 36
; NumVGPRsForWavesPerEU: 22
; AccumOffset: 24
; Occupancy: 8
; WaveLimiterHint : 0
; COMPUTE_PGM_RSRC2:SCRATCH_EN: 0
; COMPUTE_PGM_RSRC2:USER_SGPR: 6
; COMPUTE_PGM_RSRC2:TRAP_HANDLER: 0
; COMPUTE_PGM_RSRC2:TGID_X_EN: 1
; COMPUTE_PGM_RSRC2:TGID_Y_EN: 1
; COMPUTE_PGM_RSRC2:TGID_Z_EN: 1
; COMPUTE_PGM_RSRC2:TIDIG_COMP_CNT: 0
; COMPUTE_PGM_RSRC3_GFX90A:ACCUM_OFFSET: 5
; COMPUTE_PGM_RSRC3_GFX90A:TG_SPLIT: 0
	.section	.text._ZL26flash_attn_combine_resultsILi112EEvPKfPK15HIP_vector_typeIfLj2EEPfi,"axG",@progbits,_ZL26flash_attn_combine_resultsILi112EEvPKfPK15HIP_vector_typeIfLj2EEPfi,comdat
	.globl	_ZL26flash_attn_combine_resultsILi112EEvPKfPK15HIP_vector_typeIfLj2EEPfi ; -- Begin function _ZL26flash_attn_combine_resultsILi112EEvPKfPK15HIP_vector_typeIfLj2EEPfi
	.p2align	8
	.type	_ZL26flash_attn_combine_resultsILi112EEvPKfPK15HIP_vector_typeIfLj2EEPfi,@function
_ZL26flash_attn_combine_resultsILi112EEvPKfPK15HIP_vector_typeIfLj2EEPfi: ; @_ZL26flash_attn_combine_resultsILi112EEvPKfPK15HIP_vector_typeIfLj2EEPfi
; %bb.0:
	s_load_dwordx2 s[0:1], s[4:5], 0x20
	s_load_dword s21, s[4:5], 0x18
	s_load_dwordx4 s[16:19], s[4:5], 0x0
	s_load_dwordx2 s[14:15], s[4:5], 0x10
	s_waitcnt lgkmcnt(0)
	s_mul_i32 s0, s0, s8
	s_add_i32 s0, s0, s6
	s_mul_i32 s20, s0, s1
	s_add_i32 s20, s20, s7
	s_lshl_b32 s10, s21, 1
	s_mul_i32 s0, s20, s21
	v_cmp_gt_i32_e32 vcc, s10, v0
	s_and_saveexec_b64 s[2:3], vcc
	s_cbranch_execz .LBB23_13
; %bb.1:
	v_xad_u32 v1, v0, -1, s10
	s_movk_i32 s4, 0x6f
	s_ashr_i32 s1, s0, 31
	v_cmp_lt_u32_e32 vcc, s4, v1
	s_mov_b64 s[6:7], -1
	v_mov_b32_e32 v2, v0
	s_and_saveexec_b64 s[4:5], vcc
	s_cbranch_execz .LBB23_10
; %bb.2:
	v_lshrrev_b32_e32 v1, 4, v1
	s_mov_b32 s6, 0x24924925
	v_mul_hi_u32 v6, v1, s6
	s_lshl_b64 s[6:7], s[0:1], 3
	v_add_u32_e32 v2, -1, v6
	s_add_u32 s11, s18, s6
	v_add_u32_e32 v1, 0x70, v0
	v_lshrrev_b32_e32 v3, 1, v2
	s_addc_u32 s12, s19, s7
	v_add_u32_e32 v7, 1, v3
	v_cmp_lt_u32_e32 vcc, 13, v2
	v_mov_b32_e32 v4, 0
	v_pk_mov_b32 v[2:3], v[0:1], v[0:1] op_sel:[0,1]
	s_and_saveexec_b64 s[6:7], vcc
	s_cbranch_execz .LBB23_6
; %bb.3:
	v_and_b32_e32 v8, -8, v7
	s_mov_b32 s13, 0
	v_lshl_add_u32 v9, v0, 2, 0
	s_mov_b64 s[8:9], 0
	v_mov_b32_e32 v10, s12
	v_mov_b32_e32 v5, 0
	v_pk_mov_b32 v[2:3], v[0:1], v[0:1] op_sel:[0,1]
.LBB23_4:                               ; =>This Inner Loop Header: Depth=1
	v_mov_b32_e32 v4, v2
	v_lshlrev_b64 v[26:27], 2, v[4:5]
	v_add_u32_e32 v12, 0xe0, v3
	v_mov_b32_e32 v13, v5
	v_add_co_u32_e32 v26, vcc, s11, v26
	v_lshlrev_b64 v[12:13], 2, v[12:13]
	v_addc_co_u32_e32 v27, vcc, v10, v27, vcc
	v_add_u32_e32 v14, 0x1c0, v3
	v_mov_b32_e32 v15, v5
	v_add_co_u32_e32 v12, vcc, s11, v12
	v_lshlrev_b64 v[14:15], 2, v[14:15]
	v_addc_co_u32_e32 v13, vcc, v10, v13, vcc
	;; [unrolled: 5-line block ×7, first 2 shown]
	v_mov_b32_e32 v4, v3
	v_add_co_u32_e32 v24, vcc, s11, v24
	v_lshlrev_b64 v[28:29], 2, v[4:5]
	v_addc_co_u32_e32 v25, vcc, v10, v25, vcc
	v_add_u32_e32 v4, 0xe0, v2
	v_add_co_u32_e32 v28, vcc, s11, v28
	v_addc_co_u32_e32 v29, vcc, v10, v29, vcc
	global_load_dword v1, v[26:27], off
	v_lshlrev_b64 v[26:27], 2, v[4:5]
	v_add_u32_e32 v4, 0x1c0, v2
	v_add_co_u32_e32 v26, vcc, s11, v26
	v_addc_co_u32_e32 v27, vcc, v10, v27, vcc
	v_lshlrev_b64 v[30:31], 2, v[4:5]
	v_add_u32_e32 v4, 0x2a0, v2
	global_load_dword v11, v[28:29], off
	global_load_dword v32, v[26:27], off
	global_load_dword v33, v[12:13], off
	v_add_co_u32_e32 v12, vcc, s11, v30
	v_addc_co_u32_e32 v13, vcc, v10, v31, vcc
	v_lshlrev_b64 v[26:27], 2, v[4:5]
	v_add_u32_e32 v4, 0x380, v2
	v_add_co_u32_e32 v26, vcc, s11, v26
	v_addc_co_u32_e32 v27, vcc, v10, v27, vcc
	v_lshlrev_b64 v[28:29], 2, v[4:5]
	v_add_u32_e32 v4, 0x460, v2
	global_load_dword v30, v[12:13], off
	global_load_dword v31, v[14:15], off
	;; [unrolled: 1-line block ×4, first 2 shown]
	v_add_co_u32_e32 v12, vcc, s11, v28
	v_addc_co_u32_e32 v13, vcc, v10, v29, vcc
	v_lshlrev_b64 v[14:15], 2, v[4:5]
	v_add_u32_e32 v4, 0x540, v2
	v_add_co_u32_e32 v14, vcc, s11, v14
	v_addc_co_u32_e32 v15, vcc, v10, v15, vcc
	v_lshlrev_b64 v[16:17], 2, v[4:5]
	v_add_u32_e32 v4, 0x620, v2
	global_load_dword v26, v[12:13], off
	global_load_dword v27, v[18:19], off
	;; [unrolled: 1-line block ×4, first 2 shown]
	v_add_co_u32_e32 v12, vcc, s11, v16
	v_addc_co_u32_e32 v13, vcc, v10, v17, vcc
	v_lshlrev_b64 v[14:15], 2, v[4:5]
	v_add_co_u32_e32 v14, vcc, s11, v14
	v_addc_co_u32_e32 v15, vcc, v10, v15, vcc
	global_load_dword v16, v[12:13], off
	global_load_dword v17, v[22:23], off
	;; [unrolled: 1-line block ×4, first 2 shown]
	v_add_u32_e32 v8, -8, v8
	s_add_i32 s13, s13, 16
	v_cmp_eq_u32_e32 vcc, 0, v8
	v_add_u32_e32 v12, 0x200, v9
	v_add_u32_e32 v13, 0x600, v9
	;; [unrolled: 1-line block ×8, first 2 shown]
	v_mov_b32_e32 v4, s13
	s_or_b64 s[8:9], vcc, s[8:9]
	v_add_u32_e32 v2, 0x700, v2
	s_waitcnt vmcnt(14)
	ds_write2_b32 v9, v1, v11 offset1:112
	v_add_u32_e32 v9, 0x1c00, v9
	s_waitcnt vmcnt(12)
	ds_write2_b32 v12, v32, v33 offset0:96 offset1:208
	s_waitcnt vmcnt(10)
	ds_write2_b32 v13, v30, v31 offset0:64 offset1:176
	s_waitcnt vmcnt(8)
	ds_write2_b32 v14, v34, v35 offset0:32 offset1:144
	s_waitcnt vmcnt(6)
	ds_write2_b32 v15, v26, v27 offset0:128 offset1:240
	s_waitcnt vmcnt(4)
	ds_write2_b32 v20, v28, v29 offset0:96 offset1:208
	s_waitcnt vmcnt(2)
	ds_write2_b32 v21, v16, v17 offset0:64 offset1:176
	s_waitcnt vmcnt(0)
	ds_write2_b32 v22, v18, v19 offset0:32 offset1:144
	s_andn2_b64 exec, exec, s[8:9]
	s_cbranch_execnz .LBB23_4
; %bb.5:
	s_or_b64 exec, exec, s[8:9]
.LBB23_6:
	s_or_b64 exec, exec, s[6:7]
	v_and_b32_e32 v1, 7, v7
	v_cmp_ne_u32_e32 vcc, 0, v1
	s_and_saveexec_b64 s[6:7], vcc
	s_cbranch_execz .LBB23_9
; %bb.7:
	s_movk_i32 s8, 0x1c0
	v_mul_lo_u32 v4, v4, s8
	v_lshlrev_b32_e32 v5, 2, v0
	v_add3_u32 v7, v4, v5, 0
	s_mov_b64 s[8:9], 0
	v_mov_b32_e32 v8, s12
	v_mov_b32_e32 v5, 0
.LBB23_8:                               ; =>This Inner Loop Header: Depth=1
	v_mov_b32_e32 v4, v2
	v_lshlrev_b64 v[10:11], 2, v[4:5]
	v_mov_b32_e32 v4, v3
	v_add_co_u32_e32 v10, vcc, s11, v10
	v_addc_co_u32_e32 v11, vcc, v8, v11, vcc
	v_lshlrev_b64 v[12:13], 2, v[4:5]
	v_add_co_u32_e32 v12, vcc, s11, v12
	v_addc_co_u32_e32 v13, vcc, v8, v13, vcc
	global_load_dword v4, v[10:11], off
	global_load_dword v9, v[12:13], off
	v_add_u32_e32 v1, -1, v1
	v_cmp_eq_u32_e32 vcc, 0, v1
	v_add_u32_e32 v2, 0xe0, v2
	v_add_u32_e32 v3, 0xe0, v3
	s_or_b64 s[8:9], vcc, s[8:9]
	s_waitcnt vmcnt(0)
	ds_write2_b32 v7, v4, v9 offset1:112
	v_add_u32_e32 v7, 0x380, v7
	s_andn2_b64 exec, exec, s[8:9]
	s_cbranch_execnz .LBB23_8
.LBB23_9:
	s_or_b64 exec, exec, s[6:7]
	v_add_u32_e32 v1, 1, v6
	v_and_b32_e32 v4, 0x7fffffe, v1
	s_movk_i32 s6, 0x70
	v_mad_u64_u32 v[2:3], s[6:7], v4, s6, v[0:1]
	v_cmp_ne_u32_e32 vcc, v1, v4
	s_orn2_b64 s[6:7], vcc, exec
.LBB23_10:
	s_or_b64 exec, exec, s[4:5]
	s_and_b64 exec, exec, s[6:7]
	s_cbranch_execz .LBB23_13
; %bb.11:
	s_lshl_b64 s[4:5], s[0:1], 3
	v_mov_b32_e32 v3, 0
	s_add_u32 s1, s18, s4
	v_lshlrev_b64 v[4:5], 2, v[2:3]
	s_addc_u32 s4, s19, s5
	v_mov_b32_e32 v1, s4
	v_add_co_u32_e32 v4, vcc, s1, v4
	v_addc_co_u32_e32 v5, vcc, v1, v5, vcc
	v_lshl_add_u32 v1, v2, 2, 0
	s_mov_b64 s[4:5], 0
.LBB23_12:                              ; =>This Inner Loop Header: Depth=1
	global_load_dword v3, v[4:5], off
	v_add_co_u32_e32 v4, vcc, 0x1c0, v4
	v_add_u32_e32 v2, 0x70, v2
	v_addc_co_u32_e32 v5, vcc, 0, v5, vcc
	v_cmp_le_i32_e32 vcc, s10, v2
	s_or_b64 s[4:5], vcc, s[4:5]
	s_waitcnt vmcnt(0)
	ds_write_b32 v1, v3
	v_add_u32_e32 v1, 0x1c0, v1
	s_andn2_b64 exec, exec, s[4:5]
	s_cbranch_execnz .LBB23_12
.LBB23_13:
	s_or_b64 exec, exec, s[2:3]
	v_mov_b32_e32 v1, 0
	s_waitcnt lgkmcnt(0)
	s_barrier
	ds_read_b32 v1, v1
	s_cmp_lt_i32 s21, 2
	s_cbranch_scc1 .LBB23_21
; %bb.14:
	s_add_i32 s1, s21, -1
	s_add_i32 s2, s21, -2
	s_cmp_lt_u32 s2, 7
	s_cbranch_scc1 .LBB23_18
; %bb.15:
	s_mov_b32 s4, 0
	s_add_i32 s2, 0, 8
	s_and_b32 s3, s1, -8
.LBB23_16:                              ; =>This Inner Loop Header: Depth=1
	v_mov_b32_e32 v8, s2
	ds_read2_b32 v[2:3], v8 offset1:2
	ds_read2_b32 v[4:5], v8 offset0:4 offset1:6
	ds_read2_b32 v[6:7], v8 offset0:8 offset1:10
	;; [unrolled: 1-line block ×3, first 2 shown]
	s_mov_b32 s5, s4
	s_waitcnt lgkmcnt(3)
	v_max3_f32 v1, v1, v2, v3
	s_waitcnt lgkmcnt(2)
	v_max3_f32 v1, v1, v4, v5
	s_add_i32 s2, s2, 64
	s_add_i32 s4, s4, 8
	s_waitcnt lgkmcnt(1)
	v_max3_f32 v1, v1, v6, v7
	s_cmp_eq_u32 s3, s4
	s_waitcnt lgkmcnt(0)
	v_max3_f32 v1, v1, v8, v9
	s_cbranch_scc0 .LBB23_16
; %bb.17:
	s_add_i32 s2, s5, 9
	s_and_b32 s1, s1, 7
	s_cmp_eq_u32 s1, 0
	s_cbranch_scc0 .LBB23_19
	s_branch .LBB23_21
.LBB23_18:
	s_mov_b32 s2, 1
	s_and_b32 s1, s1, 7
	s_cmp_eq_u32 s1, 0
	s_cbranch_scc1 .LBB23_21
.LBB23_19:
	s_lshl_b32 s2, s2, 3
	s_add_i32 s2, s2, 0
.LBB23_20:                              ; =>This Inner Loop Header: Depth=1
	v_mov_b32_e32 v2, s2
	ds_read_b32 v2, v2
	s_waitcnt lgkmcnt(1)
	v_max_f32_e32 v1, v1, v1
	s_add_i32 s2, s2, 8
	s_add_i32 s1, s1, -1
	s_cmp_lg_u32 s1, 0
	s_waitcnt lgkmcnt(0)
	v_max_f32_e32 v2, v2, v2
	v_max_f32_e32 v1, v1, v2
	s_cbranch_scc1 .LBB23_20
.LBB23_21:
	s_cmp_lt_i32 s21, 1
	s_cbranch_scc1 .LBB23_26
; %bb.22:
	s_mul_i32 s18, s0, 0x70
	s_ashr_i32 s19, s18, 31
	s_cmp_lt_u32 s21, 8
	v_mov_b32_e32 v8, 0
	s_cbranch_scc1 .LBB23_27
; %bb.23:
	s_lshl_b64 s[0:1], s[18:19], 2
	s_add_u32 s23, s16, s0
	s_addc_u32 s0, s17, s1
	v_lshlrev_b32_e32 v2, 2, v0
	v_mov_b32_e32 v10, s0
	v_add_co_u32_e32 v2, vcc, s23, v2
	v_addc_co_u32_e32 v3, vcc, 0, v10, vcc
	v_add_co_u32_e32 v2, vcc, 0x1c0, v2
	s_and_b32 s22, s21, 0x7ffffff8
	v_addc_co_u32_e32 v3, vcc, 0, v3, vcc
	v_add_u32_e32 v4, 0x1c0, v0
	s_mov_b32 s24, 0
	v_mov_b32_e32 v7, 0
	s_mov_b32 s25, 0x3fb8aa3b
	s_mov_b32 s26, 0xc2ce8ed0
	;; [unrolled: 1-line block ×3, first 2 shown]
	v_mov_b32_e32 v11, 0x7f800000
	s_mov_b32 s28, 0
	v_mov_b32_e32 v9, 0
	v_mov_b32_e32 v8, 0
.LBB23_24:                              ; =>This Inner Loop Header: Depth=1
	v_add_u32_e32 v6, 0xfffffe40, v4
	global_load_dword v36, v[2:3], off
	global_load_dword v37, v[2:3], off offset:448
	v_add_co_u32_e32 v2, vcc, 0xe00, v2
	v_lshlrev_b64 v[28:29], 2, v[6:7]
	v_addc_co_u32_e32 v3, vcc, 0, v3, vcc
	v_mov_b32_e32 v5, v7
	v_add_co_u32_e32 v28, vcc, s23, v28
	v_lshlrev_b64 v[30:31], 2, v[4:5]
	v_addc_co_u32_e32 v29, vcc, v10, v29, vcc
	v_add_u32_e32 v6, 0xffffff90, v4
	v_add_co_u32_e32 v30, vcc, s23, v30
	v_mov_b32_e32 v24, s24
	v_lshlrev_b64 v[32:33], 2, v[6:7]
	v_addc_co_u32_e32 v31, vcc, v10, v31, vcc
	ds_read2_b64 v[12:15], v24 offset1:1
	ds_read2_b64 v[16:19], v24 offset0:2 offset1:3
	ds_read2_b64 v[20:23], v24 offset0:4 offset1:5
	;; [unrolled: 1-line block ×3, first 2 shown]
	v_add_u32_e32 v6, 0x70, v4
	global_load_dword v5, v[28:29], off
	v_add_co_u32_e32 v28, vcc, s23, v32
	v_addc_co_u32_e32 v29, vcc, v10, v33, vcc
	v_lshlrev_b64 v[32:33], 2, v[6:7]
	v_add_u32_e32 v6, 0xe0, v4
	v_add_co_u32_e32 v32, vcc, s23, v32
	v_addc_co_u32_e32 v33, vcc, v10, v33, vcc
	v_lshlrev_b64 v[34:35], 2, v[6:7]
	v_add_u32_e32 v6, 0x150, v4
	global_load_dword v38, v[28:29], off
	global_load_dword v39, v[30:31], off
	;; [unrolled: 1-line block ×3, first 2 shown]
	v_add_co_u32_e32 v28, vcc, s23, v34
	v_addc_co_u32_e32 v29, vcc, v10, v35, vcc
	v_lshlrev_b64 v[30:31], 2, v[6:7]
	v_add_co_u32_e32 v30, vcc, s23, v30
	s_waitcnt lgkmcnt(3)
	v_sub_f32_e32 v6, v12, v1
	v_sub_f32_e32 v12, v14, v1
	s_waitcnt lgkmcnt(2)
	v_sub_f32_e32 v14, v16, v1
	v_sub_f32_e32 v16, v18, v1
	;; [unrolled: 3-line block ×4, first 2 shown]
	v_addc_co_u32_e32 v31, vcc, v10, v31, vcc
	global_load_dword v26, v[28:29], off
	v_mul_f32_e32 v32, 0x3fb8aa3b, v14
	global_load_dword v30, v[30:31], off
	v_mul_f32_e32 v28, 0x3fb8aa3b, v6
	v_fma_f32 v31, v6, s25, -v28
	v_rndne_f32_e32 v43, v28
	v_mul_f32_e32 v29, 0x3fb8aa3b, v12
	v_mul_f32_e32 v33, 0x3fb8aa3b, v16
	;; [unrolled: 1-line block ×3, first 2 shown]
	v_fmac_f32_e32 v31, 0x32a5705f, v6
	v_sub_f32_e32 v28, v28, v43
	v_fma_f32 v44, v12, s25, -v29
	v_rndne_f32_e32 v45, v29
	v_fma_f32 v46, v14, s25, -v32
	v_rndne_f32_e32 v47, v32
	;; [unrolled: 2-line block ×3, first 2 shown]
	v_fma_f32 v50, v18, s25, -v34
	v_add_f32_e32 v28, v28, v31
	v_rndne_f32_e32 v31, v34
	v_mul_f32_e32 v35, 0x3fb8aa3b, v20
	v_mul_f32_e32 v41, 0x3fb8aa3b, v22
	v_fmac_f32_e32 v44, 0x32a5705f, v12
	v_sub_f32_e32 v29, v29, v45
	v_fmac_f32_e32 v46, 0x32a5705f, v14
	v_sub_f32_e32 v32, v32, v47
	;; [unrolled: 2-line block ×4, first 2 shown]
	v_add_f32_e32 v29, v29, v44
	v_fma_f32 v44, v20, s25, -v35
	v_add_f32_e32 v32, v32, v46
	v_rndne_f32_e32 v46, v35
	v_add_f32_e32 v33, v33, v48
	v_fma_f32 v48, v22, s25, -v41
	v_add_f32_e32 v34, v34, v50
	v_rndne_f32_e32 v50, v41
	v_mul_f32_e32 v42, 0x3fb8aa3b, v24
	v_fmac_f32_e32 v44, 0x32a5705f, v20
	v_sub_f32_e32 v35, v35, v46
	v_fmac_f32_e32 v48, 0x32a5705f, v22
	v_sub_f32_e32 v41, v41, v50
	v_add_f32_e32 v35, v35, v44
	v_fma_f32 v44, v24, s25, -v42
	v_add_f32_e32 v41, v41, v48
	v_rndne_f32_e32 v48, v42
	v_cvt_i32_f32_e32 v43, v43
	v_fmac_f32_e32 v44, 0x32a5705f, v24
	v_sub_f32_e32 v42, v42, v48
	v_exp_f32_e32 v28, v28
	v_cvt_i32_f32_e32 v45, v45
	v_add_f32_e32 v42, v42, v44
	v_exp_f32_e32 v29, v29
	v_cvt_i32_f32_e32 v47, v47
	v_cvt_i32_f32_e32 v49, v49
	;; [unrolled: 1-line block ×6, first 2 shown]
	v_exp_f32_e32 v32, v32
	v_exp_f32_e32 v33, v33
	;; [unrolled: 1-line block ×6, first 2 shown]
	v_ldexp_f32 v28, v28, v43
	v_cmp_ngt_f32_e64 s[12:13], s26, v6
	v_ldexp_f32 v29, v29, v45
	v_cmp_ngt_f32_e32 vcc, s26, v12
	v_cndmask_b32_e64 v28, 0, v28, s[12:13]
	v_cmp_nlt_f32_e64 s[12:13], s27, v6
	v_ldexp_f32 v32, v32, v47
	v_cmp_ngt_f32_e64 s[0:1], s26, v14
	v_ldexp_f32 v33, v33, v49
	v_cmp_ngt_f32_e64 s[2:3], s26, v16
	v_ldexp_f32 v31, v34, v31
	v_cmp_ngt_f32_e64 s[4:5], s26, v18
	v_ldexp_f32 v34, v35, v46
	v_cmp_ngt_f32_e64 s[6:7], s26, v20
	v_ldexp_f32 v35, v41, v50
	v_cmp_ngt_f32_e64 s[8:9], s26, v22
	v_ldexp_f32 v41, v42, v48
	v_cmp_ngt_f32_e64 s[10:11], s26, v24
	v_cndmask_b32_e32 v29, 0, v29, vcc
	v_cmp_nlt_f32_e32 vcc, s27, v12
	v_cndmask_b32_e64 v6, v11, v28, s[12:13]
	v_cndmask_b32_e64 v12, 0, v32, s[0:1]
	v_cmp_nlt_f32_e64 s[0:1], s27, v14
	v_cndmask_b32_e64 v14, 0, v33, s[2:3]
	v_cmp_nlt_f32_e64 s[2:3], s27, v16
	;; [unrolled: 2-line block ×6, first 2 shown]
	v_cndmask_b32_e32 v24, v11, v29, vcc
	v_fmac_f32_e32 v9, v6, v13
	s_waitcnt vmcnt(5)
	v_fmac_f32_e32 v8, v5, v6
	v_cndmask_b32_e64 v12, v11, v12, s[0:1]
	v_fmac_f32_e32 v9, v24, v15
	v_fmac_f32_e32 v8, v36, v24
	v_cndmask_b32_e64 v14, v11, v14, s[2:3]
	v_fmac_f32_e32 v9, v12, v17
	;; [unrolled: 3-line block ×3, first 2 shown]
	s_waitcnt vmcnt(4)
	v_fmac_f32_e32 v8, v38, v14
	v_cndmask_b32_e64 v18, v11, v18, s[6:7]
	v_fmac_f32_e32 v9, v16, v21
	s_waitcnt vmcnt(3)
	v_fmac_f32_e32 v8, v39, v16
	v_cndmask_b32_e64 v20, v11, v20, s[8:9]
	v_fmac_f32_e32 v9, v18, v23
	s_waitcnt vmcnt(2)
	v_fmac_f32_e32 v8, v40, v18
	s_add_i32 s28, s28, 8
	s_add_i32 s24, s24, 64
	v_cndmask_b32_e64 v22, v11, v22, s[10:11]
	v_fmac_f32_e32 v9, v20, v25
	s_waitcnt vmcnt(1)
	v_fmac_f32_e32 v8, v26, v20
	s_cmp_eq_u32 s22, s28
	v_add_u32_e32 v4, 0x380, v4
	v_fmac_f32_e32 v9, v22, v27
	s_waitcnt vmcnt(0)
	v_fmac_f32_e32 v8, v30, v22
	s_cbranch_scc0 .LBB23_24
; %bb.25:
	s_and_b32 s0, s21, 7
	s_cmp_eq_u32 s0, 0
	s_cbranch_scc0 .LBB23_28
	s_branch .LBB23_30
.LBB23_26:
	s_waitcnt lgkmcnt(0)
	v_mov_b32_e32 v1, 0x7fc00000
	s_branch .LBB23_31
.LBB23_27:
	s_mov_b32 s22, 0
	v_mov_b32_e32 v9, 0
	s_and_b32 s0, s21, 7
	s_cmp_eq_u32 s0, 0
	s_cbranch_scc1 .LBB23_30
.LBB23_28:
	s_lshl_b64 s[2:3], s[18:19], 2
	s_mul_i32 s1, s22, 0x70
	v_add_u32_e32 v2, s1, v0
	v_mov_b32_e32 v3, 0
	s_add_u32 s1, s16, s2
	v_lshlrev_b64 v[2:3], 2, v[2:3]
	s_addc_u32 s2, s17, s3
	v_mov_b32_e32 v4, s2
	v_add_co_u32_e32 v2, vcc, s1, v2
	s_lshl_b32 s1, s22, 3
	v_addc_co_u32_e32 v3, vcc, v4, v3, vcc
	s_add_i32 s1, s1, 0
	s_mov_b32 s2, 0x3fb8aa3b
	s_mov_b32 s3, 0xc2ce8ed0
	;; [unrolled: 1-line block ×3, first 2 shown]
	v_mov_b32_e32 v4, 0x7f800000
.LBB23_29:                              ; =>This Inner Loop Header: Depth=1
	global_load_dword v5, v[2:3], off
	v_mov_b32_e32 v6, s1
	ds_read_b64 v[6:7], v6
	v_add_co_u32_e32 v2, vcc, 0x1c0, v2
	v_addc_co_u32_e32 v3, vcc, 0, v3, vcc
	s_waitcnt lgkmcnt(0)
	v_sub_f32_e32 v6, v6, v1
	v_mul_f32_e32 v10, 0x3fb8aa3b, v6
	v_fma_f32 v11, v6, s2, -v10
	v_rndne_f32_e32 v12, v10
	v_fmac_f32_e32 v11, 0x32a5705f, v6
	v_sub_f32_e32 v10, v10, v12
	v_add_f32_e32 v10, v10, v11
	v_cvt_i32_f32_e32 v12, v12
	v_exp_f32_e32 v10, v10
	v_cmp_ngt_f32_e32 vcc, s3, v6
	s_add_i32 s1, s1, 8
	s_add_i32 s0, s0, -1
	v_ldexp_f32 v10, v10, v12
	v_cndmask_b32_e32 v10, 0, v10, vcc
	v_cmp_nlt_f32_e32 vcc, s4, v6
	v_cndmask_b32_e32 v6, v4, v10, vcc
	s_cmp_lg_u32 s0, 0
	v_fmac_f32_e32 v9, v6, v7
	s_waitcnt vmcnt(0)
	v_fmac_f32_e32 v8, v5, v6
	s_cbranch_scc1 .LBB23_29
.LBB23_30:
	s_waitcnt lgkmcnt(0)
	v_div_scale_f32 v1, s[0:1], v9, v9, v8
	v_rcp_f32_e32 v2, v1
	v_div_scale_f32 v3, vcc, v8, v9, v8
	v_fma_f32 v4, -v1, v2, 1.0
	v_fmac_f32_e32 v2, v4, v2
	v_mul_f32_e32 v4, v3, v2
	v_fma_f32 v5, -v1, v4, v3
	v_fmac_f32_e32 v4, v5, v2
	v_fma_f32 v1, -v1, v4, v3
	v_div_fmas_f32 v1, v1, v2, v4
	v_div_fixup_f32 v1, v1, v9, v8
.LBB23_31:
	s_mul_i32 s0, s20, 0x70
	s_ashr_i32 s1, s0, 31
	s_lshl_b64 s[0:1], s[0:1], 2
	s_add_u32 s0, s14, s0
	s_addc_u32 s1, s15, s1
	v_lshlrev_b32_e32 v0, 2, v0
	global_store_dword v0, v1, s[0:1]
	s_endpgm
	.section	.rodata,"a",@progbits
	.p2align	6, 0x0
	.amdhsa_kernel _ZL26flash_attn_combine_resultsILi112EEvPKfPK15HIP_vector_typeIfLj2EEPfi
		.amdhsa_group_segment_fixed_size 0
		.amdhsa_private_segment_fixed_size 0
		.amdhsa_kernarg_size 288
		.amdhsa_user_sgpr_count 6
		.amdhsa_user_sgpr_private_segment_buffer 1
		.amdhsa_user_sgpr_dispatch_ptr 0
		.amdhsa_user_sgpr_queue_ptr 0
		.amdhsa_user_sgpr_kernarg_segment_ptr 1
		.amdhsa_user_sgpr_dispatch_id 0
		.amdhsa_user_sgpr_flat_scratch_init 0
		.amdhsa_user_sgpr_kernarg_preload_length 0
		.amdhsa_user_sgpr_kernarg_preload_offset 0
		.amdhsa_user_sgpr_private_segment_size 0
		.amdhsa_uses_dynamic_stack 0
		.amdhsa_system_sgpr_private_segment_wavefront_offset 0
		.amdhsa_system_sgpr_workgroup_id_x 1
		.amdhsa_system_sgpr_workgroup_id_y 1
		.amdhsa_system_sgpr_workgroup_id_z 1
		.amdhsa_system_sgpr_workgroup_info 0
		.amdhsa_system_vgpr_workitem_id 0
		.amdhsa_next_free_vgpr 51
		.amdhsa_next_free_sgpr 29
		.amdhsa_accum_offset 52
		.amdhsa_reserve_vcc 1
		.amdhsa_reserve_flat_scratch 0
		.amdhsa_float_round_mode_32 0
		.amdhsa_float_round_mode_16_64 0
		.amdhsa_float_denorm_mode_32 3
		.amdhsa_float_denorm_mode_16_64 3
		.amdhsa_dx10_clamp 1
		.amdhsa_ieee_mode 1
		.amdhsa_fp16_overflow 0
		.amdhsa_tg_split 0
		.amdhsa_exception_fp_ieee_invalid_op 0
		.amdhsa_exception_fp_denorm_src 0
		.amdhsa_exception_fp_ieee_div_zero 0
		.amdhsa_exception_fp_ieee_overflow 0
		.amdhsa_exception_fp_ieee_underflow 0
		.amdhsa_exception_fp_ieee_inexact 0
		.amdhsa_exception_int_div_zero 0
	.end_amdhsa_kernel
	.section	.text._ZL26flash_attn_combine_resultsILi112EEvPKfPK15HIP_vector_typeIfLj2EEPfi,"axG",@progbits,_ZL26flash_attn_combine_resultsILi112EEvPKfPK15HIP_vector_typeIfLj2EEPfi,comdat
.Lfunc_end23:
	.size	_ZL26flash_attn_combine_resultsILi112EEvPKfPK15HIP_vector_typeIfLj2EEPfi, .Lfunc_end23-_ZL26flash_attn_combine_resultsILi112EEvPKfPK15HIP_vector_typeIfLj2EEPfi
                                        ; -- End function
	.section	.AMDGPU.csdata,"",@progbits
; Kernel info:
; codeLenInByte = 3144
; NumSgprs: 33
; NumVgprs: 51
; NumAgprs: 0
; TotalNumVgprs: 51
; ScratchSize: 0
; MemoryBound: 0
; FloatMode: 240
; IeeeMode: 1
; LDSByteSize: 0 bytes/workgroup (compile time only)
; SGPRBlocks: 4
; VGPRBlocks: 6
; NumSGPRsForWavesPerEU: 33
; NumVGPRsForWavesPerEU: 51
; AccumOffset: 52
; Occupancy: 8
; WaveLimiterHint : 1
; COMPUTE_PGM_RSRC2:SCRATCH_EN: 0
; COMPUTE_PGM_RSRC2:USER_SGPR: 6
; COMPUTE_PGM_RSRC2:TRAP_HANDLER: 0
; COMPUTE_PGM_RSRC2:TGID_X_EN: 1
; COMPUTE_PGM_RSRC2:TGID_Y_EN: 1
; COMPUTE_PGM_RSRC2:TGID_Z_EN: 1
; COMPUTE_PGM_RSRC2:TIDIG_COMP_CNT: 0
; COMPUTE_PGM_RSRC3_GFX90A:ACCUM_OFFSET: 12
; COMPUTE_PGM_RSRC3_GFX90A:TG_SPLIT: 0
	.section	.text._ZL18flash_attn_ext_f16ILi128ELi128ELi64ELi1ELb0ELb0EEvPKcS1_S1_S1_S1_PKiPfP15HIP_vector_typeIfLj2EEffffjfiS5_IjLj3EEiiiiiiiiiiiliiliiiiil,"axG",@progbits,_ZL18flash_attn_ext_f16ILi128ELi128ELi64ELi1ELb0ELb0EEvPKcS1_S1_S1_S1_PKiPfP15HIP_vector_typeIfLj2EEffffjfiS5_IjLj3EEiiiiiiiiiiiliiliiiiil,comdat
	.globl	_ZL18flash_attn_ext_f16ILi128ELi128ELi64ELi1ELb0ELb0EEvPKcS1_S1_S1_S1_PKiPfP15HIP_vector_typeIfLj2EEffffjfiS5_IjLj3EEiiiiiiiiiiiliiliiiiil ; -- Begin function _ZL18flash_attn_ext_f16ILi128ELi128ELi64ELi1ELb0ELb0EEvPKcS1_S1_S1_S1_PKiPfP15HIP_vector_typeIfLj2EEffffjfiS5_IjLj3EEiiiiiiiiiiiliiliiiiil
	.p2align	8
	.type	_ZL18flash_attn_ext_f16ILi128ELi128ELi64ELi1ELb0ELb0EEvPKcS1_S1_S1_S1_PKiPfP15HIP_vector_typeIfLj2EEffffjfiS5_IjLj3EEiiiiiiiiiiiliiliiiiil,@function
_ZL18flash_attn_ext_f16ILi128ELi128ELi64ELi1ELb0ELb0EEvPKcS1_S1_S1_S1_PKiPfP15HIP_vector_typeIfLj2EEffffjfiS5_IjLj3EEiiiiiiiiiiiliiliiiiil: ; @_ZL18flash_attn_ext_f16ILi128ELi128ELi64ELi1ELb0ELb0EEvPKcS1_S1_S1_S1_PKiPfP15HIP_vector_typeIfLj2EEffffjfiS5_IjLj3EEiiiiiiiiiiiliiliiiiil
; %bb.0:
	s_load_dwordx2 s[14:15], s[4:5], 0x80
	s_load_dwordx4 s[60:63], s[4:5], 0x64
	s_add_u32 flat_scratch_lo, s6, s9
	s_addc_u32 flat_scratch_hi, s7, 0
	s_add_u32 s0, s0, s9
	s_addc_u32 s1, s1, 0
	s_waitcnt lgkmcnt(0)
	s_abs_i32 s7, s15
	v_mov_b32_e32 v4, v0
	v_cvt_f32_u32_e32 v0, s7
	s_sub_i32 s10, 0, s7
	s_abs_i32 s9, s61
	s_mov_b32 s23, s8
	v_rcp_iflag_f32_e32 v0, v0
	s_xor_b32 s8, s61, s15
	s_ashr_i32 s8, s8, 31
                                        ; implicit-def: $vgpr253 : SGPR spill to VGPR lane
	s_load_dword s24, s[4:5], 0xd0
	v_mul_f32_e32 v0, 0x4f7ffffe, v0
	v_cvt_u32_f32_e32 v0, v0
	s_mov_b32 s6, 0
	v_cvt_f32_ubyte0_e32 v2, 0
	s_waitcnt lgkmcnt(0)
	v_cvt_f32_u32_e32 v1, s24
	v_readfirstlane_b32 s11, v0
	s_mul_i32 s10, s10, s11
	s_mul_hi_u32 s10, s11, s10
	s_add_i32 s11, s11, s10
	s_mul_hi_u32 s10, s9, s11
	s_mul_i32 s11, s10, s7
	s_sub_i32 s9, s9, s11
	s_add_i32 s12, s10, 1
	s_sub_i32 s11, s9, s7
	s_cmp_ge_u32 s9, s7
	s_cselect_b32 s10, s12, s10
	s_cselect_b32 s9, s11, s9
	s_add_i32 s11, s10, 1
	s_cmp_ge_u32 s9, s7
	s_cselect_b32 s7, s11, s10
	s_add_i32 s9, s14, 63
	s_xor_b32 s7, s7, s8
	s_ashr_i32 s10, s9, 31
	s_sub_i32 s8, s7, s8
	s_lshr_b32 s7, s10, 26
	s_add_i32 s9, s9, s7
	s_add_i32 s7, s60, 63
	s_lshr_b32 s7, s7, 6
	s_ashr_i32 s9, s9, 6
	v_writelane_b32 v253, s7, 0
	v_writelane_b32 v253, s9, 1
	s_mul_i32 s7, s7, s9
	v_writelane_b32 v253, s8, 2
	v_writelane_b32 v253, s7, 3
	s_mul_i32 s7, s7, s8
	s_mov_b32 s8, s14
	v_writelane_b32 v253, s8, 4
	v_writelane_b32 v253, s9, 5
	;; [unrolled: 1-line block ×3, first 2 shown]
	s_mul_i32 s7, s7, s15
	s_mul_i32 s10, s7, s62
	s_ashr_i32 s11, s10, 31
	v_writelane_b32 v253, s7, 7
	s_mul_i32 s7, s11, s23
	s_mul_hi_u32 s8, s10, s23
	s_add_i32 s7, s8, s7
	s_add_u32 s8, s4, 0xd0
	s_addc_u32 s9, s5, 0
	v_writelane_b32 v253, s8, 8
	s_mul_i32 s12, s10, s23
	v_writelane_b32 v253, s9, 9
	s_cmp_lg_u64 s[6:7], 0
	s_cbranch_scc0 .LBB24_2
; %bb.1:
	v_madmk_f32 v0, v2, 0x4f800000, v1
	v_rcp_f32_e32 v0, v0
	s_sub_u32 s6, 0, s24
	s_subb_u32 s13, 0, 0
	s_mov_b64 s[8:9], 0
	v_mul_f32_e32 v0, 0x5f7ffffc, v0
	v_mul_f32_e32 v3, 0x2f800000, v0
	v_trunc_f32_e32 v3, v3
	v_madmk_f32 v0, v3, 0xcf800000, v0
	v_cvt_u32_f32_e32 v3, v3
	v_cvt_u32_f32_e32 v0, v0
	v_readfirstlane_b32 s14, v3
	v_readfirstlane_b32 s15, v0
	s_mul_hi_u32 s17, s6, s15
	s_mul_i32 s18, s6, s14
	s_mul_i32 s16, s13, s15
	s_add_i32 s17, s17, s18
	s_add_i32 s17, s17, s16
	s_mul_i32 s19, s6, s15
	s_mul_hi_u32 s16, s15, s17
	s_mul_i32 s18, s15, s17
	s_mul_hi_u32 s15, s15, s19
	s_add_u32 s15, s15, s18
	s_addc_u32 s16, 0, s16
	s_mul_hi_u32 s20, s14, s19
	s_mul_i32 s19, s14, s19
	s_add_u32 s15, s15, s19
	s_mul_hi_u32 s18, s14, s17
	s_addc_u32 s15, s16, s20
	s_addc_u32 s16, s18, 0
	s_mul_i32 s17, s14, s17
	s_add_u32 s15, s15, s17
	s_addc_u32 s16, 0, s16
	v_add_co_u32_e32 v0, vcc, s15, v0
	s_cmp_lg_u64 vcc, 0
	s_addc_u32 s14, s14, s16
	v_readfirstlane_b32 s16, v0
	s_mul_i32 s15, s6, s14
	s_mul_hi_u32 s17, s6, s16
	s_add_i32 s15, s17, s15
	s_mul_i32 s13, s13, s16
	s_add_i32 s15, s15, s13
	s_mul_i32 s6, s6, s16
	s_mul_hi_u32 s17, s14, s6
	s_mul_i32 s18, s14, s6
	s_mul_i32 s20, s16, s15
	s_mul_hi_u32 s6, s16, s6
	s_mul_hi_u32 s19, s16, s15
	s_add_u32 s6, s6, s20
	s_addc_u32 s16, 0, s19
	s_add_u32 s6, s6, s18
	s_mul_hi_u32 s13, s14, s15
	s_addc_u32 s6, s16, s17
	s_addc_u32 s13, s13, 0
	s_mul_i32 s15, s14, s15
	s_add_u32 s6, s6, s15
	s_addc_u32 s13, 0, s13
	v_add_co_u32_e32 v0, vcc, s6, v0
	s_cmp_lg_u64 vcc, 0
	s_addc_u32 s13, s14, s13
	s_ashr_i32 s14, s7, 31
	s_add_u32 s6, s12, s14
	s_mov_b32 s15, s14
	s_addc_u32 s7, s7, s14
	s_xor_b64 s[6:7], s[6:7], s[14:15]
	v_readfirstlane_b32 s18, v0
	s_mul_i32 s17, s6, s13
	s_mul_hi_u32 s19, s6, s18
	s_mul_hi_u32 s16, s6, s13
	s_add_u32 s17, s19, s17
	s_addc_u32 s16, 0, s16
	s_mul_hi_u32 s20, s7, s18
	s_mul_i32 s18, s7, s18
	s_add_u32 s17, s17, s18
	s_mul_hi_u32 s19, s7, s13
	s_addc_u32 s16, s16, s20
	s_addc_u32 s17, s19, 0
	s_mul_i32 s13, s7, s13
	s_add_u32 s13, s16, s13
	s_addc_u32 s16, 0, s17
	s_add_u32 s17, s13, 1
	s_addc_u32 s18, s16, 0
	s_add_u32 s19, s13, 2
	s_mul_i32 s21, s24, s16
	s_mul_hi_u32 s22, s24, s13
	s_addc_u32 s20, s16, 0
	s_add_i32 s22, s22, s21
	s_mul_i32 s21, s24, s13
	v_mov_b32_e32 v0, s21
	v_sub_co_u32_e32 v0, vcc, s6, v0
	s_cmp_lg_u64 vcc, 0
	s_subb_u32 s6, s7, s22
	v_subrev_co_u32_e32 v3, vcc, s24, v0
	s_cmp_lg_u64 vcc, 0
	s_subb_u32 s7, s6, 0
	v_readfirstlane_b32 s21, v3
	s_cmp_ge_u32 s21, s24
	s_cselect_b32 s21, -1, 0
	s_cmp_eq_u32 s7, 0
	s_cselect_b32 s7, s21, -1
	s_cmp_lg_u32 s7, 0
	s_cselect_b32 s7, s20, s18
	v_readfirstlane_b32 s18, v0
	s_cselect_b32 s17, s19, s17
	s_cmp_ge_u32 s18, s24
	s_cselect_b32 s18, -1, 0
	s_cmp_eq_u32 s6, 0
	s_cselect_b32 s6, s18, -1
	s_cmp_lg_u32 s6, 0
	s_cselect_b32 s7, s7, s16
	s_cselect_b32 s6, s17, s13
	s_xor_b64 s[6:7], s[6:7], s[14:15]
	s_sub_u32 s94, s6, s14
	s_branch .LBB24_3
.LBB24_2:
	s_mov_b64 s[8:9], -1
                                        ; implicit-def: $sgpr94_sgpr95
.LBB24_3:
	s_load_dwordx2 s[6:7], s[4:5], 0x74
	v_cvt_f32_u32_e32 v0, s24
	s_andn2_b64 vcc, exec, s[8:9]
	s_waitcnt lgkmcnt(0)
	v_writelane_b32 v253, s6, 10
	v_writelane_b32 v253, s7, 11
	s_cbranch_vccnz .LBB24_5
; %bb.4:
	v_rcp_iflag_f32_e32 v3, v0
	s_sub_i32 s6, 0, s24
	v_mul_f32_e32 v3, 0x4f7ffffe, v3
	v_cvt_u32_f32_e32 v3, v3
	v_readfirstlane_b32 s7, v3
	s_mul_i32 s6, s6, s7
	s_mul_hi_u32 s6, s7, s6
	s_add_i32 s7, s7, s6
	s_mul_hi_u32 s6, s12, s7
	s_mul_i32 s8, s6, s24
	s_sub_i32 s8, s12, s8
	s_add_i32 s7, s6, 1
	s_sub_i32 s9, s8, s24
	s_cmp_ge_u32 s8, s24
	s_cselect_b32 s6, s7, s6
	s_cselect_b32 s8, s9, s8
	s_add_i32 s7, s6, 1
	s_cmp_ge_u32 s8, s24
	s_cselect_b32 s94, s7, s6
.LBB24_5:
	s_add_i32 s6, s23, 1
	s_mul_i32 s7, s11, s6
	s_mul_hi_u32 s8, s10, s6
	s_add_i32 s9, s8, s7
	s_mov_b32 s8, 0
	s_cmp_lg_u64 s[8:9], 0
	s_mul_i32 s8, s10, s6
	s_cbranch_scc0 .LBB24_7
; %bb.6:
	v_madmk_f32 v1, v2, 0x4f800000, v1
	v_rcp_f32_e32 v1, v1
	s_sub_u32 s10, 0, s24
	s_subb_u32 s11, 0, 0
	s_mov_b64 s[6:7], 0
	v_mul_f32_e32 v1, 0x5f7ffffc, v1
	v_mul_f32_e32 v2, 0x2f800000, v1
	v_trunc_f32_e32 v2, v2
	v_madmk_f32 v1, v2, 0xcf800000, v1
	v_cvt_u32_f32_e32 v2, v2
	v_cvt_u32_f32_e32 v1, v1
	v_readfirstlane_b32 s12, v2
	v_readfirstlane_b32 s13, v1
	s_mul_hi_u32 s15, s10, s13
	s_mul_i32 s16, s10, s12
	s_mul_i32 s14, s11, s13
	s_add_i32 s15, s15, s16
	s_add_i32 s15, s15, s14
	s_mul_i32 s17, s10, s13
	s_mul_hi_u32 s14, s13, s15
	s_mul_i32 s16, s13, s15
	s_mul_hi_u32 s13, s13, s17
	s_add_u32 s13, s13, s16
	s_addc_u32 s14, 0, s14
	s_mul_hi_u32 s18, s12, s17
	s_mul_i32 s17, s12, s17
	s_add_u32 s13, s13, s17
	s_mul_hi_u32 s16, s12, s15
	s_addc_u32 s13, s14, s18
	s_addc_u32 s14, s16, 0
	s_mul_i32 s15, s12, s15
	s_add_u32 s13, s13, s15
	s_addc_u32 s14, 0, s14
	v_add_co_u32_e32 v1, vcc, s13, v1
	s_cmp_lg_u64 vcc, 0
	s_addc_u32 s12, s12, s14
	v_readfirstlane_b32 s14, v1
	s_mul_i32 s13, s10, s12
	s_mul_hi_u32 s15, s10, s14
	s_add_i32 s13, s15, s13
	s_mul_i32 s11, s11, s14
	s_add_i32 s13, s13, s11
	s_mul_i32 s10, s10, s14
	s_mul_hi_u32 s15, s12, s10
	s_mul_i32 s16, s12, s10
	s_mul_i32 s18, s14, s13
	s_mul_hi_u32 s10, s14, s10
	s_mul_hi_u32 s17, s14, s13
	s_add_u32 s10, s10, s18
	s_addc_u32 s14, 0, s17
	s_add_u32 s10, s10, s16
	s_mul_hi_u32 s11, s12, s13
	s_addc_u32 s10, s14, s15
	s_addc_u32 s11, s11, 0
	s_mul_i32 s13, s12, s13
	s_add_u32 s10, s10, s13
	s_addc_u32 s11, 0, s11
	v_add_co_u32_e32 v1, vcc, s10, v1
	s_cmp_lg_u64 vcc, 0
	s_addc_u32 s14, s12, s11
	s_ashr_i32 s10, s9, 31
	s_add_u32 s12, s8, s10
	s_mov_b32 s11, s10
	s_addc_u32 s13, s9, s10
	s_xor_b64 s[12:13], s[12:13], s[10:11]
	v_readfirstlane_b32 s16, v1
	s_mul_i32 s15, s12, s14
	s_mul_hi_u32 s17, s12, s16
	s_mul_hi_u32 s9, s12, s14
	s_add_u32 s15, s17, s15
	s_addc_u32 s9, 0, s9
	s_mul_hi_u32 s18, s13, s16
	s_mul_i32 s16, s13, s16
	s_add_u32 s15, s15, s16
	s_mul_hi_u32 s17, s13, s14
	s_addc_u32 s9, s9, s18
	s_addc_u32 s15, s17, 0
	s_mul_i32 s14, s13, s14
	s_add_u32 s9, s9, s14
	s_addc_u32 s14, 0, s15
	s_add_u32 s15, s9, 1
	s_addc_u32 s16, s14, 0
	s_add_u32 s17, s9, 2
	s_mul_i32 s19, s24, s14
	s_mul_hi_u32 s20, s24, s9
	s_addc_u32 s18, s14, 0
	s_add_i32 s20, s20, s19
	s_mul_i32 s19, s24, s9
	v_mov_b32_e32 v1, s19
	v_sub_co_u32_e32 v1, vcc, s12, v1
	s_cmp_lg_u64 vcc, 0
	s_subb_u32 s12, s13, s20
	v_subrev_co_u32_e32 v2, vcc, s24, v1
	s_cmp_lg_u64 vcc, 0
	s_subb_u32 s13, s12, 0
	v_readfirstlane_b32 s19, v2
	s_cmp_ge_u32 s19, s24
	s_cselect_b32 s19, -1, 0
	s_cmp_eq_u32 s13, 0
	s_cselect_b32 s13, s19, -1
	s_cmp_lg_u32 s13, 0
	s_cselect_b32 s13, s18, s16
	v_readfirstlane_b32 s16, v1
	s_cselect_b32 s15, s17, s15
	s_cmp_ge_u32 s16, s24
	s_cselect_b32 s16, -1, 0
	s_cmp_eq_u32 s12, 0
	s_cselect_b32 s12, s16, -1
	s_cmp_lg_u32 s12, 0
	s_cselect_b32 s13, s13, s14
	s_cselect_b32 s12, s15, s9
	s_xor_b64 s[12:13], s[12:13], s[10:11]
	s_sub_u32 s10, s12, s10
	v_writelane_b32 v253, s10, 15
	v_writelane_b32 v253, s11, 16
	s_branch .LBB24_8
.LBB24_7:
	s_mov_b64 s[6:7], -1
                                        ; implicit-def: $sgpr10_sgpr11
                                        ; kill: killed $sgpr10_sgpr11
.LBB24_8:
	s_load_dwordx2 s[10:11], s[4:5], 0x5c
	v_writelane_b32 v253, s23, 12
	s_andn2_b64 vcc, exec, s[6:7]
	s_waitcnt lgkmcnt(0)
	v_writelane_b32 v253, s10, 13
	v_writelane_b32 v253, s11, 14
	s_cbranch_vccnz .LBB24_10
; %bb.9:
	v_rcp_iflag_f32_e32 v0, v0
	s_sub_i32 s6, 0, s24
	v_mul_f32_e32 v0, 0x4f7ffffe, v0
	v_cvt_u32_f32_e32 v0, v0
	v_readfirstlane_b32 s7, v0
	s_mul_i32 s6, s6, s7
	s_mul_hi_u32 s6, s7, s6
	s_add_i32 s7, s7, s6
	s_mul_hi_u32 s6, s8, s7
	s_mul_i32 s9, s6, s24
	s_sub_i32 s8, s8, s9
	s_add_i32 s7, s6, 1
	s_sub_i32 s9, s8, s24
	s_cmp_ge_u32 s8, s24
	s_cselect_b32 s6, s7, s6
	s_cselect_b32 s8, s9, s8
	s_add_i32 s7, s6, 1
	s_cmp_ge_u32 s8, s24
	s_cselect_b32 s6, s7, s6
	v_writelane_b32 v253, s6, 15
	v_writelane_b32 v253, s7, 16
.LBB24_10:
	s_load_dwordx16 s[36:51], s[4:5], 0x0
	s_load_dwordx4 s[16:19], s[4:5], 0x40
	s_load_dword s6, s[4:5], 0x50
	v_writelane_b32 v253, s24, 17
	s_ashr_i32 s67, s63, 3
	v_bfe_u32 v130, v4, 10, 10
	s_mov_b32 s65, 0
	s_waitcnt lgkmcnt(0)
	v_writelane_b32 v253, s6, 18
	s_load_dwordx2 s[6:7], s[4:5], 0x8c
	s_load_dwordx4 s[8:11], s[4:5], 0x98
	s_load_dwordx2 s[12:13], s[4:5], 0xa8
	s_load_dwordx2 s[52:53], s[4:5], 0xb8
	s_nop 0
	s_load_dwordx2 s[4:5], s[4:5], 0xc8
	v_add_u32_e32 v129, 4, v130
	s_waitcnt lgkmcnt(0)
	s_ashr_i32 s72, s6, 2
	s_ashr_i32 s96, s10, 2
	v_writelane_b32 v253, s12, 19
	v_writelane_b32 v253, s13, 20
	;; [unrolled: 1-line block ×4, first 2 shown]
	v_readlane_b32 s12, v253, 1
	s_abs_i32 s4, s12
	v_cvt_f32_u32_e32 v0, s4
	s_mov_b32 s5, s7
	s_mov_b32 s63, s4
	v_writelane_b32 v253, s4, 23
	v_rcp_iflag_f32_e32 v0, v0
	v_writelane_b32 v253, s5, 24
	s_mov_b64 s[4:5], s[8:9]
	s_mov_b32 s7, s11
	v_mul_f32_e32 v0, 0x4f7ffffe, v0
	v_cvt_u32_f32_e32 v0, v0
	v_writelane_b32 v253, s4, 25
	v_writelane_b32 v253, s5, 26
	;; [unrolled: 1-line block ×4, first 2 shown]
	s_sub_i32 s6, 0, s63
	v_readfirstlane_b32 s7, v0
	s_mul_i32 s6, s6, s7
	s_ashr_i32 s5, s12, 31
	s_mul_hi_u32 s6, s7, s6
	v_writelane_b32 v253, s5, 29
	s_abs_i32 s5, s94
	s_add_i32 s64, s7, s6
	s_mul_hi_u32 s6, s5, s64
	s_mul_i32 s6, s6, s63
	s_sub_i32 s5, s5, s6
	s_ashr_i32 s98, s53, 1
	s_ashr_i32 s4, s94, 31
	s_sub_i32 s6, s5, s63
	s_cmp_ge_u32 s5, s63
	s_cselect_b32 s5, s6, s5
	s_sub_i32 s6, s5, s63
	s_cmp_ge_u32 s5, s63
	s_cselect_b32 s5, s6, s5
	s_xor_b32 s5, s5, s4
	s_sub_i32 s54, s5, s4
	v_readlane_b32 s4, v253, 15
	s_mov_b32 s10, s4
	s_sub_i32 s4, s4, s94
	s_add_i32 s6, s4, s54
	s_min_i32 s4, s12, s6
	v_readlane_b32 s5, v253, 16
	v_writelane_b32 v253, s4, 30
	v_writelane_b32 v253, s36, 31
	;; [unrolled: 1-line block ×11, first 2 shown]
	s_cmp_gt_i32 s10, s94
	v_writelane_b32 v253, s46, 41
	s_cselect_b64 s[8:9], -1, 0
	s_cmp_le_i32 s10, s94
	v_writelane_b32 v253, s47, 42
	s_cselect_b64 s[4:5], -1, 0
	s_cmp_gt_i32 s12, s6
	v_writelane_b32 v253, s48, 43
	s_cselect_b64 s[6:7], -1, 0
	v_writelane_b32 v253, s49, 44
	s_or_b64 s[4:5], s[6:7], s[4:5]
	v_writelane_b32 v253, s50, 45
	s_and_b64 vcc, exec, s[4:5]
	v_writelane_b32 v253, s51, 46
	s_mov_b64 s[6:7], s[18:19]
	s_mov_b32 s5, s17
	v_writelane_b32 v253, s4, 47
	v_cvt_f16_f32_e32 v0, s16
	v_writelane_b32 v253, s5, 48
	v_writelane_b32 v253, s6, 49
	;; [unrolled: 1-line block ×4, first 2 shown]
	v_pack_b32_f16 v131, v0, v0
	v_add_u32_e32 v128, 8, v130
	v_add_u32_e32 v127, 12, v130
	;; [unrolled: 1-line block ×14, first 2 shown]
	v_and_b32_e32 v21, 15, v130
	v_writelane_b32 v253, s53, 52
	buffer_store_dword v4, off, s[0:3], 0 offset:100 ; 4-byte Folded Spill
	s_cbranch_vccnz .LBB24_427
; %bb.11:
	s_cmp_lg_u64 s[42:43], 0
	s_cselect_b64 s[4:5], -1, 0
	v_writelane_b32 v253, s4, 53
	v_writelane_b32 v253, s5, 54
	s_mul_i32 s4, s60, s61
	s_cmp_eq_u64 s[44:45], 0
	v_writelane_b32 v253, s4, 55
	s_cselect_b64 s[4:5], -1, 0
	v_writelane_b32 v253, s4, 56
	v_writelane_b32 v253, s5, 57
	v_cmp_nle_f32_e64 s[4:5], s17, 0
	v_writelane_b32 v253, s4, 58
	s_cmp_lg_u64 s[46:47], 0
	v_writelane_b32 v253, s5, 59
	s_cselect_b64 s[4:5], -1, 0
	v_writelane_b32 v253, s4, 60
	v_and_b32_e32 v34, 0x3ff, v4
	v_writelane_b32 v253, s5, 61
	s_movk_i32 s4, 0x1100
	v_and_b32_e32 v0, 15, v34
	v_lshrrev_b32_e32 v11, 1, v34
	v_mad_u32_u24 v1, v130, s4, 0
	v_mul_u32_u24_e32 v3, 0x110, v0
	v_and_b32_e32 v5, 0x78, v11
	v_mul_i32_i24_e32 v2, 0xffffef90, v130
	v_lshlrev_b32_e32 v36, 1, v34
	v_add3_u32 v132, v1, v3, v5
	v_add3_u32 v133, v1, v2, v36
	v_lshrrev_b32_e32 v1, 4, v34
	v_lshlrev_b32_e32 v2, 2, v34
	v_lshl_add_u32 v134, v130, 2, v1
	v_and_b32_e32 v38, 60, v2
	v_mul_u32_u24_e32 v1, 0x110, v134
	v_lshlrev_b32_e32 v2, 2, v38
	v_add3_u32 v135, 0, v1, v2
	v_mul_lo_u32 v2, s72, v134
	s_lshl_b32 s8, s72, 4
	v_add_u32_e32 v4, s8, v2
	v_add_u32_e32 v6, s8, v4
	v_lshlrev_b32_e32 v18, 4, v130
	v_add_u32_e32 v8, s8, v6
	v_add3_u32 v136, 0, v3, v5
	v_lshrrev_b32_e32 v1, 2, v34
	v_or_b32_e32 v3, v18, v0
	s_movk_i32 s8, 0x90
	v_and_b32_e32 v137, 60, v1
	v_mad_u32_u24 v13, v3, s8, 0
	v_mul_lo_u32 v16, s96, v134
	s_lshl_b32 s8, s96, 4
	v_add_u32_e32 v14, s8, v16
	v_mul_u32_u24_e32 v3, 0x88, v137
	v_add_u32_e32 v12, s8, v14
	v_or_b32_e32 v3, v3, v0
	v_add_u32_e32 v10, s8, v12
	v_lshlrev_b32_e32 v19, 1, v3
	s_add_i32 s8, 0, 0x1100
	v_add_u32_e32 v143, s8, v19
	s_add_i32 s8, 0, 0x2200
	v_add_u32_e32 v144, s8, v19
	;; [unrolled: 2-line block ×7, first 2 shown]
	v_readlane_b32 s8, v253, 12
	v_writelane_b32 v253, s64, 62
	s_lshl_b32 s64, s8, 6
	s_ashr_i32 s99, s98, 31
	s_ashr_i32 s73, s72, 31
	;; [unrolled: 1-line block ×3, first 2 shown]
	s_add_i32 s10, 0, 0x2240
	s_add_i32 s11, 0, 0x3340
	;; [unrolled: 1-line block ×22, first 2 shown]
	s_lshl_b64 s[8:9], s[64:65], 3
	v_or_b32_e32 v140, 3, v1
	s_add_u32 s8, s50, s8
	v_readlane_b32 s43, v253, 7
	v_mul_u32_u24_e32 v1, 0x110, v140
	v_lshlrev_b32_e32 v3, 1, v0
	s_addc_u32 s9, s51, s9
	s_abs_i32 s44, s43
	v_add3_u32 v142, 0, v1, v3
	v_cvt_f32_u32_e32 v1, s44
	v_mul_u32_u24_e32 v5, 0x110, v137
	v_add3_u32 v141, 0, v5, v3
	v_or_b32_e32 v3, v18, v34
	v_rcp_iflag_f32_e32 v1, v1
	v_lshlrev_b32_e32 v3, 3, v3
	v_readlane_b32 s42, v253, 6
	v_add_u32_e32 v150, s10, v19
	v_mul_f32_e32 v1, 0x4f7ffffe, v1
	v_cvt_u32_f32_e32 v1, v1
	v_mov_b32_e32 v5, s9
	v_add_co_u32_e32 v22, vcc, s8, v3
	s_abs_i32 s45, s42
	s_abs_i32 s10, s52
	v_addc_co_u32_e32 v23, vcc, 0, v5, vcc
	v_readfirstlane_b32 s8, v1
	v_cvt_f32_u32_e32 v1, s45
	v_cvt_f32_u32_e32 v5, s10
	v_readlane_b32 s64, v253, 62
	v_readlane_b32 s37, v253, 3
	v_rcp_iflag_f32_e32 v1, v1
	v_rcp_iflag_f32_e32 v5, v5
	v_writelane_b32 v253, s10, 63
	s_sub_i32 s10, 0, s10
	v_mul_f32_e32 v1, 0x4f7ffffe, v1
	v_mul_f32_e32 v5, 0x4f7ffffe, v5
	v_cvt_u32_f32_e32 v1, v1
	v_cvt_u32_f32_e32 v5, v5
	buffer_store_dword v22, off, s[0:3], 0 offset:24 ; 4-byte Folded Spill
	s_nop 0
	buffer_store_dword v23, off, s[0:3], 0 offset:28 ; 4-byte Folded Spill
	v_add_u32_e32 v172, s24, v19
	v_readfirstlane_b32 s9, v1
	v_mul_lo_u32 v1, s10, v5
	v_mul_hi_u32 v1, v5, v1
	v_add_u32_e32 v1, v5, v1
	buffer_store_dword v1, off, s[0:3], 0 offset:16 ; 4-byte Folded Spill
	v_or_b32_e32 v1, 4, v11
	v_and_b32_e32 v1, 0x1fc, v1
	v_add_u32_e32 v163, v13, v1
	s_lshl_b32 s24, s61, 6
                                        ; implicit-def: $vgpr254 : SGPR spill to VGPR lane
	v_add_u32_e32 v1, v18, v34
	v_writelane_b32 v254, s24, 0
	v_mul_u32_u24_e32 v18, 0x110, v1
	v_mad_u32_u24 v1, v130, 52, v1
	s_movk_i32 s24, 0x44
	v_add_u32_e32 v173, s25, v19
	v_lshl_add_u32 v182, v1, 2, 0
	v_mad_u32_u24 v1, v130, s24, v34
	s_movk_i32 s25, 0x1f0
	v_lshl_add_u32 v183, v1, 2, 0
	v_and_or_b32 v1, v125, s25, v21
	v_add_u32_e32 v151, s11, v19
	v_add_u32_e32 v152, s12, v19
	v_add_u32_e32 v153, s13, v19
	v_add_u32_e32 v157, s14, v19
	v_add_u32_e32 v159, s15, v19
	v_add_u32_e32 v160, s16, v19
	v_add_u32_e32 v161, s17, v19
	v_add_u32_e32 v162, s18, v19
	v_add_u32_e32 v166, s19, v19
	v_add_u32_e32 v167, 0, v19
	v_add_u32_e32 v168, s20, v19
	v_add_u32_e32 v169, s22, v19
	v_add3_u32 v170, 0, 32, v19
	v_add3_u32 v171, 0, 64, v19
	v_add_u32_e32 v174, s26, v19
	v_add_u32_e32 v175, s27, v19
	;; [unrolled: 1-line block ×8, first 2 shown]
	v_mul_u32_u24_e32 v19, 0x44, v1
	v_mad_u32_u24 v1, v1, s24, v34
	v_lshl_add_u32 v1, v1, 2, 0
	buffer_store_dword v1, off, s[0:3], 0 offset:104 ; 4-byte Folded Spill
	v_and_or_b32 v1, v121, s25, v21
	s_abs_i32 s46, s37
	v_mul_u32_u24_e32 v20, 0x44, v1
	v_mad_u32_u24 v1, v1, s24, v34
	v_cvt_f32_u32_e32 v3, s46
	v_lshl_add_u32 v1, v1, 2, 0
	buffer_store_dword v1, off, s[0:3], 0 offset:112 ; 4-byte Folded Spill
	v_and_or_b32 v1, v118, s25, v21
	v_mul_u32_u24_e32 v21, 0x44, v1
	v_mad_u32_u24 v1, v1, s24, v34
	s_ashr_i32 s24, s43, 31
	v_lshl_add_u32 v1, v1, 2, 0
	v_writelane_b32 v254, s24, 1
	s_sub_i32 s24, 0, s44
	v_rcp_iflag_f32_e32 v3, v3
	buffer_store_dword v1, off, s[0:3], 0 offset:120 ; 4-byte Folded Spill
	v_mul_u32_u24_e32 v1, 0x44, v130
	s_mul_i32 s24, s24, s8
	v_lshl_add_u32 v1, v1, 2, 0
	s_mul_hi_u32 s24, s8, s24
	buffer_store_dword v1, off, s[0:3], 0 offset:20 ; 4-byte Folded Spill
	v_lshl_add_u32 v1, v19, 2, 0
	v_writelane_b32 v254, s44, 2
	s_add_i32 s8, s8, s24
	v_ashrrev_i32_e32 v17, 31, v16
	buffer_store_dword v1, off, s[0:3], 0 offset:108 ; 4-byte Folded Spill
	v_lshl_add_u32 v1, v20, 2, 0
	v_writelane_b32 v254, s8, 3
	s_ashr_i32 s8, s42, 31
	v_mul_f32_e32 v3, 0x4f7ffffe, v3
	buffer_store_dword v1, off, s[0:3], 0 offset:116 ; 4-byte Folded Spill
	v_lshl_add_u32 v1, v21, 2, 0
	v_writelane_b32 v254, s8, 4
	s_sub_i32 s8, 0, s45
	v_lshlrev_b64 v[42:43], 2, v[16:17]
	v_cvt_u32_f32_e32 v3, v3
	v_ashrrev_i32_e32 v15, 31, v14
	buffer_store_dword v1, off, s[0:3], 0 offset:124 ; 4-byte Folded Spill
	s_mul_i32 s8, s8, s9
	v_mov_b32_e32 v1, s41
	v_add_co_u32_e32 v16, vcc, s40, v42
	v_add_u32_e32 v139, 16, v137
	v_add_u32_e32 v156, 32, v137
	;; [unrolled: 1-line block ×3, first 2 shown]
	s_mul_hi_u32 s8, s9, s8
	v_addc_co_u32_e32 v1, vcc, v1, v43, vcc
	v_lshlrev_b64 v[44:45], 2, v[14:15]
	v_lshl_add_u32 v138, v137, 1, v13
	v_lshl_add_u32 v154, v139, 1, v13
	;; [unrolled: 1-line block ×4, first 2 shown]
	v_ashrrev_i32_e32 v13, 31, v12
	v_writelane_b32 v254, s45, 5
	s_add_i32 s8, s9, s8
	buffer_store_dword v1, off, s[0:3], 0 offset:36 ; 4-byte Folded Spill
	v_mov_b32_e32 v1, s41
	v_add_co_u32_e32 v14, vcc, s40, v44
	v_writelane_b32 v254, s8, 6
	s_ashr_i32 s8, s37, 31
	v_addc_co_u32_e32 v1, vcc, v1, v45, vcc
	v_lshlrev_b64 v[46:47], 2, v[12:13]
	v_readfirstlane_b32 s36, v3
	v_ashrrev_i32_e32 v11, 31, v10
	v_writelane_b32 v254, s8, 7
	s_sub_i32 s8, 0, s46
	buffer_store_dword v1, off, s[0:3], 0 offset:44 ; 4-byte Folded Spill
	v_mov_b32_e32 v1, s41
	v_add_co_u32_e32 v12, vcc, s40, v46
	s_mul_i32 s8, s8, s36
	v_addc_co_u32_e32 v1, vcc, v1, v47, vcc
	v_lshlrev_b64 v[48:49], 2, v[10:11]
	v_ashrrev_i32_e32 v3, 31, v2
	s_mul_hi_u32 s8, s36, s8
	buffer_store_dword v1, off, s[0:3], 0 offset:52 ; 4-byte Folded Spill
	v_mov_b32_e32 v1, s41
	v_add_co_u32_e32 v10, vcc, s40, v48
	v_writelane_b32 v254, s46, 8
	s_add_i32 s8, s36, s8
	v_addc_co_u32_e32 v1, vcc, v1, v49, vcc
	v_lshlrev_b64 v[50:51], 2, v[2:3]
	v_ashrrev_i32_e32 v5, 31, v4
	v_writelane_b32 v254, s8, 9
	buffer_store_dword v1, off, s[0:3], 0 offset:60 ; 4-byte Folded Spill
	v_mov_b32_e32 v1, s39
	v_add_co_u32_e32 v2, vcc, s38, v50
	v_cmp_gt_u32_e64 s[8:9], 16, v34
	v_addc_co_u32_e32 v1, vcc, v1, v51, vcc
	v_lshlrev_b64 v[52:53], 2, v[4:5]
	v_writelane_b32 v254, s8, 10
	v_ashrrev_i32_e32 v7, 31, v6
	buffer_store_dword v2, off, s[0:3], 0 offset:64 ; 4-byte Folded Spill
	buffer_store_dword v1, off, s[0:3], 0 offset:68 ; 4-byte Folded Spill
	v_mov_b32_e32 v1, s39
	v_add_co_u32_e32 v2, vcc, s38, v52
	v_writelane_b32 v254, s9, 11
	s_lshl_b64 s[8:9], s[98:99], 1
	v_addc_co_u32_e32 v1, vcc, v1, v53, vcc
	v_lshlrev_b64 v[54:55], 2, v[6:7]
	v_writelane_b32 v254, s8, 12
	v_ashrrev_i32_e32 v9, 31, v8
	buffer_store_dword v2, off, s[0:3], 0 offset:72 ; 4-byte Folded Spill
	buffer_store_dword v1, off, s[0:3], 0 offset:76 ; 4-byte Folded Spill
	v_mov_b32_e32 v1, s39
	v_add_co_u32_e32 v2, vcc, s38, v54
	v_writelane_b32 v254, s9, 13
	v_addc_co_u32_e32 v1, vcc, v1, v55, vcc
	v_lshlrev_b64 v[56:57], 2, v[8:9]
	s_lshl_b64 s[68:69], s[96:97], 8
	v_writelane_b32 v254, s96, 14
	buffer_store_dword v2, off, s[0:3], 0 offset:80 ; 4-byte Folded Spill
	buffer_store_dword v1, off, s[0:3], 0 offset:84 ; 4-byte Folded Spill
	v_mov_b32_e32 v1, s39
	v_add_co_u32_e32 v2, vcc, s38, v56
	v_writelane_b32 v254, s97, 15
	s_mov_b32 s8, s98
	v_addc_co_u32_e32 v1, vcc, v1, v57, vcc
	v_writelane_b32 v254, s8, 16
	buffer_store_dword v1, off, s[0:3], 0 offset:92 ; 4-byte Folded Spill
	v_add_u32_e32 v1, 0, v18
	v_writelane_b32 v254, s9, 17
	s_movk_i32 s16, 0x100
	s_movk_i32 s18, 0xc0
	;; [unrolled: 1-line block ×3, first 2 shown]
	buffer_store_dword v1, off, s[0:3], 0 offset:96 ; 4-byte Folded Spill
	v_mbcnt_lo_u32_b32 v1, -1, 0
	v_writelane_b32 v254, s63, 18
	v_cmp_gt_u32_e64 s[4:5], 64, v34
	v_cmp_lt_u32_e64 s[6:7], 63, v34
	s_mov_b32 s66, 0
	v_cmp_gt_u32_e64 s[56:57], 64, v134
	v_cmp_gt_u32_e64 s[10:11], 48, v134
	;; [unrolled: 1-line block ×8, first 2 shown]
	s_mov_b32 s61, 0x42b17218
	s_mov_b32 s74, 0x3fb8aa3b
	;; [unrolled: 1-line block ×3, first 2 shown]
	v_mbcnt_hi_u32_b32 v208, -1, v1
	v_mov_b32_e32 v209, 0
	v_add_u32_e32 v210, 0x240, v133
	v_add_u32_e32 v211, 0x480, v133
	;; [unrolled: 1-line block ×24, first 2 shown]
	v_or_b32_e32 v234, 1, v137
	v_or_b32_e32 v235, 2, v137
	v_add_u32_e32 v236, 17, v137
	v_add_u32_e32 v237, 19, v137
	;; [unrolled: 1-line block ×9, first 2 shown]
	v_lshlrev_b32_e32 v58, 4, v0
	v_mov_b32_e32 v247, 0x7f800000
	v_mov_b32_e32 v248, 0x7fc00000
	s_mov_b32 s62, 0x5040100
	v_cmp_gt_u32_e64 s[24:25], 45, v137
	v_cmp_gt_u32_e64 s[26:27], s33, v34
	;; [unrolled: 1-line block ×8, first 2 shown]
	s_lshl_b64 s[70:71], s[72:73], 8
	s_mov_b32 s97, 0xc1a00000
	v_writelane_b32 v254, s67, 19
	buffer_store_dword v16, off, s[0:3], 0 offset:32 ; 4-byte Folded Spill
	buffer_store_dword v14, off, s[0:3], 0 offset:40 ; 4-byte Folded Spill
	;; [unrolled: 1-line block ×5, first 2 shown]
	s_branch .LBB24_13
.LBB24_12:                              ;   in Loop: Header=BB24_13 Depth=1
	s_or_b64 exec, exec, s[42:43]
	v_readlane_b32 s44, v253, 1
	s_add_i32 s8, s94, s44
	s_abs_i32 s42, s8
	s_mul_hi_u32 s43, s42, s64
	s_mul_i32 s43, s43, s63
	s_sub_i32 s42, s42, s43
	s_ashr_i32 s9, s8, 31
	s_sub_i32 s43, s42, s63
	s_cmp_ge_u32 s42, s63
	s_cselect_b32 s42, s43, s42
	s_sub_i32 s43, s42, s63
	s_cmp_ge_u32 s42, s63
	s_cselect_b32 s42, s43, s42
	s_xor_b32 s42, s42, s9
	s_sub_i32 s9, s9, s42
	s_add_i32 s94, s8, s9
	v_readlane_b32 s8, v253, 15
	v_readlane_b32 s9, v253, 16
	s_sub_i32 s42, s8, s94
	s_min_i32 s9, s44, s42
	s_cmp_gt_i32 s8, s94
	v_writelane_b32 v253, s9, 30
	s_cselect_b64 s[8:9], -1, 0
	s_cmp_le_i32 s44, s42
	s_cselect_b64 s[42:43], -1, 0
	s_and_b64 s[42:43], s[42:43], s[8:9]
	s_mov_b32 s54, 0
	s_and_b64 vcc, exec, s[42:43]
	s_cbranch_vccz .LBB24_427
.LBB24_13:                              ; =>This Loop Header: Depth=1
                                        ;     Child Loop BB24_88 Depth 2
                                        ;     Child Loop BB24_300 Depth 2
	s_ashr_i32 s8, s94, 31
	v_readlane_b32 s9, v254, 1
	s_xor_b32 s8, s8, s9
	s_abs_i32 s9, s94
	v_readlane_b32 s42, v254, 3
	s_mul_hi_u32 s42, s9, s42
	v_readlane_b32 s45, v254, 2
	s_mul_i32 s43, s42, s45
	s_sub_i32 s9, s9, s43
	s_add_i32 s43, s42, 1
	s_sub_i32 s44, s9, s45
	s_cmp_ge_u32 s9, s45
	s_cselect_b32 s42, s43, s42
	s_cselect_b32 s9, s44, s9
	s_add_i32 s43, s42, 1
	s_cmp_ge_u32 s9, s45
	s_cselect_b32 s9, s43, s42
	s_xor_b32 s9, s9, s8
	s_sub_i32 s48, s9, s8
	v_readlane_b32 s8, v253, 53
	v_readlane_b32 s9, v253, 54
	s_andn2_b64 vcc, exec, s[8:9]
	s_ashr_i32 s49, s48, 31
	s_cbranch_vccnz .LBB24_15
; %bb.14:                               ;   in Loop: Header=BB24_13 Depth=1
	buffer_load_dword v0, off, s[0:3], 0 offset:16 ; 4-byte Folded Reload
	s_abs_i32 s8, s48
	v_readlane_b32 s9, v253, 63
	v_readlane_b32 s76, v253, 31
	;; [unrolled: 1-line block ×17, first 2 shown]
	s_waitcnt vmcnt(0)
	v_mul_hi_u32 v0, s8, v0
	v_mul_lo_u32 v0, v0, s9
	v_sub_u32_e32 v0, s8, v0
	v_subrev_u32_e32 v1, s9, v0
	v_cmp_le_u32_e32 vcc, s9, v0
	v_cndmask_b32_e32 v0, v0, v1, vcc
	v_subrev_u32_e32 v1, s9, v0
	v_cmp_le_u32_e32 vcc, s9, v0
	v_cndmask_b32_e32 v0, v0, v1, vcc
	v_xor_b32_e32 v0, s49, v0
	v_readlane_b32 s8, v253, 21
	v_subrev_u32_e32 v0, s49, v0
	v_readlane_b32 s9, v253, 22
	v_ashrrev_i32_e32 v1, 31, v0
	v_mul_lo_u32 v2, v0, s9
	v_mul_hi_u32 v3, v0, s8
	v_add_u32_e32 v2, v3, v2
	v_mul_lo_u32 v1, v1, s8
	v_mul_lo_u32 v0, v0, s8
	v_add_u32_e32 v1, v2, v1
	v_mov_b32_e32 v2, s83
	v_add_co_u32_e32 v62, vcc, s82, v0
	v_addc_co_u32_e32 v63, vcc, v2, v1, vcc
	s_branch .LBB24_16
.LBB24_15:                              ;   in Loop: Header=BB24_13 Depth=1
	v_pk_mov_b32 v[62:63], 0, 0
.LBB24_16:                              ;   in Loop: Header=BB24_13 Depth=1
	v_readlane_b32 s8, v253, 7
	s_mul_i32 s8, s48, s8
	s_sub_i32 s8, s94, s8
	s_ashr_i32 s9, s8, 31
	v_readlane_b32 s42, v254, 4
	s_xor_b32 s9, s9, s42
	s_abs_i32 s42, s8
	v_readlane_b32 s43, v254, 6
	s_mul_hi_u32 s43, s42, s43
	v_readlane_b32 s46, v254, 5
	s_mul_i32 s44, s43, s46
	s_sub_i32 s42, s42, s44
	s_add_i32 s44, s43, 1
	s_sub_i32 s45, s42, s46
	s_cmp_ge_u32 s42, s46
	s_cselect_b32 s43, s44, s43
	s_cselect_b32 s42, s45, s42
	s_add_i32 s44, s43, 1
	s_cmp_ge_u32 s42, s46
	s_cselect_b32 s42, s44, s43
	s_xor_b32 s42, s42, s9
	s_sub_i32 s50, s42, s9
	v_readlane_b32 s9, v253, 6
	s_mul_i32 s9, s50, s9
	s_sub_i32 s9, s8, s9
	s_ashr_i32 s8, s9, 31
	v_readlane_b32 s42, v254, 7
	s_xor_b32 s8, s8, s42
	s_abs_i32 s42, s9
	v_readlane_b32 s43, v254, 9
	s_mul_hi_u32 s43, s42, s43
	v_readlane_b32 s46, v254, 8
	s_mul_i32 s44, s43, s46
	s_sub_i32 s42, s42, s44
	s_add_i32 s44, s43, 1
	s_sub_i32 s45, s42, s46
	s_cmp_ge_u32 s42, s46
	s_cselect_b32 s43, s44, s43
	s_cselect_b32 s42, s45, s42
	s_add_i32 s44, s43, 1
	s_cmp_ge_u32 s42, s46
	s_cselect_b32 s42, s44, s43
	s_xor_b32 s42, s42, s8
	s_sub_i32 s51, s42, s8
	v_readlane_b32 s8, v253, 2
	v_readlane_b32 s42, v253, 58
	s_mul_i32 s8, s50, s8
	v_readlane_b32 s43, v253, 59
	s_add_i32 s8, s8, s51
	s_andn2_b64 vcc, exec, s[42:43]
	v_mov_b32_e32 v40, 1.0
	s_cbranch_vccnz .LBB24_18
; %bb.17:                               ;   in Loop: Header=BB24_13 Depth=1
	v_readlane_b32 s43, v253, 18
	s_sub_i32 s42, s8, s43
	s_lshl_b32 s42, s42, 1
	s_add_i32 s44, s8, 1
	s_or_b32 s45, s42, 1
	s_cmp_lt_u32 s8, s43
	v_readlane_b32 s76, v253, 47
	s_cselect_b64 vcc, -1, 0
	v_readlane_b32 s78, v253, 49
	v_readlane_b32 s79, v253, 50
	s_and_b64 s[42:43], vcc, exec
	v_mov_b32_e32 v0, s79
	v_mov_b32_e32 v1, s78
	s_cselect_b32 s42, s44, s45
	v_cndmask_b32_e32 v16, v0, v1, vcc
	v_cvt_f32_i32_e32 v0, s42
	v_cmp_neq_f32_e32 vcc, 1.0, v16
	s_mov_b32 s42, 0x3f2aaaab
	s_movk_i32 s44, 0x204
	v_cndmask_b32_e32 v17, 1.0, v0, vcc
	v_cmp_eq_f32_e32 vcc, 0, v17
	v_cndmask_b32_e64 v18, |v16|, 1.0, vcc
	v_frexp_mant_f32_e32 v0, v18
	v_cmp_gt_f32_e64 s[42:43], s42, v0
	v_cndmask_b32_e64 v1, 1.0, 2.0, s[42:43]
	v_mul_f32_e32 v0, v0, v1
	v_add_f32_e32 v3, 1.0, v0
	v_rcp_f32_e32 v8, v3
	v_add_f32_e32 v1, -1.0, v3
	v_sub_f32_e32 v5, v0, v1
	v_add_f32_e32 v1, -1.0, v0
	v_mul_f32_e32 v9, v1, v8
	v_mul_f32_e32 v2, v3, v9
	v_fma_f32 v4, v9, v3, -v2
	v_fmac_f32_e32 v4, v9, v5
	v_add_f32_e32 v0, v2, v4
	v_sub_f32_e32 v3, v1, v0
	v_pk_add_f32 v[6:7], v[0:1], v[2:3] neg_lo:[0,1] neg_hi:[0,1]
	v_mov_b32_e32 v5, v0
	v_pk_add_f32 v[0:1], v[6:7], v[4:5] neg_lo:[0,1] neg_hi:[0,1]
	v_add_f32_e32 v0, v0, v1
	v_add_f32_e32 v0, v3, v0
	v_mul_f32_e32 v1, v8, v0
	v_add_f32_e32 v0, v9, v1
	v_sub_f32_e32 v2, v0, v9
	v_sub_f32_e32 v10, v1, v2
	v_mul_f32_e32 v1, v0, v0
	v_fma_f32 v3, v0, v0, -v1
	v_add_f32_e32 v2, v10, v10
	v_fmac_f32_e32 v3, v0, v2
	v_add_f32_e32 v2, v1, v3
	v_mov_b32_e32 v4, 0x3e91f4c4
	v_fmac_f32_e32 v4, 0x3e76c4e1, v2
	v_mov_b32_e32 v5, 0x3ecccdef
	v_fma_f32 v4, v2, v4, v5
	v_sub_f32_e32 v1, v2, v1
	v_sub_f32_e32 v11, v3, v1
	v_mul_f32_e32 v1, v2, v4
	v_fma_f32 v3, v2, v4, -v1
	v_fmac_f32_e32 v3, v11, v4
	v_add_f32_e32 v4, v1, v3
	v_add_f32_e32 v5, 0x3f2aaaaa, v4
	v_sub_f32_e32 v1, v4, v1
	v_sub_f32_e32 v1, v3, v1
	v_add_f32_e32 v3, 0xbf2aaaaa, v5
	v_add_f32_e32 v1, 0x31739010, v1
	v_sub_f32_e32 v3, v4, v3
	v_pk_mul_f32 v[6:7], v[0:1], v[2:3]
	v_fma_f32 v4, v2, v0, -v6
	v_pk_add_f32 v[8:9], v[0:1], v[2:3]
	v_fmac_f32_e32 v4, v2, v10
	v_mov_b32_e32 v7, v9
	v_fmac_f32_e32 v4, v11, v0
	v_pk_add_f32 v[2:3], v[6:7], v[4:5]
	v_sub_f32_e32 v1, v2, v6
	v_sub_f32_e32 v1, v4, v1
	;; [unrolled: 1-line block ×3, first 2 shown]
	v_add_f32_e32 v8, v9, v4
	v_mov_b32_e32 v4, v3
	v_pk_mul_f32 v[4:5], v[2:3], v[4:5]
	v_cvt_f64_f32_e32 v[6:7], v18
	v_frexp_exp_i32_f64_e32 v5, v[6:7]
	v_subbrev_co_u32_e64 v5, s[42:43], 0, v5, s[42:43]
	v_cvt_f32_i32_e32 v5, v5
	v_fma_f32 v6, v2, v3, -v4
	v_fmac_f32_e32 v6, v2, v8
	s_mov_b32 s42, 0x3f317218
	v_mul_f32_e32 v2, 0x3f317218, v5
	v_fmac_f32_e32 v6, v1, v3
	v_fma_f32 v8, v5, s42, -v2
	v_fmac_f32_e32 v8, 0xb102e308, v5
	v_ldexp_f32 v9, v0, 1
	v_add_f32_e32 v3, v4, v6
	v_pk_add_f32 v[0:1], v[2:3], v[8:9]
	v_ldexp_f32 v12, v10, 1
	v_mov_b32_e32 v10, v3
	v_mov_b32_e32 v11, v1
	;; [unrolled: 1-line block ×3, first 2 shown]
	v_pk_add_f32 v[4:5], v[10:11], v[4:5] neg_lo:[0,1] neg_hi:[0,1]
	v_mov_b32_e32 v7, v3
	v_pk_add_f32 v[4:5], v[6:7], v[4:5] neg_lo:[0,1] neg_hi:[0,1]
	v_add_f32_e32 v3, v12, v4
	v_add_f32_e32 v3, v3, v5
	v_pk_add_f32 v[4:5], v[0:1], v[2:3] neg_lo:[0,1] neg_hi:[0,1]
	v_pk_add_f32 v[6:7], v[0:1], v[2:3]
	v_mov_b32_e32 v10, v4
	v_mov_b32_e32 v11, v7
	;; [unrolled: 1-line block ×3, first 2 shown]
	v_pk_add_f32 v[10:11], v[8:9], v[10:11]
	v_mov_b32_e32 v2, v11
	v_pk_add_f32 v[12:13], v[2:3], v[0:1] neg_lo:[0,1] neg_hi:[0,1]
	v_mov_b32_e32 v13, v12
	v_mov_b32_e32 v10, v7
	;; [unrolled: 1-line block ×4, first 2 shown]
	v_pk_add_f32 v[4:5], v[8:9], v[4:5] neg_lo:[0,1] neg_hi:[0,1]
	v_pk_add_f32 v[14:15], v[6:7], v[12:13] neg_lo:[0,1] neg_hi:[0,1]
	v_pk_add_f32 v[0:1], v[10:11], v[0:1] neg_lo:[0,1] neg_hi:[0,1]
	v_mov_b32_e32 v8, v3
	v_pk_add_f32 v[0:1], v[8:9], v[0:1] neg_lo:[0,1] neg_hi:[0,1]
	v_mov_b32_e32 v14, v4
	v_pk_add_f32 v[6:7], v[14:15], v[0:1]
	v_mov_b32_e32 v8, v7
	v_pk_add_f32 v[8:9], v[6:7], v[8:9]
	v_pk_add_f32 v[2:3], v[2:3], v[8:9]
	v_mov_b32_e32 v5, v11
	v_mov_b32_e32 v7, v2
	v_pk_add_f32 v[10:11], v[6:7], v[4:5] neg_lo:[0,1] neg_hi:[0,1]
	v_mov_b32_e32 v1, v8
	v_sub_f32_e32 v3, v6, v10
	v_pk_add_f32 v[0:1], v[0:1], v[10:11] neg_lo:[0,1] neg_hi:[0,1]
	v_sub_f32_e32 v3, v4, v3
	v_add_f32_e32 v0, v0, v3
	v_add_f32_e32 v0, v0, v1
	;; [unrolled: 1-line block ×3, first 2 shown]
	v_sub_f32_e32 v2, v1, v2
	v_sub_f32_e32 v0, v0, v2
	v_mul_f32_e32 v2, v17, v1
	v_fma_f32 v1, v17, v1, -v2
	v_fmac_f32_e32 v1, v17, v0
	v_add_f32_e32 v0, v2, v1
	v_cmp_class_f32_e64 s[42:43], v2, s44
	v_sub_f32_e32 v3, v0, v2
	v_cndmask_b32_e64 v0, v0, v2, s[42:43]
	v_cmp_eq_f32_e64 s[42:43], s61, v0
	v_mov_b32_e32 v2, 0x37000000
	v_cndmask_b32_e64 v2, 0, v2, s[42:43]
	v_sub_f32_e32 v1, v1, v3
	v_sub_f32_e32 v3, v0, v2
	v_mul_f32_e32 v4, 0x3fb8aa3b, v3
	v_fma_f32 v5, v3, s74, -v4
	v_rndne_f32_e32 v6, v4
	v_fmac_f32_e32 v5, 0x32a5705f, v3
	v_sub_f32_e32 v4, v4, v6
	v_add_f32_e32 v4, v4, v5
	v_exp_f32_e32 v4, v4
	v_cvt_i32_f32_e32 v5, v6
	s_mov_b32 s45, 0x7f800000
	v_cmp_neq_f32_e64 s[42:43], |v0|, s45
	v_cndmask_b32_e64 v0, 0, v1, s[42:43]
	v_ldexp_f32 v1, v4, v5
	v_cmp_ngt_f32_e64 s[42:43], s75, v3
	v_cndmask_b32_e64 v1, 0, v1, s[42:43]
	v_cmp_nlt_f32_e64 s[42:43], s61, v3
	v_add_f32_e32 v0, v2, v0
	v_cndmask_b32_e64 v1, v247, v1, s[42:43]
	v_fma_f32 v0, v1, v0, v1
	v_cmp_class_f32_e64 s[42:43], v1, s44
	v_trunc_f32_e32 v2, v17
	v_cndmask_b32_e64 v0, v0, v1, s[42:43]
	v_cndmask_b32_e64 v1, v16, 1.0, vcc
	v_cmp_eq_f32_e32 vcc, v2, v17
	v_mul_f32_e32 v2, 0.5, v17
	v_trunc_f32_e32 v3, v2
	v_cmp_neq_f32_e64 s[42:43], v3, v2
	s_and_b64 s[42:43], vcc, s[42:43]
	v_cndmask_b32_e64 v2, 1.0, v1, s[42:43]
	s_brev_b32 s52, -2
	v_bfi_b32 v0, s52, v0, v2
	v_cndmask_b32_e32 v2, v248, v0, vcc
	v_cmp_gt_f32_e32 vcc, 0, v1
	v_cndmask_b32_e32 v0, v0, v2, vcc
	v_cmp_eq_f32_e32 vcc, s45, v18
	v_cmp_eq_f32_e64 s[44:45], 0, v1
	v_cmp_gt_f32_e64 s[46:47], 0, v17
	s_xor_b64 s[46:47], s[46:47], s[44:45]
	v_cndmask_b32_e64 v2, v247, 0, s[46:47]
	v_cndmask_b32_e64 v3, 0, v1, s[42:43]
	v_bfi_b32 v2, s52, v2, v3
	s_or_b64 vcc, vcc, s[44:45]
	v_cndmask_b32_e32 v0, v0, v2, vcc
	v_cmp_o_f32_e32 vcc, v1, v1
	v_cndmask_b32_e32 v40, v248, v0, vcc
	v_readlane_b32 s77, v253, 48
.LBB24_18:                              ;   in Loop: Header=BB24_13 Depth=1
	v_readlane_b32 s42, v253, 3
	s_mul_i32 s51, s51, s42
	s_sub_i32 s9, s9, s51
	s_ashr_i32 s42, s9, 31
	v_readlane_b32 s43, v253, 29
	s_abs_i32 s9, s9
	s_xor_b32 s42, s42, s43
	s_mul_hi_u32 s43, s9, s64
	s_mul_i32 s44, s43, s63
	s_sub_i32 s9, s9, s44
	s_add_i32 s44, s43, 1
	s_sub_i32 s45, s9, s63
	s_cmp_ge_u32 s9, s63
	s_cselect_b32 s43, s44, s43
	s_cselect_b32 s9, s45, s9
	s_add_i32 s44, s43, 1
	s_cmp_ge_u32 s9, s63
	s_cselect_b32 s9, s44, s43
	v_readlane_b32 s44, v253, 60
	s_xor_b32 s9, s9, s42
	v_readlane_b32 s45, v253, 61
	s_andn2_b64 vcc, exec, s[44:45]
	s_sub_i32 s51, s9, s42
	s_cbranch_vccnz .LBB24_20
; %bb.19:                               ;   in Loop: Header=BB24_13 Depth=1
	v_readlane_b32 s9, v253, 0
	s_mul_i32 s9, s48, s9
	s_add_i32 s42, s51, s9
	s_ashr_i32 s43, s42, 31
	v_readlane_b32 s76, v253, 31
	s_lshl_b64 s[42:43], s[42:43], 2
	v_readlane_b32 s86, v253, 41
	v_readlane_b32 s87, v253, 42
	s_add_u32 s42, s86, s42
	s_addc_u32 s43, s87, s43
	global_load_dword v0, v209, s[42:43]
	v_readlane_b32 s77, v253, 32
	v_readlane_b32 s78, v253, 33
	;; [unrolled: 1-line block ×13, first 2 shown]
	s_waitcnt vmcnt(0)
	v_readfirstlane_b32 s9, v0
	s_ashr_i32 s42, s9, 31
	s_lshr_b32 s42, s42, 26
	s_add_i32 s9, s9, s42
	s_ashr_i32 s9, s9, 6
	v_readlane_b32 s42, v253, 30
	s_min_i32 s42, s42, s9
	v_writelane_b32 v253, s42, 30
	s_branch .LBB24_21
.LBB24_20:                              ;   in Loop: Header=BB24_13 Depth=1
	v_readlane_b32 s76, v253, 31
	v_readlane_b32 s77, v253, 32
	;; [unrolled: 1-line block ×16, first 2 shown]
.LBB24_21:                              ;   in Loop: Header=BB24_13 Depth=1
	v_readlane_b32 s9, v253, 55
	s_mul_i32 s9, s9, s48
	s_add_i32 s9, s8, s9
	s_lshl_b32 s64, s9, 6
	s_lshl_b64 s[42:43], s[64:65], 3
	s_add_u32 s99, s88, s42
	v_readlane_b32 s44, v253, 19
	s_addc_u32 s9, s89, s43
	v_readlane_b32 s45, v253, 20
	v_writelane_b32 v254, s9, 20
	s_mul_i32 s9, s48, s45
	s_mul_hi_u32 s42, s48, s44
	s_add_i32 s9, s42, s9
	s_mul_i32 s42, s49, s44
	s_add_i32 s42, s9, s42
	s_mul_i32 s9, s48, s44
	v_readlane_b32 s44, v253, 25
	v_readlane_b32 s47, v253, 28
	v_writelane_b32 v254, s9, 21
	s_add_u32 s9, s80, s9
	v_readlane_b32 s45, v253, 26
	s_mul_i32 s43, s50, s47
	v_writelane_b32 v254, s42, 22
	s_addc_u32 s42, s81, s42
	s_mov_b64 s[52:53], s[44:45]
	s_ashr_i32 s44, s43, 31
	v_writelane_b32 v254, s43, 23
	s_add_u32 s9, s9, s43
	v_writelane_b32 v254, s9, 24
	v_writelane_b32 v254, s44, 25
	s_addc_u32 s9, s42, s44
	v_writelane_b32 v254, s9, 26
	s_ashr_i32 s9, s8, 31
	s_lshl_b64 s[42:43], s[8:9], 2
	s_add_u32 s9, s84, s42
	s_addc_u32 s44, s85, s43
	v_readlane_b32 s42, v253, 56
	v_readlane_b32 s43, v253, 57
	s_and_b64 s[42:43], s[42:43], exec
	s_cselect_b32 s43, 0, s44
	v_readlane_b32 s44, v253, 10
	s_cselect_b32 s42, 0, s9
	v_readlane_b32 s45, v253, 11
	v_writelane_b32 v254, s42, 27
	s_mul_i32 s9, s48, s45
	v_writelane_b32 v254, s43, 28
	s_ashr_i32 s42, s9, 31
	s_add_u32 s9, s76, s9
	s_mul_i32 s8, s8, s44
	s_addc_u32 s42, s77, s42
	s_ashr_i32 s43, s8, 31
	s_add_u32 s64, s9, s8
	s_mul_i32 s8, s48, s53
	s_mul_hi_u32 s9, s48, s52
	s_addc_u32 s63, s42, s43
	s_add_i32 s8, s9, s8
	s_mul_i32 s49, s49, s52
	v_readlane_b32 s42, v253, 23
	s_add_i32 s9, s8, s49
	s_mul_i32 s8, s48, s52
	v_readlane_b32 s43, v253, 24
	v_writelane_b32 v254, s8, 29
	s_add_u32 s8, s78, s8
	s_mul_i32 s42, s50, s43
	v_writelane_b32 v254, s9, 30
	s_addc_u32 s9, s79, s9
	s_ashr_i32 s43, s42, 31
	v_writelane_b32 v254, s42, 31
	s_add_u32 s8, s8, s42
	v_writelane_b32 v254, s8, 32
	v_writelane_b32 v254, s43, 33
	s_addc_u32 s8, s9, s43
	v_writelane_b32 v254, s8, 34
	s_mov_b32 s8, s94
	v_writelane_b32 v254, s8, 35
	v_writelane_b32 v254, s9, 36
	s_cmp_lg_u32 s54, 0
	v_writelane_b32 v254, s51, 37
	v_readlane_b32 s46, v253, 27
                                        ; implicit-def: $vgpr255 : SGPR spill to VGPR lane
	s_cbranch_scc0 .LBB24_102
; %bb.22:                               ;   in Loop: Header=BB24_13 Depth=1
	s_lshl_b32 s42, s51, 6
	v_add_u32_e32 v107, s42, v130
	v_cmp_gt_i32_e64 s[8:9], s60, v107
	v_writelane_b32 v255, s8, 7
	v_writelane_b32 v255, s9, 8
	v_cmp_le_i32_e32 vcc, s60, v107
	s_and_saveexec_b64 s[8:9], vcc
	s_xor_b64 s[8:9], exec, s[8:9]
	s_cbranch_execz .LBB24_24
; %bb.23:                               ;   in Loop: Header=BB24_13 Depth=1
	ds_write_b32 v182, v209
.LBB24_24:                              ;   in Loop: Header=BB24_13 Depth=1
	s_or_saveexec_b64 s[8:9], s[8:9]
	v_readlane_b32 s48, v254, 24
	v_readlane_b32 s49, v254, 26
	;; [unrolled: 1-line block ×4, first 2 shown]
	s_xor_b64 exec, exec, s[8:9]
	s_cbranch_execz .LBB24_26
; %bb.25:                               ;   in Loop: Header=BB24_13 Depth=1
	v_mad_u64_u32 v[0:1], s[44:45], v107, s67, v[34:35]
	v_ashrrev_i32_e32 v1, 31, v0
	v_lshlrev_b64 v[0:1], 3, v[0:1]
	v_mov_b32_e32 v2, s63
	v_add_co_u32_e32 v0, vcc, s64, v0
	v_addc_co_u32_e32 v1, vcc, v2, v1, vcc
	global_load_dwordx2 v[0:1], v[0:1], off
	s_waitcnt vmcnt(0)
	v_cvt_f16_f32_e32 v0, v0
	v_cvt_f16_f32_e32 v1, v1
	v_pack_b32_f16 v0, v0, v1
	v_pk_mul_f16 v0, v131, v0
	ds_write_b32 v182, v0
.LBB24_26:                              ;   in Loop: Header=BB24_13 Depth=1
	s_or_b64 exec, exec, s[8:9]
	v_add_u32_e32 v106, s42, v129
	v_cmp_gt_i32_e64 s[8:9], s60, v106
	v_writelane_b32 v255, s8, 9
	v_writelane_b32 v255, s9, 10
	v_cmp_le_i32_e32 vcc, s60, v106
	s_and_saveexec_b64 s[8:9], vcc
	s_xor_b64 s[8:9], exec, s[8:9]
	s_cbranch_execz .LBB24_28
; %bb.27:                               ;   in Loop: Header=BB24_13 Depth=1
	ds_write_b32 v242, v209
.LBB24_28:                              ;   in Loop: Header=BB24_13 Depth=1
	s_andn2_saveexec_b64 s[8:9], s[8:9]
	s_cbranch_execz .LBB24_30
; %bb.29:                               ;   in Loop: Header=BB24_13 Depth=1
	v_mad_u64_u32 v[0:1], s[44:45], v106, s67, v[34:35]
	v_ashrrev_i32_e32 v1, 31, v0
	v_lshlrev_b64 v[0:1], 3, v[0:1]
	v_mov_b32_e32 v2, s63
	v_add_co_u32_e32 v0, vcc, s64, v0
	v_addc_co_u32_e32 v1, vcc, v2, v1, vcc
	global_load_dwordx2 v[0:1], v[0:1], off
	s_waitcnt vmcnt(0)
	v_cvt_f16_f32_e32 v0, v0
	v_cvt_f16_f32_e32 v1, v1
	v_pack_b32_f16 v0, v0, v1
	v_pk_mul_f16 v0, v131, v0
	ds_write_b32 v242, v0
.LBB24_30:                              ;   in Loop: Header=BB24_13 Depth=1
	s_or_b64 exec, exec, s[8:9]
	v_add_u32_e32 v105, s42, v128
	v_cmp_gt_i32_e64 s[8:9], s60, v105
	v_writelane_b32 v255, s8, 11
	v_writelane_b32 v255, s9, 12
	v_cmp_le_i32_e32 vcc, s60, v105
	s_and_saveexec_b64 s[8:9], vcc
	s_xor_b64 s[8:9], exec, s[8:9]
	s_cbranch_execz .LBB24_32
; %bb.31:                               ;   in Loop: Header=BB24_13 Depth=1
	ds_write_b32 v243, v209
.LBB24_32:                              ;   in Loop: Header=BB24_13 Depth=1
	s_andn2_saveexec_b64 s[8:9], s[8:9]
	;; [unrolled: 29-line block ×3, first 2 shown]
	s_cbranch_execz .LBB24_38
; %bb.37:                               ;   in Loop: Header=BB24_13 Depth=1
	v_mad_u64_u32 v[0:1], s[44:45], v104, s67, v[34:35]
	v_ashrrev_i32_e32 v1, 31, v0
	v_lshlrev_b64 v[0:1], 3, v[0:1]
	v_mov_b32_e32 v2, s63
	v_add_co_u32_e32 v0, vcc, s64, v0
	v_addc_co_u32_e32 v1, vcc, v2, v1, vcc
	global_load_dwordx2 v[0:1], v[0:1], off
	s_waitcnt vmcnt(0)
	v_cvt_f16_f32_e32 v0, v0
	v_cvt_f16_f32_e32 v1, v1
	v_pack_b32_f16 v0, v0, v1
	v_pk_mul_f16 v0, v131, v0
	ds_write_b32 v244, v0
.LBB24_38:                              ;   in Loop: Header=BB24_13 Depth=1
	s_or_b64 exec, exec, s[8:9]
	v_add_u32_e32 v103, s42, v125
	v_cmp_gt_i32_e64 s[8:9], s60, v103
	v_writelane_b32 v255, s8, 15
	v_writelane_b32 v255, s9, 16
	v_cmp_le_i32_e32 vcc, s60, v103
	s_and_saveexec_b64 s[8:9], vcc
	s_xor_b64 s[8:9], exec, s[8:9]
	s_cbranch_execz .LBB24_40
; %bb.39:                               ;   in Loop: Header=BB24_13 Depth=1
	ds_write_b32 v244, v209 offset:1088
.LBB24_40:                              ;   in Loop: Header=BB24_13 Depth=1
	s_andn2_saveexec_b64 s[8:9], s[8:9]
	s_cbranch_execz .LBB24_42
; %bb.41:                               ;   in Loop: Header=BB24_13 Depth=1
	v_mad_u64_u32 v[0:1], s[44:45], v103, s67, v[34:35]
	v_ashrrev_i32_e32 v1, 31, v0
	v_lshlrev_b64 v[0:1], 3, v[0:1]
	v_mov_b32_e32 v2, s63
	v_add_co_u32_e32 v0, vcc, s64, v0
	v_addc_co_u32_e32 v1, vcc, v2, v1, vcc
	global_load_dwordx2 v[0:1], v[0:1], off
	s_waitcnt vmcnt(0)
	v_cvt_f16_f32_e32 v0, v0
	v_cvt_f16_f32_e32 v1, v1
	v_pack_b32_f16 v0, v0, v1
	v_pk_mul_f16 v0, v131, v0
	ds_write_b32 v244, v0 offset:1088
.LBB24_42:                              ;   in Loop: Header=BB24_13 Depth=1
	s_or_b64 exec, exec, s[8:9]
	v_add_u32_e32 v102, s42, v124
	v_cmp_gt_i32_e64 s[8:9], s60, v102
	v_writelane_b32 v255, s8, 17
	v_writelane_b32 v255, s9, 18
	v_cmp_le_i32_e32 vcc, s60, v102
	s_and_saveexec_b64 s[8:9], vcc
	s_xor_b64 s[8:9], exec, s[8:9]
	s_cbranch_execz .LBB24_44
; %bb.43:                               ;   in Loop: Header=BB24_13 Depth=1
	ds_write_b32 v244, v209 offset:2176
.LBB24_44:                              ;   in Loop: Header=BB24_13 Depth=1
	s_andn2_saveexec_b64 s[8:9], s[8:9]
	s_cbranch_execz .LBB24_46
; %bb.45:                               ;   in Loop: Header=BB24_13 Depth=1
	v_mad_u64_u32 v[0:1], s[44:45], v102, s67, v[34:35]
	v_ashrrev_i32_e32 v1, 31, v0
	v_lshlrev_b64 v[0:1], 3, v[0:1]
	v_mov_b32_e32 v2, s63
	v_add_co_u32_e32 v0, vcc, s64, v0
	v_addc_co_u32_e32 v1, vcc, v2, v1, vcc
	global_load_dwordx2 v[0:1], v[0:1], off
	s_waitcnt vmcnt(0)
	v_cvt_f16_f32_e32 v0, v0
	v_cvt_f16_f32_e32 v1, v1
	v_pack_b32_f16 v0, v0, v1
	v_pk_mul_f16 v0, v131, v0
	ds_write_b32 v244, v0 offset:2176
.LBB24_46:                              ;   in Loop: Header=BB24_13 Depth=1
	;; [unrolled: 29-line block ×12, first 2 shown]
	s_or_b64 exec, exec, s[8:9]
	s_waitcnt lgkmcnt(0)
	s_barrier
	ds_read2_b64 v[14:17], v132 offset1:4
	ds_read2_b64 v[10:13], v132 offset0:8 offset1:12
	ds_read2_b64 v[6:9], v132 offset0:16 offset1:20
	;; [unrolled: 1-line block ×3, first 2 shown]
	v_readlane_b32 s8, v253, 30
	s_add_i32 s44, s8, -1
	s_cmp_le_i32 s44, s54
	v_mov_b32_e32 v0, 0
	s_waitcnt lgkmcnt(0)
	s_barrier
	s_cbranch_scc1 .LBB24_104
; %bb.87:                               ;   in Loop: Header=BB24_13 Depth=1
	v_lshlrev_b32_e32 v0, 1, v34
	v_readlane_b32 s42, v253, 13
	v_add_co_u32_e32 v108, vcc, v62, v0
	v_mul_hi_u32 v0, s42, v107
	v_readlane_b32 s43, v253, 14
	v_add_u32_e32 v0, v107, v0
	v_lshrrev_b32_e32 v0, s43, v0
	v_mul_lo_u32 v0, v0, s60
	v_sub_u32_e32 v0, v107, v0
	v_mad_i64_i32 v[18:19], s[8:9], v0, s98, 0
	v_mul_hi_u32 v0, s42, v106
	v_add_u32_e32 v0, v106, v0
	v_lshrrev_b32_e32 v0, s43, v0
	v_mul_lo_u32 v0, v0, s60
	v_sub_u32_e32 v0, v106, v0
	v_mad_i64_i32 v[20:21], s[8:9], v0, s98, 0
	v_mul_hi_u32 v0, s42, v105
	;; [unrolled: 6-line block ×15, first 2 shown]
	v_add_u32_e32 v0, v249, v0
	v_lshrrev_b32_e32 v0, s43, v0
	v_mul_lo_u32 v0, v0, s60
	v_sub_u32_e32 v0, v249, v0
	v_mad_i64_i32 v[96:97], s[8:9], v0, s98, 0
	v_and_b32_e32 v0, 64, v208
	v_addc_co_u32_e32 v109, vcc, 0, v63, vcc
	v_add_u32_e32 v0, 64, v0
	v_xor_b32_e32 v41, 32, v208
	v_cmp_lt_i32_e32 vcc, v41, v0
	v_cndmask_b32_e32 v41, v208, v41, vcc
	v_lshlrev_b32_e32 v110, 2, v41
	v_xor_b32_e32 v41, 16, v208
	v_cmp_lt_i32_e32 vcc, v41, v0
	v_cndmask_b32_e32 v0, v208, v41, vcc
	v_cmp_ne_u64_e64 s[76:77], 0, v[62:63]
	v_mov_b32_e32 v194, 0
	v_lshlrev_b32_e32 v111, 2, v0
	v_mov_b32_e32 v64, v40
	v_mov_b32_e32 v65, v40
	s_lshl_b32 s8, s54, 6
	v_mov_b32_e32 v197, 0
	v_mov_b32_e32 v198, 0xfeffffff
	v_lshlrev_b64 v[66:67], 1, v[18:19]
	v_lshlrev_b64 v[68:69], 1, v[20:21]
	;; [unrolled: 1-line block ×16, first 2 shown]
	v_mov_b32_e32 v195, 0
	v_mov_b32_e32 v193, 0
	v_mov_b32_e32 v192, 0
	v_mov_b32_e32 v191, 0
	v_mov_b32_e32 v190, 0
	v_mov_b32_e32 v189, 0
	v_mov_b32_e32 v188, 0
	v_mov_b32_e32 v187, 0
	v_mov_b32_e32 v186, 0
	v_mov_b32_e32 v185, 0
	v_mov_b32_e32 v184, 0
	v_mov_b32_e32 v126, 0
	v_mov_b32_e32 v113, 0
	v_mov_b32_e32 v112, 0
	v_mov_b32_e32 v0, 0
.LBB24_88:                              ;   Parent Loop BB24_13 Depth=1
                                        ; =>  This Inner Loop Header: Depth=2
	s_nop 0
	v_cndmask_b32_e64 v18, 0, 1, s[76:77]
	v_cmp_ne_u32_e64 s[78:79], 1, v18
	s_andn2_b64 vcc, exec, s[76:77]
	s_ashr_i32 s9, s8, 31
	s_cbranch_vccnz .LBB24_98
; %bb.89:                               ;   in Loop: Header=BB24_88 Depth=2
                                        ; implicit-def: $sgpr45
	s_and_saveexec_b64 s[42:43], s[6:7]
	s_xor_b64 s[42:43], exec, s[42:43]
	s_cbranch_execz .LBB24_91
; %bb.90:                               ;   in Loop: Header=BB24_88 Depth=2
	ds_write_b16 v133, v209 offset:17408
	ds_write_b16 v210, v209 offset:17408
	;; [unrolled: 1-line block ×4, first 2 shown]
	s_mov_b32 s45, 0
.LBB24_91:                              ;   in Loop: Header=BB24_88 Depth=2
	s_or_saveexec_b64 s[42:43], s[42:43]
	s_lshl_b64 s[46:47], s[8:9], 1
	v_mov_b32_e32 v19, s47
	v_add_co_u32_e32 v18, vcc, s46, v108
	v_addc_co_u32_e32 v19, vcc, v109, v19, vcc
	v_mov_b32_e32 v20, s45
	v_mov_b32_e32 v21, s45
	;; [unrolled: 1-line block ×4, first 2 shown]
	s_xor_b64 exec, exec, s[42:43]
	s_cbranch_execz .LBB24_93
; %bb.92:                               ;   in Loop: Header=BB24_88 Depth=2
	v_add_co_u32_e32 v20, vcc, v18, v66
	v_addc_co_u32_e32 v21, vcc, v19, v67, vcc
	flat_load_ushort v22, v[20:21]
	v_add_co_u32_e32 v20, vcc, v18, v68
	v_addc_co_u32_e32 v21, vcc, v19, v69, vcc
	flat_load_ushort v23, v[20:21]
	;; [unrolled: 3-line block ×4, first 2 shown]
	s_waitcnt vmcnt(0) lgkmcnt(0)
	ds_write_b16 v133, v22 offset:17408
	ds_write_b16 v210, v23 offset:17408
	;; [unrolled: 1-line block ×4, first 2 shown]
	v_add_co_u32_e32 v20, vcc, v18, v74
	v_addc_co_u32_e32 v21, vcc, v19, v75, vcc
	v_add_co_u32_e32 v22, vcc, v18, v76
	v_addc_co_u32_e32 v23, vcc, v19, v77, vcc
	flat_load_ushort v20, v[20:21]
	s_nop 0
	flat_load_ushort v21, v[22:23]
	v_add_co_u32_e32 v22, vcc, v18, v78
	v_addc_co_u32_e32 v23, vcc, v19, v79, vcc
	v_add_co_u32_e32 v24, vcc, v18, v80
	v_addc_co_u32_e32 v25, vcc, v19, v81, vcc
	flat_load_ushort v22, v[22:23]
	s_nop 0
	flat_load_ushort v23, v[24:25]
.LBB24_93:                              ;   in Loop: Header=BB24_88 Depth=2
	s_or_b64 exec, exec, s[42:43]
	s_waitcnt vmcnt(0) lgkmcnt(0)
	ds_write_b16 v213, v20 offset:17408
	ds_write_b16 v214, v21 offset:17408
	;; [unrolled: 1-line block ×4, first 2 shown]
                                        ; implicit-def: $sgpr9
	s_and_saveexec_b64 s[42:43], s[6:7]
	s_xor_b64 s[42:43], exec, s[42:43]
	s_cbranch_execz .LBB24_95
; %bb.94:                               ;   in Loop: Header=BB24_88 Depth=2
	ds_write_b16 v217, v209 offset:17408
	ds_write_b16 v218, v209 offset:17408
	;; [unrolled: 1-line block ×4, first 2 shown]
	s_mov_b32 s9, 0
                                        ; implicit-def: $vgpr18
                                        ; implicit-def: $vgpr19
.LBB24_95:                              ;   in Loop: Header=BB24_88 Depth=2
	s_or_saveexec_b64 s[42:43], s[42:43]
	v_mov_b32_e32 v20, s9
	v_mov_b32_e32 v21, s9
	;; [unrolled: 1-line block ×4, first 2 shown]
	s_xor_b64 exec, exec, s[42:43]
	s_cbranch_execz .LBB24_97
; %bb.96:                               ;   in Loop: Header=BB24_88 Depth=2
	v_add_co_u32_e32 v20, vcc, v18, v82
	v_addc_co_u32_e32 v21, vcc, v19, v83, vcc
	flat_load_ushort v22, v[20:21]
	v_add_co_u32_e32 v20, vcc, v18, v84
	v_addc_co_u32_e32 v21, vcc, v19, v85, vcc
	flat_load_ushort v23, v[20:21]
	;; [unrolled: 3-line block ×4, first 2 shown]
	s_waitcnt vmcnt(0) lgkmcnt(0)
	ds_write_b16 v217, v22 offset:17408
	ds_write_b16 v218, v23 offset:17408
	;; [unrolled: 1-line block ×4, first 2 shown]
	v_add_co_u32_e32 v20, vcc, v18, v90
	v_addc_co_u32_e32 v21, vcc, v19, v91, vcc
	v_add_co_u32_e32 v22, vcc, v18, v92
	v_addc_co_u32_e32 v23, vcc, v19, v93, vcc
	flat_load_ushort v20, v[20:21]
	s_nop 0
	flat_load_ushort v21, v[22:23]
	v_add_co_u32_e32 v22, vcc, v18, v94
	v_addc_co_u32_e32 v23, vcc, v19, v95, vcc
	v_add_co_u32_e32 v18, vcc, v18, v96
	v_addc_co_u32_e32 v19, vcc, v19, v97, vcc
	flat_load_ushort v22, v[22:23]
	s_nop 0
	flat_load_ushort v23, v[18:19]
.LBB24_97:                              ;   in Loop: Header=BB24_88 Depth=2
	s_or_b64 exec, exec, s[42:43]
	s_waitcnt vmcnt(0) lgkmcnt(0)
	ds_write_b16 v221, v20 offset:17408
	ds_write_b16 v222, v21 offset:17408
	;; [unrolled: 1-line block ×4, first 2 shown]
.LBB24_98:                              ;   in Loop: Header=BB24_88 Depth=2
	s_mul_hi_i32 s43, s8, s72
	s_mul_i32 s42, s8, s72
	s_lshl_b64 s[42:43], s[42:43], 2
	s_add_u32 s9, s50, s42
	s_addc_u32 s42, s51, s43
	v_add_co_u32_e32 v18, vcc, s9, v50
	v_mov_b32_e32 v19, s42
	v_addc_co_u32_e32 v19, vcc, v19, v51, vcc
	v_lshlrev_b32_e32 v196, 2, v38
	v_add_co_u32_e32 v18, vcc, v18, v196
	s_mov_b64 s[46:47], src_private_base
	v_addc_co_u32_e32 v19, vcc, 0, v19, vcc
	v_mov_b32_e32 v22, s47
	v_mov_b32_e32 v23, s66
	buffer_store_dword v209, off, s[0:3], 0
	buffer_store_dword v209, off, s[0:3], 0 offset:4
	buffer_store_dword v209, off, s[0:3], 0 offset:8
	;; [unrolled: 1-line block ×3, first 2 shown]
	v_cndmask_b32_e64 v19, v22, v19, s[56:57]
	v_cndmask_b32_e64 v18, v23, v18, s[56:57]
	flat_load_dwordx4 v[18:21], v[18:19]
	v_add_u32_e32 v30, 0x1000, v136
	v_add_u32_e32 v41, 0x2000, v136
	s_waitcnt vmcnt(0) lgkmcnt(0)
	ds_write_b128 v135, v[18:21]
	v_add_co_u32_e32 v18, vcc, s9, v52
	v_mov_b32_e32 v19, s42
	v_addc_co_u32_e32 v19, vcc, v19, v53, vcc
	v_add_co_u32_e32 v18, vcc, v18, v196
	v_addc_co_u32_e32 v19, vcc, 0, v19, vcc
	v_cndmask_b32_e64 v19, v22, v19, s[10:11]
	v_cndmask_b32_e64 v18, v23, v18, s[10:11]
	flat_load_dwordx4 v[18:21], v[18:19]
	s_waitcnt vmcnt(0) lgkmcnt(0)
	ds_write_b128 v226, v[18:21]
	v_add_co_u32_e32 v18, vcc, s9, v54
	v_mov_b32_e32 v19, s42
	v_addc_co_u32_e32 v19, vcc, v19, v55, vcc
	v_add_co_u32_e32 v18, vcc, v18, v196
	v_addc_co_u32_e32 v19, vcc, 0, v19, vcc
	v_cndmask_b32_e64 v19, v22, v19, s[12:13]
	v_cndmask_b32_e64 v18, v23, v18, s[12:13]
	flat_load_dwordx4 v[18:21], v[18:19]
	;; [unrolled: 10-line block ×3, first 2 shown]
	s_and_b64 vcc, exec, s[78:79]
	s_waitcnt vmcnt(0) lgkmcnt(0)
	ds_write_b128 v230, v[18:21]
	s_waitcnt lgkmcnt(0)
	s_barrier
	ds_read2_b64 v[18:21], v136 offset1:4
	s_waitcnt lgkmcnt(0)
	v_mfma_f32_16x16x16f16 v[22:25], v[18:19], v[14:15], 0
	v_mfma_f32_16x16x16f16 v[18:21], v[20:21], v[16:17], v[22:25]
	s_nop 7
	s_nop 1
	ds_read2_b64 v[22:25], v136 offset0:8 offset1:12
	s_waitcnt lgkmcnt(0)
	v_mfma_f32_16x16x16f16 v[18:21], v[22:23], v[10:11], v[18:21]
	v_mfma_f32_16x16x16f16 v[18:21], v[24:25], v[12:13], v[18:21]
	ds_read2_b64 v[22:25], v136 offset0:16 offset1:20
	s_waitcnt lgkmcnt(0)
	v_mfma_f32_16x16x16f16 v[18:21], v[22:23], v[6:7], v[18:21]
	v_mfma_f32_16x16x16f16 v[18:21], v[24:25], v[8:9], v[18:21]
	;; [unrolled: 4-line block ×3, first 2 shown]
	s_nop 7
	s_nop 1
	ds_read2_b64 v[18:21], v30 offset0:32 offset1:36
	s_waitcnt lgkmcnt(0)
	v_mfma_f32_16x16x16f16 v[22:25], v[18:19], v[14:15], 0
	v_mfma_f32_16x16x16f16 v[18:21], v[20:21], v[16:17], v[22:25]
	s_nop 7
	s_nop 1
	ds_read2_b64 v[22:25], v30 offset0:40 offset1:44
	s_waitcnt lgkmcnt(0)
	v_mfma_f32_16x16x16f16 v[18:21], v[22:23], v[10:11], v[18:21]
	v_mfma_f32_16x16x16f16 v[18:21], v[24:25], v[12:13], v[18:21]
	ds_read2_b64 v[22:25], v30 offset0:48 offset1:52
	s_waitcnt lgkmcnt(0)
	v_mfma_f32_16x16x16f16 v[18:21], v[22:23], v[6:7], v[18:21]
	v_mfma_f32_16x16x16f16 v[18:21], v[24:25], v[8:9], v[18:21]
	;; [unrolled: 4-line block ×3, first 2 shown]
	s_nop 7
	s_nop 1
	ds_read2_b64 v[18:21], v41 offset0:64 offset1:68
	s_waitcnt lgkmcnt(0)
	v_mfma_f32_16x16x16f16 v[30:33], v[18:19], v[14:15], 0
	v_mfma_f32_16x16x16f16 v[18:21], v[20:21], v[16:17], v[30:33]
	s_nop 7
	s_nop 1
	ds_read2_b64 v[30:33], v41 offset0:72 offset1:76
	s_waitcnt lgkmcnt(0)
	v_mfma_f32_16x16x16f16 v[18:21], v[30:31], v[10:11], v[18:21]
	v_mfma_f32_16x16x16f16 v[18:21], v[32:33], v[12:13], v[18:21]
	ds_read2_b64 v[30:33], v41 offset0:80 offset1:84
	s_waitcnt lgkmcnt(0)
	v_mfma_f32_16x16x16f16 v[18:21], v[30:31], v[6:7], v[18:21]
	v_mfma_f32_16x16x16f16 v[18:21], v[32:33], v[8:9], v[18:21]
	ds_read2_b64 v[30:33], v41 offset0:88 offset1:92
	v_add_u32_e32 v41, 0x3000, v136
	s_waitcnt lgkmcnt(0)
	v_mfma_f32_16x16x16f16 v[18:21], v[30:31], v[2:3], v[18:21]
	v_mfma_f32_16x16x16f16 v[18:21], v[32:33], v[4:5], v[18:21]
	ds_read2_b64 v[30:33], v41 offset0:96 offset1:100
	s_waitcnt lgkmcnt(0)
	v_mfma_f32_16x16x16f16 v[114:117], v[30:31], v[14:15], 0
	v_mfma_f32_16x16x16f16 v[30:33], v[32:33], v[16:17], v[114:117]
	s_nop 7
	s_nop 1
	ds_read2_b64 v[114:117], v41 offset0:104 offset1:108
	s_waitcnt lgkmcnt(0)
	v_mfma_f32_16x16x16f16 v[30:33], v[114:115], v[10:11], v[30:33]
	v_mfma_f32_16x16x16f16 v[30:33], v[116:117], v[12:13], v[30:33]
	ds_read2_b64 v[114:117], v41 offset0:112 offset1:116
	s_waitcnt lgkmcnt(0)
	v_mfma_f32_16x16x16f16 v[30:33], v[114:115], v[6:7], v[30:33]
	v_mfma_f32_16x16x16f16 v[30:33], v[116:117], v[8:9], v[30:33]
	ds_read2_b64 v[114:117], v41 offset0:120 offset1:124
	s_waitcnt lgkmcnt(0)
	s_barrier
	v_mfma_f32_16x16x16f16 v[30:33], v[114:115], v[2:3], v[30:33]
	v_mfma_f32_16x16x16f16 v[30:33], v[116:117], v[4:5], v[30:33]
	s_cbranch_vccnz .LBB24_100
; %bb.99:                               ;   in Loop: Header=BB24_88 Depth=2
	ds_read_b32 v41, v138 offset:17408
	s_waitcnt lgkmcnt(0)
	v_cvt_f32_f16_sdwa v61, v41 dst_sel:DWORD dst_unused:UNUSED_PAD src0_sel:WORD_1
	v_cvt_f32_f16_e32 v60, v41
	ds_read_b32 v41, v163 offset:17408
	v_pk_fma_f32 v[26:27], v[64:65], v[60:61], v[26:27]
	v_add_u32_e32 v60, 0x4400, v154
	ds_read2_b32 v[60:61], v60 offset1:1
	s_waitcnt lgkmcnt(1)
	v_cvt_f32_f16_sdwa v115, v41 dst_sel:DWORD dst_unused:UNUSED_PAD src0_sel:WORD_1
	v_cvt_f32_f16_e32 v114, v41
	v_mov_b32_e32 v41, v40
	v_pk_fma_f32 v[28:29], v[40:41], v[114:115], v[28:29]
	s_waitcnt lgkmcnt(0)
	v_cvt_f32_f16_e32 v114, v60
	v_cvt_f32_f16_sdwa v115, v60 dst_sel:DWORD dst_unused:UNUSED_PAD src0_sel:WORD_1
	v_cvt_f32_f16_e32 v60, v61
	v_cvt_f32_f16_sdwa v61, v61 dst_sel:DWORD dst_unused:UNUSED_PAD src0_sel:WORD_1
	v_pk_fma_f32 v[22:23], v[64:65], v[114:115], v[22:23]
	v_pk_fma_f32 v[24:25], v[40:41], v[60:61], v[24:25]
	v_add_u32_e32 v60, 0x4400, v158
	ds_read2_b32 v[60:61], v60 offset1:1
	s_waitcnt lgkmcnt(0)
	v_cvt_f32_f16_e32 v114, v60
	v_cvt_f32_f16_sdwa v115, v60 dst_sel:DWORD dst_unused:UNUSED_PAD src0_sel:WORD_1
	v_cvt_f32_f16_e32 v60, v61
	v_cvt_f32_f16_sdwa v61, v61 dst_sel:DWORD dst_unused:UNUSED_PAD src0_sel:WORD_1
	v_pk_fma_f32 v[18:19], v[64:65], v[114:115], v[18:19]
	v_pk_fma_f32 v[20:21], v[40:41], v[60:61], v[20:21]
	v_add_u32_e32 v60, 0x4400, v165
	ds_read2_b32 v[60:61], v60 offset1:1
	s_waitcnt lgkmcnt(0)
	v_cvt_f32_f16_e32 v114, v60
	v_cvt_f32_f16_sdwa v115, v60 dst_sel:DWORD dst_unused:UNUSED_PAD src0_sel:WORD_1
	v_cvt_f32_f16_e32 v60, v61
	v_cvt_f32_f16_sdwa v61, v61 dst_sel:DWORD dst_unused:UNUSED_PAD src0_sel:WORD_1
	v_pk_fma_f32 v[30:31], v[64:65], v[114:115], v[30:31]
	v_pk_fma_f32 v[32:33], v[40:41], v[60:61], v[32:33]
.LBB24_100:                             ;   in Loop: Header=BB24_88 Depth=2
	v_add_f32_e32 v41, 0x40051340, v26
	v_max_f32_e32 v60, v198, v198
	v_max_f32_e32 v41, v60, v41
	v_cndmask_b32_e64 v41, v198, v41, s[16:17]
	v_add_f32_e32 v60, 0x40051340, v27
	v_max_f32_e32 v41, v41, v41
	v_max_f32_e32 v41, v41, v60
	v_cndmask_b32_e64 v41, v198, v41, s[16:17]
	;; [unrolled: 4-line block ×16, first 2 shown]
	ds_bpermute_b32 v60, v110, v41
	v_max_f32_e32 v41, v41, v41
	v_cndmask_b32_e64 v28, v28, v28, s[16:17]
	v_cndmask_b32_e64 v29, v29, v29, s[16:17]
	;; [unrolled: 1-line block ×3, first 2 shown]
	s_waitcnt lgkmcnt(0)
	v_max_f32_e32 v60, v60, v60
	v_max_f32_e32 v41, v41, v60
	ds_bpermute_b32 v60, v111, v41
	v_cndmask_b32_e64 v24, v24, v24, s[18:19]
	v_cndmask_b32_e64 v25, v25, v25, s[18:19]
	;; [unrolled: 1-line block ×4, first 2 shown]
	s_waitcnt lgkmcnt(0)
	v_max_f32_e32 v60, v60, v60
	v_max_f32_e32 v61, v41, v60
	v_sub_f32_e32 v26, v26, v61
	v_mul_f32_e32 v41, 0x3fb8aa3b, v26
	v_fma_f32 v60, v26, s74, -v41
	v_rndne_f32_e32 v114, v41
	v_fmac_f32_e32 v60, 0x32a5705f, v26
	v_sub_f32_e32 v41, v41, v114
	v_add_f32_e32 v41, v41, v60
	v_exp_f32_e32 v41, v41
	v_cvt_i32_f32_e32 v60, v114
	v_sub_f32_e32 v27, v27, v61
	v_cmp_ngt_f32_e32 vcc, s75, v26
	v_sub_f32_e32 v22, v22, v61
	v_ldexp_f32 v41, v41, v60
	v_mul_f32_e32 v60, 0x3fb8aa3b, v27
	v_fma_f32 v114, v27, s74, -v60
	v_rndne_f32_e32 v115, v60
	v_fmac_f32_e32 v114, 0x32a5705f, v27
	v_sub_f32_e32 v60, v60, v115
	v_add_f32_e32 v60, v60, v114
	v_exp_f32_e32 v60, v60
	v_cvt_i32_f32_e32 v114, v115
	v_cndmask_b32_e32 v41, 0, v41, vcc
	v_cmp_nlt_f32_e32 vcc, s61, v26
	v_cndmask_b32_e32 v41, v247, v41, vcc
	v_ldexp_f32 v60, v60, v114
	v_cmp_ngt_f32_e32 vcc, s75, v27
	v_cndmask_b32_e32 v60, 0, v60, vcc
	v_cmp_nlt_f32_e32 vcc, s61, v27
	v_cndmask_b32_e32 v60, v247, v60, vcc
	v_mov_b32_e32 v27, s65
	v_cndmask_b32_e64 v26, 0, v41, s[16:17]
	v_add_f32_e32 v41, v41, v60
	v_cndmask_b32_e64 v60, v27, v60, s[16:17]
	v_sub_f32_e32 v27, v28, v61
	v_mul_f32_e32 v28, 0x3fb8aa3b, v27
	v_fma_f32 v114, v27, s74, -v28
	v_rndne_f32_e32 v115, v28
	v_fmac_f32_e32 v114, 0x32a5705f, v27
	v_sub_f32_e32 v28, v28, v115
	v_add_f32_e32 v28, v28, v114
	v_exp_f32_e32 v28, v28
	v_cvt_i32_f32_e32 v114, v115
	v_cmp_ngt_f32_e32 vcc, s75, v27
	v_sub_f32_e32 v23, v23, v61
	v_sub_f32_e32 v18, v18, v61
	v_ldexp_f32 v28, v28, v114
	v_cndmask_b32_e32 v28, 0, v28, vcc
	v_cmp_nlt_f32_e32 vcc, s61, v27
	v_cndmask_b32_e32 v27, v247, v28, vcc
	v_mov_b32_e32 v28, s65
	v_add_f32_e32 v41, v41, v27
	v_cndmask_b32_e64 v28, v28, v27, s[16:17]
	v_sub_f32_e32 v27, v29, v61
	v_mul_f32_e32 v29, 0x3fb8aa3b, v27
	v_fma_f32 v114, v27, s74, -v29
	v_rndne_f32_e32 v115, v29
	v_fmac_f32_e32 v114, 0x32a5705f, v27
	v_sub_f32_e32 v29, v29, v115
	v_add_f32_e32 v29, v29, v114
	v_exp_f32_e32 v29, v29
	v_cvt_i32_f32_e32 v114, v115
	v_cmp_ngt_f32_e32 vcc, s75, v27
	v_sub_f32_e32 v19, v19, v61
	v_cndmask_b32_e64 v21, v21, v21, s[26:27]
	v_ldexp_f32 v29, v29, v114
	v_cndmask_b32_e32 v29, 0, v29, vcc
	v_cmp_nlt_f32_e32 vcc, s61, v27
	v_cndmask_b32_e32 v29, v247, v29, vcc
	v_add_f32_e32 v41, v41, v29
	v_mov_b32_e32 v27, s65
	v_cndmask_b32_e64 v27, v27, v29, s[16:17]
	v_cndmask_b32_e64 v29, 0, v41, s[16:17]
	v_mul_f32_e32 v41, 0x3fb8aa3b, v22
	v_fma_f32 v114, v22, s74, -v41
	v_rndne_f32_e32 v115, v41
	v_fmac_f32_e32 v114, 0x32a5705f, v22
	v_sub_f32_e32 v41, v41, v115
	v_add_f32_e32 v41, v41, v114
	v_exp_f32_e32 v41, v41
	v_cvt_i32_f32_e32 v114, v115
	v_cmp_ngt_f32_e32 vcc, s75, v22
	s_mul_hi_i32 s43, s8, s96
	s_mul_i32 s42, s8, s96
	v_ldexp_f32 v41, v41, v114
	v_cndmask_b32_e32 v41, 0, v41, vcc
	v_cmp_nlt_f32_e32 vcc, s61, v22
	v_cndmask_b32_e32 v41, v247, v41, vcc
	v_add_f32_e32 v114, v41, v29
	v_mov_b32_e32 v22, s65
	v_cndmask_b32_e64 v41, v22, v41, s[18:19]
	v_cndmask_b32_e64 v22, v29, v114, s[18:19]
	v_mul_f32_e32 v29, 0x3fb8aa3b, v23
	v_fma_f32 v114, v23, s74, -v29
	v_rndne_f32_e32 v115, v29
	v_fmac_f32_e32 v114, 0x32a5705f, v23
	v_sub_f32_e32 v29, v29, v115
	v_add_f32_e32 v29, v29, v114
	v_exp_f32_e32 v29, v29
	v_cvt_i32_f32_e32 v114, v115
	v_cmp_ngt_f32_e32 vcc, s75, v23
	s_lshl_b64 s[42:43], s[42:43], 2
	s_add_u32 s9, s48, s42
	v_ldexp_f32 v29, v29, v114
	v_cndmask_b32_e32 v29, 0, v29, vcc
	v_cmp_nlt_f32_e32 vcc, s61, v23
	v_cndmask_b32_e32 v29, v247, v29, vcc
	v_add_f32_e32 v114, v29, v22
	v_mov_b32_e32 v23, s65
	v_cndmask_b32_e64 v29, v23, v29, s[20:21]
	v_cndmask_b32_e64 v23, v22, v114, s[20:21]
	v_sub_f32_e32 v22, v24, v61
	v_mul_f32_e32 v24, 0x3fb8aa3b, v22
	v_fma_f32 v114, v22, s74, -v24
	v_rndne_f32_e32 v115, v24
	v_fmac_f32_e32 v114, 0x32a5705f, v22
	v_sub_f32_e32 v24, v24, v115
	v_add_f32_e32 v24, v24, v114
	v_exp_f32_e32 v24, v24
	v_cvt_i32_f32_e32 v114, v115
	v_cmp_ngt_f32_e32 vcc, s75, v22
	s_addc_u32 s42, s49, s43
	s_mov_b64 s[46:47], src_private_base
	v_ldexp_f32 v24, v24, v114
	v_cndmask_b32_e32 v24, 0, v24, vcc
	v_cmp_nlt_f32_e32 vcc, s61, v22
	v_cndmask_b32_e32 v24, v247, v24, vcc
	v_add_f32_e32 v114, v24, v23
	v_mov_b32_e32 v22, s65
	v_cndmask_b32_e64 v115, v22, v24, s[22:23]
	v_cndmask_b32_e64 v22, v23, v114, s[22:23]
	v_sub_f32_e32 v23, v25, v61
	v_mul_f32_e32 v24, 0x3fb8aa3b, v23
	v_fma_f32 v25, v23, s74, -v24
	v_rndne_f32_e32 v114, v24
	v_fmac_f32_e32 v25, 0x32a5705f, v23
	v_sub_f32_e32 v24, v24, v114
	v_add_f32_e32 v24, v24, v25
	v_exp_f32_e32 v24, v24
	v_cvt_i32_f32_e32 v25, v114
	v_cmp_ngt_f32_e32 vcc, s75, v23
	buffer_store_dword v209, off, s[0:3], 0
	buffer_store_dword v209, off, s[0:3], 0 offset:4
	buffer_store_dword v209, off, s[0:3], 0 offset:8
	;; [unrolled: 1-line block ×3, first 2 shown]
	s_add_i32 s54, s54, 1
	v_ldexp_f32 v24, v24, v25
	v_cndmask_b32_e32 v24, 0, v24, vcc
	v_cmp_nlt_f32_e32 vcc, s61, v23
	v_cndmask_b32_e32 v24, v247, v24, vcc
	v_mov_b32_e32 v23, s65
	v_add_f32_e32 v25, v24, v22
	v_cndmask_b32_e64 v23, v23, v24, s[24:25]
	v_mul_f32_e32 v24, 0x3fb8aa3b, v18
	v_cndmask_b32_e64 v22, v22, v25, s[24:25]
	v_fma_f32 v25, v18, s74, -v24
	v_rndne_f32_e32 v114, v24
	v_fmac_f32_e32 v25, 0x32a5705f, v18
	v_sub_f32_e32 v24, v24, v114
	v_add_f32_e32 v24, v24, v25
	v_exp_f32_e32 v24, v24
	v_cvt_i32_f32_e32 v25, v114
	v_cmp_ngt_f32_e32 vcc, s75, v18
	s_add_i32 s8, s8, 64
	s_cmp_lt_i32 s54, s44
	v_ldexp_f32 v24, v24, v25
	v_cndmask_b32_e32 v24, 0, v24, vcc
	v_cmp_nlt_f32_e32 vcc, s61, v18
	v_cndmask_b32_e32 v24, v247, v24, vcc
	v_add_f32_e32 v25, v24, v22
	v_mov_b32_e32 v18, s65
	v_cndmask_b32_e64 v114, v18, v24, s[26:27]
	v_cndmask_b32_e64 v18, v22, v25, s[26:27]
	v_mul_f32_e32 v22, 0x3fb8aa3b, v19
	v_fma_f32 v24, v19, s74, -v22
	v_rndne_f32_e32 v25, v22
	v_fmac_f32_e32 v24, 0x32a5705f, v19
	v_sub_f32_e32 v22, v22, v25
	v_add_f32_e32 v22, v22, v24
	v_exp_f32_e32 v22, v22
	v_cvt_i32_f32_e32 v24, v25
	v_cmp_ngt_f32_e32 vcc, s75, v19
	v_cndmask_b32_e64 v25, v31, v31, s[4:5]
	v_ldexp_f32 v22, v22, v24
	v_cndmask_b32_e32 v22, 0, v22, vcc
	v_cmp_nlt_f32_e32 vcc, s61, v19
	v_cndmask_b32_e32 v22, v247, v22, vcc
	v_add_f32_e32 v24, v22, v18
	v_mov_b32_e32 v19, s65
	v_cndmask_b32_e64 v116, v19, v22, s[28:29]
	v_cndmask_b32_e64 v19, v18, v24, s[28:29]
	v_sub_f32_e32 v18, v20, v61
	v_mul_f32_e32 v20, 0x3fb8aa3b, v18
	v_fma_f32 v22, v18, s74, -v20
	v_rndne_f32_e32 v24, v20
	v_fmac_f32_e32 v22, 0x32a5705f, v18
	v_sub_f32_e32 v20, v20, v24
	v_add_f32_e32 v20, v20, v22
	v_exp_f32_e32 v20, v20
	v_cvt_i32_f32_e32 v22, v24
	v_cmp_ngt_f32_e32 vcc, s75, v18
	v_cndmask_b32_e64 v24, v32, v32, s[4:5]
	v_ldexp_f32 v20, v20, v22
	v_cndmask_b32_e32 v20, 0, v20, vcc
	v_cmp_nlt_f32_e32 vcc, s61, v18
	v_cndmask_b32_e32 v20, v247, v20, vcc
	v_add_f32_e32 v22, v20, v19
	v_mov_b32_e32 v18, s65
	v_cndmask_b32_e64 v117, v18, v20, s[30:31]
	v_cndmask_b32_e64 v18, v19, v22, s[30:31]
	v_sub_f32_e32 v19, v21, v61
	v_mul_f32_e32 v20, 0x3fb8aa3b, v19
	v_fma_f32 v21, v19, s74, -v20
	v_rndne_f32_e32 v22, v20
	v_fmac_f32_e32 v21, 0x32a5705f, v19
	v_sub_f32_e32 v20, v20, v22
	v_add_f32_e32 v20, v20, v21
	v_exp_f32_e32 v20, v20
	v_cvt_i32_f32_e32 v21, v22
	v_cmp_ngt_f32_e32 vcc, s75, v19
	v_ldexp_f32 v20, v20, v21
	v_cndmask_b32_e32 v20, 0, v20, vcc
	v_cmp_nlt_f32_e32 vcc, s61, v19
	v_cndmask_b32_e32 v20, v247, v20, vcc
	v_add_f32_e32 v21, v20, v18
	v_mov_b32_e32 v19, s65
	v_cndmask_b32_e64 v155, v19, v20, s[34:35]
	v_cndmask_b32_e64 v19, v18, v21, s[34:35]
	v_sub_f32_e32 v18, v30, v61
	v_mul_f32_e32 v20, 0x3fb8aa3b, v18
	v_fma_f32 v21, v18, s74, -v20
	v_rndne_f32_e32 v22, v20
	v_fmac_f32_e32 v21, 0x32a5705f, v18
	v_sub_f32_e32 v20, v20, v22
	v_add_f32_e32 v20, v20, v21
	v_exp_f32_e32 v20, v20
	v_cvt_i32_f32_e32 v21, v22
	v_cmp_ngt_f32_e32 vcc, s75, v18
	v_cndmask_b32_e64 v22, v33, v33, s[4:5]
	v_ldexp_f32 v20, v20, v21
	v_cndmask_b32_e32 v20, 0, v20, vcc
	v_cmp_nlt_f32_e32 vcc, s61, v18
	v_cndmask_b32_e32 v20, v247, v20, vcc
	v_add_f32_e32 v21, v20, v19
	v_mov_b32_e32 v18, s65
	v_cndmask_b32_e64 v30, v18, v20, s[4:5]
	v_cndmask_b32_e64 v18, v19, v21, s[4:5]
	v_sub_f32_e32 v19, v25, v61
	v_mul_f32_e32 v20, 0x3fb8aa3b, v19
	v_fma_f32 v21, v19, s74, -v20
	v_rndne_f32_e32 v25, v20
	v_fmac_f32_e32 v21, 0x32a5705f, v19
	v_sub_f32_e32 v20, v20, v25
	v_add_f32_e32 v20, v20, v21
	v_exp_f32_e32 v20, v20
	v_cvt_i32_f32_e32 v21, v25
	v_cmp_ngt_f32_e32 vcc, s75, v19
	v_ldexp_f32 v20, v20, v21
	v_cndmask_b32_e32 v20, 0, v20, vcc
	v_cmp_nlt_f32_e32 vcc, s61, v19
	v_cndmask_b32_e32 v20, v247, v20, vcc
	v_add_f32_e32 v21, v20, v18
	v_mov_b32_e32 v19, s65
	v_cndmask_b32_e64 v31, v19, v20, s[36:37]
	v_cndmask_b32_e64 v19, v18, v21, s[36:37]
	v_sub_f32_e32 v18, v24, v61
	v_mul_f32_e32 v20, 0x3fb8aa3b, v18
	v_fma_f32 v21, v18, s74, -v20
	v_rndne_f32_e32 v24, v20
	v_fmac_f32_e32 v21, 0x32a5705f, v18
	v_sub_f32_e32 v20, v20, v24
	v_add_f32_e32 v20, v20, v21
	v_exp_f32_e32 v20, v20
	v_cvt_i32_f32_e32 v21, v24
	v_cmp_ngt_f32_e32 vcc, s75, v18
	;; [unrolled: 18-line block ×3, first 2 shown]
	v_ldexp_f32 v20, v20, v21
	v_cndmask_b32_e32 v20, 0, v20, vcc
	v_cmp_nlt_f32_e32 vcc, s61, v19
	v_cndmask_b32_e32 v20, v247, v20, vcc
	v_add_f32_e32 v21, v20, v18
	v_mov_b32_e32 v19, s65
	v_cndmask_b32_e64 v32, v18, v21, s[40:41]
	v_sub_f32_e32 v18, v198, v61
	v_cndmask_b32_e64 v19, v19, v20, s[40:41]
	v_mul_f32_e32 v20, 0x3fb8aa3b, v18
	v_fma_f32 v21, v18, s74, -v20
	v_rndne_f32_e32 v22, v20
	v_fmac_f32_e32 v21, 0x32a5705f, v18
	v_sub_f32_e32 v20, v20, v22
	v_add_f32_e32 v20, v20, v21
	v_exp_f32_e32 v20, v20
	v_cvt_i32_f32_e32 v21, v22
	v_cmp_ngt_f32_e32 vcc, s75, v18
	v_cvt_f16_f32_e32 v19, v19
	v_ldexp_f32 v20, v20, v21
	v_cndmask_b32_e32 v20, 0, v20, vcc
	v_cmp_nlt_f32_e32 vcc, s61, v18
	v_cndmask_b32_e32 v20, v247, v20, vcc
	v_cmp_le_f32_e32 vcc, s97, v18
	v_cndmask_b32_e32 v18, 0, v20, vcc
	v_fmac_f32_e32 v32, v197, v18
	v_cvt_f16_f32_e32 v18, v18
	v_cvt_f16_f32_e32 v20, v60
	v_cvt_f16_f32_e32 v21, v155
	v_mov_b32_e32 v60, s66
	v_pk_mul_f16 v112, v18, v112 op_sel_hi:[0,1]
	v_pk_mul_f16 v0, v18, v0 op_sel_hi:[0,1]
	;; [unrolled: 1-line block ×16, first 2 shown]
	v_cvt_f16_f32_e32 v18, v26
	v_cvt_f16_f32_e32 v26, v31
	v_pack_b32_f16 v24, v18, v20
	v_cvt_f16_f32_e32 v18, v28
	v_cvt_f16_f32_e32 v20, v27
	v_mov_b32_e32 v27, s42
	v_pack_b32_f16 v25, v18, v20
	v_cvt_f16_f32_e32 v18, v41
	v_cvt_f16_f32_e32 v20, v29
	v_mov_b32_e32 v41, s47
	v_pack_b32_f16 v22, v18, v20
	v_cvt_f16_f32_e32 v18, v115
	v_cvt_f16_f32_e32 v20, v23
	v_pack_b32_f16 v23, v18, v20
	v_cvt_f16_f32_e32 v18, v114
	v_cvt_f16_f32_e32 v20, v116
	v_pack_b32_f16 v20, v18, v20
	v_cvt_f16_f32_e32 v18, v117
	v_pack_b32_f16 v21, v18, v21
	;; [unrolled: 2-line block ×4, first 2 shown]
	v_add_co_u32_e32 v26, vcc, s9, v42
	v_addc_co_u32_e32 v27, vcc, v27, v43, vcc
	v_add_co_u32_e32 v26, vcc, v26, v196
	v_addc_co_u32_e32 v27, vcc, 0, v27, vcc
	v_cndmask_b32_e64 v115, v41, v27, s[56:57]
	v_cndmask_b32_e64 v114, v60, v26, s[56:57]
	flat_load_dwordx4 v[114:117], v[114:115]
	v_add_co_u32_e32 v26, vcc, s9, v44
	v_mov_b32_e32 v27, s42
	v_addc_co_u32_e32 v27, vcc, v27, v45, vcc
	v_add_co_u32_e32 v26, vcc, v26, v196
	v_addc_co_u32_e32 v27, vcc, 0, v27, vcc
	v_cndmask_b32_e64 v31, v41, v27, s[10:11]
	v_cndmask_b32_e64 v30, v60, v26, s[10:11]
	v_add_co_u32_e32 v26, vcc, s9, v46
	v_mov_b32_e32 v27, s42
	v_addc_co_u32_e32 v27, vcc, v27, v47, vcc
	v_add_co_u32_e32 v26, vcc, v26, v196
	v_addc_co_u32_e32 v27, vcc, 0, v27, vcc
	v_cndmask_b32_e64 v29, v41, v27, s[12:13]
	v_cndmask_b32_e64 v28, v60, v26, s[12:13]
	;; [unrolled: 7-line block ×3, first 2 shown]
	s_waitcnt vmcnt(0) lgkmcnt(0)
	ds_write_b128 v135, v[114:117]
	flat_load_dwordx4 v[114:117], v[30:31]
	s_waitcnt vmcnt(0) lgkmcnt(0)
	ds_write_b128 v226, v[114:117]
	flat_load_dwordx4 v[28:31], v[28:29]
	;; [unrolled: 3-line block ×3, first 2 shown]
	s_waitcnt vmcnt(0) lgkmcnt(0)
	ds_write_b128 v230, v[26:29]
	s_waitcnt lgkmcnt(0)
	s_barrier
	ds_read_u16 v30, v141 offset:544
	v_cvt_f32_f16_e32 v28, v0
	v_cvt_f32_f16_sdwa v29, v0 dst_sel:DWORD dst_unused:UNUSED_PAD src0_sel:WORD_1
	ds_read_u16 v0, v142
	ds_read_u16 v41, v142 offset:32
	v_cvt_f32_f16_e32 v26, v112
	v_cvt_f32_f16_sdwa v27, v112 dst_sel:DWORD dst_unused:UNUSED_PAD src0_sel:WORD_1
	s_waitcnt lgkmcnt(1)
	v_perm_b32 v31, v0, v30, s62
	ds_read_u16 v0, v167
	ds_read_u16 v60, v167 offset:32
	ds_read_u16 v30, v141 offset:272
	;; [unrolled: 1-line block ×3, first 2 shown]
	s_waitcnt lgkmcnt(1)
	v_perm_b32 v30, v30, v0, s62
	s_nop 1
	v_mfma_f32_16x16x16f16 v[26:29], v[30:31], v[24:25], v[26:29]
	ds_read_u16 v30, v167 offset:4352
	ds_read_u16 v112, v141 offset:4624
	ds_read_u16 v31, v143 offset:544
	ds_read_u16 v115, v142 offset:4352
	s_waitcnt lgkmcnt(2)
	v_perm_b32 v30, v112, v30, s62
	s_waitcnt lgkmcnt(0)
	v_perm_b32 v31, v115, v31, s62
	s_nop 2
	v_cvt_f16_f32_e32 v0, v26
	v_cvt_f16_f32_e32 v27, v27
	v_cvt_f16_f32_e32 v28, v28
	v_cvt_f16_f32_e32 v29, v29
	v_cvt_f32_f16_e32 v26, v0
	v_cvt_f32_f16_e32 v27, v27
	v_cvt_f32_f16_e32 v28, v28
	v_cvt_f32_f16_e32 v29, v29
	s_nop 1
	v_mfma_f32_16x16x16f16 v[26:29], v[30:31], v[22:23], v[26:29]
	ds_read_u16 v30, v167 offset:8704
	ds_read_u16 v112, v141 offset:8976
	ds_read_u16 v31, v144 offset:544
	ds_read_u16 v115, v142 offset:8704
	s_waitcnt lgkmcnt(2)
	v_perm_b32 v30, v112, v30, s62
	s_waitcnt lgkmcnt(0)
	v_perm_b32 v31, v115, v31, s62
	s_nop 2
	v_cvt_f16_f32_e32 v0, v26
	v_cvt_f16_f32_e32 v27, v27
	v_cvt_f16_f32_e32 v28, v28
	v_cvt_f16_f32_e32 v29, v29
	v_cvt_f32_f16_e32 v26, v0
	v_cvt_f32_f16_e32 v27, v27
	v_cvt_f32_f16_e32 v28, v28
	v_cvt_f32_f16_e32 v29, v29
	;; [unrolled: 19-line block ×3, first 2 shown]
	s_nop 1
	v_mfma_f32_16x16x16f16 v[26:29], v[30:31], v[18:19], v[26:29]
	ds_read_u16 v30, v170 offset:544
	s_waitcnt lgkmcnt(0)
	v_perm_b32 v31, v41, v30, s62
	v_perm_b32 v30, v114, v60, s62
	s_nop 6
	v_cvt_f16_f32_e32 v0, v26
	v_cvt_f16_f32_e32 v26, v27
	;; [unrolled: 1-line block ×4, first 2 shown]
	v_cvt_f32_f16_sdwa v29, v113 dst_sel:DWORD dst_unused:UNUSED_PAD src0_sel:WORD_1
	v_pack_b32_f16 v112, v0, v26
	v_cvt_f32_f16_e32 v26, v126
	v_pack_b32_f16 v0, v27, v28
	v_cvt_f32_f16_sdwa v27, v126 dst_sel:DWORD dst_unused:UNUSED_PAD src0_sel:WORD_1
	v_cvt_f32_f16_e32 v28, v113
	s_nop 1
	v_mfma_f32_16x16x16f16 v[26:29], v[30:31], v[24:25], v[26:29]
	ds_read_u16 v30, v167 offset:4384
	ds_read_u16 v41, v141 offset:4656
	ds_read_u16 v31, v146 offset:544
	ds_read_u16 v60, v142 offset:4384
	s_waitcnt lgkmcnt(2)
	v_perm_b32 v30, v41, v30, s62
	s_waitcnt lgkmcnt(0)
	v_perm_b32 v31, v60, v31, s62
	s_nop 2
	v_cvt_f16_f32_e32 v26, v26
	v_cvt_f16_f32_e32 v27, v27
	v_cvt_f16_f32_e32 v28, v28
	v_cvt_f16_f32_e32 v29, v29
	v_cvt_f32_f16_e32 v26, v26
	v_cvt_f32_f16_e32 v27, v27
	v_cvt_f32_f16_e32 v28, v28
	v_cvt_f32_f16_e32 v29, v29
	s_nop 1
	v_mfma_f32_16x16x16f16 v[26:29], v[30:31], v[22:23], v[26:29]
	ds_read_u16 v30, v167 offset:8736
	ds_read_u16 v41, v141 offset:9008
	ds_read_u16 v31, v147 offset:544
	ds_read_u16 v60, v142 offset:8736
	s_waitcnt lgkmcnt(2)
	v_perm_b32 v30, v41, v30, s62
	s_waitcnt lgkmcnt(0)
	v_perm_b32 v31, v60, v31, s62
	s_nop 2
	v_cvt_f16_f32_e32 v26, v26
	v_cvt_f16_f32_e32 v27, v27
	v_cvt_f16_f32_e32 v28, v28
	v_cvt_f16_f32_e32 v29, v29
	v_cvt_f32_f16_e32 v26, v26
	v_cvt_f32_f16_e32 v27, v27
	v_cvt_f32_f16_e32 v28, v28
	;; [unrolled: 19-line block ×3, first 2 shown]
	v_cvt_f32_f16_e32 v29, v29
	s_nop 1
	v_mfma_f32_16x16x16f16 v[26:29], v[30:31], v[18:19], v[26:29]
	ds_read_u16 v30, v167 offset:64
	ds_read_u16 v41, v141 offset:336
	;; [unrolled: 1-line block ×4, first 2 shown]
	s_waitcnt lgkmcnt(2)
	v_perm_b32 v30, v41, v30, s62
	s_waitcnt lgkmcnt(0)
	v_perm_b32 v31, v60, v31, s62
	s_nop 2
	v_cvt_f16_f32_e32 v26, v26
	v_cvt_f16_f32_e32 v27, v27
	v_cvt_f16_f32_e32 v28, v28
	v_cvt_f16_f32_e32 v29, v29
	v_pack_b32_f16 v126, v26, v27
	v_cvt_f32_f16_e32 v26, v185
	v_pack_b32_f16 v113, v28, v29
	v_cvt_f32_f16_sdwa v27, v185 dst_sel:DWORD dst_unused:UNUSED_PAD src0_sel:WORD_1
	v_cvt_f32_f16_e32 v28, v184
	v_cvt_f32_f16_sdwa v29, v184 dst_sel:DWORD dst_unused:UNUSED_PAD src0_sel:WORD_1
	s_nop 1
	v_mfma_f32_16x16x16f16 v[26:29], v[30:31], v[24:25], v[26:29]
	ds_read_u16 v30, v167 offset:4416
	ds_read_u16 v41, v141 offset:4688
	ds_read_u16 v31, v149 offset:544
	ds_read_u16 v60, v142 offset:4416
	s_waitcnt lgkmcnt(2)
	v_perm_b32 v30, v41, v30, s62
	s_waitcnt lgkmcnt(0)
	v_perm_b32 v31, v60, v31, s62
	s_nop 2
	v_cvt_f16_f32_e32 v26, v26
	v_cvt_f16_f32_e32 v27, v27
	v_cvt_f16_f32_e32 v28, v28
	v_cvt_f16_f32_e32 v29, v29
	v_cvt_f32_f16_e32 v26, v26
	v_cvt_f32_f16_e32 v27, v27
	v_cvt_f32_f16_e32 v28, v28
	v_cvt_f32_f16_e32 v29, v29
	s_nop 1
	v_mfma_f32_16x16x16f16 v[26:29], v[30:31], v[22:23], v[26:29]
	ds_read_u16 v30, v167 offset:8768
	ds_read_u16 v41, v141 offset:9040
	ds_read_u16 v31, v150 offset:544
	ds_read_u16 v60, v142 offset:8768
	s_waitcnt lgkmcnt(2)
	v_perm_b32 v30, v41, v30, s62
	s_waitcnt lgkmcnt(0)
	v_perm_b32 v31, v60, v31, s62
	s_nop 2
	v_cvt_f16_f32_e32 v26, v26
	v_cvt_f16_f32_e32 v27, v27
	v_cvt_f16_f32_e32 v28, v28
	v_cvt_f16_f32_e32 v29, v29
	v_cvt_f32_f16_e32 v26, v26
	v_cvt_f32_f16_e32 v27, v27
	v_cvt_f32_f16_e32 v28, v28
	v_cvt_f32_f16_e32 v29, v29
	;; [unrolled: 19-line block ×3, first 2 shown]
	s_nop 1
	v_mfma_f32_16x16x16f16 v[26:29], v[30:31], v[18:19], v[26:29]
	ds_read_u16 v30, v167 offset:96
	ds_read_u16 v41, v141 offset:368
	;; [unrolled: 1-line block ×4, first 2 shown]
	s_waitcnt lgkmcnt(2)
	v_perm_b32 v30, v41, v30, s62
	s_waitcnt lgkmcnt(0)
	v_perm_b32 v31, v60, v31, s62
	s_nop 2
	v_cvt_f16_f32_e32 v26, v26
	v_cvt_f16_f32_e32 v27, v27
	;; [unrolled: 1-line block ×4, first 2 shown]
	v_pack_b32_f16 v185, v26, v27
	v_cvt_f32_f16_e32 v26, v187
	v_pack_b32_f16 v184, v28, v29
	v_cvt_f32_f16_sdwa v27, v187 dst_sel:DWORD dst_unused:UNUSED_PAD src0_sel:WORD_1
	v_cvt_f32_f16_e32 v28, v186
	v_cvt_f32_f16_sdwa v29, v186 dst_sel:DWORD dst_unused:UNUSED_PAD src0_sel:WORD_1
	s_nop 1
	v_mfma_f32_16x16x16f16 v[26:29], v[30:31], v[24:25], v[26:29]
	ds_read_u16 v30, v167 offset:4448
	ds_read_u16 v41, v141 offset:4720
	ds_read_u16 v31, v153 offset:544
	ds_read_u16 v60, v142 offset:4448
	s_waitcnt lgkmcnt(2)
	v_perm_b32 v30, v41, v30, s62
	s_waitcnt lgkmcnt(0)
	v_perm_b32 v31, v60, v31, s62
	s_nop 2
	v_cvt_f16_f32_e32 v26, v26
	v_cvt_f16_f32_e32 v27, v27
	v_cvt_f16_f32_e32 v28, v28
	v_cvt_f16_f32_e32 v29, v29
	v_cvt_f32_f16_e32 v26, v26
	v_cvt_f32_f16_e32 v27, v27
	v_cvt_f32_f16_e32 v28, v28
	v_cvt_f32_f16_e32 v29, v29
	s_nop 1
	v_mfma_f32_16x16x16f16 v[26:29], v[30:31], v[22:23], v[26:29]
	ds_read_u16 v30, v167 offset:8800
	ds_read_u16 v41, v141 offset:9072
	ds_read_u16 v31, v157 offset:544
	ds_read_u16 v60, v142 offset:8800
	s_waitcnt lgkmcnt(2)
	v_perm_b32 v30, v41, v30, s62
	s_waitcnt lgkmcnt(0)
	v_perm_b32 v31, v60, v31, s62
	s_nop 2
	v_cvt_f16_f32_e32 v26, v26
	v_cvt_f16_f32_e32 v27, v27
	v_cvt_f16_f32_e32 v28, v28
	v_cvt_f16_f32_e32 v29, v29
	v_cvt_f32_f16_e32 v26, v26
	v_cvt_f32_f16_e32 v27, v27
	v_cvt_f32_f16_e32 v28, v28
	v_cvt_f32_f16_e32 v29, v29
	;; [unrolled: 19-line block ×3, first 2 shown]
	s_nop 1
	v_mfma_f32_16x16x16f16 v[26:29], v[30:31], v[18:19], v[26:29]
	ds_read_u16 v30, v167 offset:128
	ds_read_u16 v41, v141 offset:400
	;; [unrolled: 1-line block ×4, first 2 shown]
	s_waitcnt lgkmcnt(2)
	v_perm_b32 v30, v41, v30, s62
	s_waitcnt lgkmcnt(0)
	v_perm_b32 v31, v60, v31, s62
	s_nop 2
	v_cvt_f16_f32_e32 v26, v26
	v_cvt_f16_f32_e32 v27, v27
	;; [unrolled: 1-line block ×4, first 2 shown]
	v_pack_b32_f16 v187, v26, v27
	v_cvt_f32_f16_e32 v26, v189
	v_pack_b32_f16 v186, v28, v29
	v_cvt_f32_f16_sdwa v27, v189 dst_sel:DWORD dst_unused:UNUSED_PAD src0_sel:WORD_1
	v_cvt_f32_f16_e32 v28, v188
	v_cvt_f32_f16_sdwa v29, v188 dst_sel:DWORD dst_unused:UNUSED_PAD src0_sel:WORD_1
	s_nop 1
	v_mfma_f32_16x16x16f16 v[26:29], v[30:31], v[24:25], v[26:29]
	ds_read_u16 v30, v167 offset:4480
	ds_read_u16 v41, v141 offset:4752
	ds_read_u16 v31, v161 offset:544
	ds_read_u16 v60, v142 offset:4480
	s_waitcnt lgkmcnt(2)
	v_perm_b32 v30, v41, v30, s62
	s_waitcnt lgkmcnt(0)
	v_perm_b32 v31, v60, v31, s62
	s_nop 2
	v_cvt_f16_f32_e32 v26, v26
	v_cvt_f16_f32_e32 v27, v27
	v_cvt_f16_f32_e32 v28, v28
	v_cvt_f16_f32_e32 v29, v29
	v_cvt_f32_f16_e32 v26, v26
	v_cvt_f32_f16_e32 v27, v27
	v_cvt_f32_f16_e32 v28, v28
	v_cvt_f32_f16_e32 v29, v29
	s_nop 1
	v_mfma_f32_16x16x16f16 v[26:29], v[30:31], v[22:23], v[26:29]
	ds_read_u16 v30, v167 offset:8832
	ds_read_u16 v41, v141 offset:9104
	ds_read_u16 v31, v162 offset:544
	ds_read_u16 v60, v142 offset:8832
	s_waitcnt lgkmcnt(2)
	v_perm_b32 v30, v41, v30, s62
	s_waitcnt lgkmcnt(0)
	v_perm_b32 v31, v60, v31, s62
	s_nop 2
	v_cvt_f16_f32_e32 v26, v26
	v_cvt_f16_f32_e32 v27, v27
	v_cvt_f16_f32_e32 v28, v28
	v_cvt_f16_f32_e32 v29, v29
	v_cvt_f32_f16_e32 v26, v26
	v_cvt_f32_f16_e32 v27, v27
	v_cvt_f32_f16_e32 v28, v28
	v_cvt_f32_f16_e32 v29, v29
	;; [unrolled: 19-line block ×3, first 2 shown]
	s_nop 1
	v_mfma_f32_16x16x16f16 v[26:29], v[30:31], v[18:19], v[26:29]
	ds_read_u16 v30, v167 offset:160
	ds_read_u16 v41, v141 offset:432
	;; [unrolled: 1-line block ×4, first 2 shown]
	s_waitcnt lgkmcnt(2)
	v_perm_b32 v30, v41, v30, s62
	s_waitcnt lgkmcnt(0)
	v_perm_b32 v31, v60, v31, s62
	s_nop 2
	v_cvt_f16_f32_e32 v26, v26
	v_cvt_f16_f32_e32 v27, v27
	;; [unrolled: 1-line block ×4, first 2 shown]
	v_pack_b32_f16 v189, v26, v27
	v_cvt_f32_f16_e32 v26, v191
	v_pack_b32_f16 v188, v28, v29
	v_cvt_f32_f16_sdwa v27, v191 dst_sel:DWORD dst_unused:UNUSED_PAD src0_sel:WORD_1
	v_cvt_f32_f16_e32 v28, v190
	v_cvt_f32_f16_sdwa v29, v190 dst_sel:DWORD dst_unused:UNUSED_PAD src0_sel:WORD_1
	s_nop 1
	v_mfma_f32_16x16x16f16 v[26:29], v[30:31], v[24:25], v[26:29]
	ds_read_u16 v30, v167 offset:4512
	ds_read_u16 v41, v141 offset:4784
	ds_read_u16 v31, v169 offset:544
	ds_read_u16 v60, v142 offset:4512
	s_waitcnt lgkmcnt(2)
	v_perm_b32 v30, v41, v30, s62
	s_waitcnt lgkmcnt(0)
	v_perm_b32 v31, v60, v31, s62
	s_nop 2
	v_cvt_f16_f32_e32 v26, v26
	v_cvt_f16_f32_e32 v27, v27
	v_cvt_f16_f32_e32 v28, v28
	v_cvt_f16_f32_e32 v29, v29
	v_cvt_f32_f16_e32 v26, v26
	v_cvt_f32_f16_e32 v27, v27
	v_cvt_f32_f16_e32 v28, v28
	v_cvt_f32_f16_e32 v29, v29
	s_nop 1
	v_mfma_f32_16x16x16f16 v[26:29], v[30:31], v[22:23], v[26:29]
	ds_read_u16 v30, v167 offset:8864
	ds_read_u16 v41, v141 offset:9136
	ds_read_u16 v31, v172 offset:544
	ds_read_u16 v60, v142 offset:8864
	s_waitcnt lgkmcnt(2)
	v_perm_b32 v30, v41, v30, s62
	s_waitcnt lgkmcnt(0)
	v_perm_b32 v31, v60, v31, s62
	s_nop 2
	v_cvt_f16_f32_e32 v26, v26
	v_cvt_f16_f32_e32 v27, v27
	v_cvt_f16_f32_e32 v28, v28
	v_cvt_f16_f32_e32 v29, v29
	v_cvt_f32_f16_e32 v26, v26
	v_cvt_f32_f16_e32 v27, v27
	v_cvt_f32_f16_e32 v28, v28
	v_cvt_f32_f16_e32 v29, v29
	;; [unrolled: 19-line block ×3, first 2 shown]
	s_nop 1
	v_mfma_f32_16x16x16f16 v[26:29], v[30:31], v[18:19], v[26:29]
	ds_read_u16 v30, v167 offset:192
	ds_read_u16 v41, v141 offset:464
	;; [unrolled: 1-line block ×4, first 2 shown]
	s_waitcnt lgkmcnt(2)
	v_perm_b32 v30, v41, v30, s62
	s_waitcnt lgkmcnt(0)
	v_perm_b32 v31, v60, v31, s62
	s_nop 2
	v_cvt_f16_f32_e32 v26, v26
	v_cvt_f16_f32_e32 v27, v27
	;; [unrolled: 1-line block ×4, first 2 shown]
	v_pack_b32_f16 v191, v26, v27
	v_cvt_f32_f16_e32 v26, v193
	v_pack_b32_f16 v190, v28, v29
	v_cvt_f32_f16_sdwa v27, v193 dst_sel:DWORD dst_unused:UNUSED_PAD src0_sel:WORD_1
	v_cvt_f32_f16_e32 v28, v192
	v_cvt_f32_f16_sdwa v29, v192 dst_sel:DWORD dst_unused:UNUSED_PAD src0_sel:WORD_1
	s_nop 1
	v_mfma_f32_16x16x16f16 v[26:29], v[30:31], v[24:25], v[26:29]
	ds_read_u16 v30, v167 offset:4544
	ds_read_u16 v41, v141 offset:4816
	ds_read_u16 v31, v175 offset:544
	ds_read_u16 v60, v142 offset:4544
	s_waitcnt lgkmcnt(2)
	v_perm_b32 v30, v41, v30, s62
	s_waitcnt lgkmcnt(0)
	v_perm_b32 v31, v60, v31, s62
	s_nop 2
	v_cvt_f16_f32_e32 v26, v26
	v_cvt_f16_f32_e32 v27, v27
	v_cvt_f16_f32_e32 v28, v28
	v_cvt_f16_f32_e32 v29, v29
	v_cvt_f32_f16_e32 v26, v26
	v_cvt_f32_f16_e32 v27, v27
	v_cvt_f32_f16_e32 v28, v28
	v_cvt_f32_f16_e32 v29, v29
	s_nop 1
	v_mfma_f32_16x16x16f16 v[26:29], v[30:31], v[22:23], v[26:29]
	ds_read_u16 v30, v167 offset:8896
	ds_read_u16 v41, v141 offset:9168
	ds_read_u16 v31, v176 offset:544
	ds_read_u16 v60, v142 offset:8896
	s_waitcnt lgkmcnt(2)
	v_perm_b32 v30, v41, v30, s62
	s_waitcnt lgkmcnt(0)
	v_perm_b32 v31, v60, v31, s62
	s_nop 2
	v_cvt_f16_f32_e32 v26, v26
	v_cvt_f16_f32_e32 v27, v27
	v_cvt_f16_f32_e32 v28, v28
	v_cvt_f16_f32_e32 v29, v29
	v_cvt_f32_f16_e32 v26, v26
	v_cvt_f32_f16_e32 v27, v27
	v_cvt_f32_f16_e32 v28, v28
	v_cvt_f32_f16_e32 v29, v29
	;; [unrolled: 19-line block ×3, first 2 shown]
	s_nop 1
	v_mfma_f32_16x16x16f16 v[26:29], v[30:31], v[18:19], v[26:29]
	ds_read_u16 v30, v167 offset:224
	ds_read_u16 v41, v141 offset:496
	;; [unrolled: 1-line block ×4, first 2 shown]
	s_waitcnt lgkmcnt(2)
	v_perm_b32 v30, v41, v30, s62
	s_waitcnt lgkmcnt(0)
	v_perm_b32 v31, v60, v31, s62
	s_nop 2
	v_cvt_f16_f32_e32 v26, v26
	v_cvt_f16_f32_e32 v27, v27
	;; [unrolled: 1-line block ×4, first 2 shown]
	v_pack_b32_f16 v193, v26, v27
	v_cvt_f32_f16_e32 v26, v194
	v_pack_b32_f16 v192, v28, v29
	v_cvt_f32_f16_sdwa v27, v194 dst_sel:DWORD dst_unused:UNUSED_PAD src0_sel:WORD_1
	v_cvt_f32_f16_e32 v28, v33
	v_cvt_f32_f16_sdwa v29, v33 dst_sel:DWORD dst_unused:UNUSED_PAD src0_sel:WORD_1
	s_nop 1
	v_mfma_f32_16x16x16f16 v[24:27], v[30:31], v[24:25], v[26:29]
	s_nop 6
	ds_read_u16 v28, v167 offset:4576
	ds_read_u16 v30, v141 offset:4848
	;; [unrolled: 1-line block ×4, first 2 shown]
	s_waitcnt lgkmcnt(2)
	v_perm_b32 v28, v30, v28, s62
	s_waitcnt lgkmcnt(0)
	v_perm_b32 v29, v31, v29, s62
	v_cvt_f16_f32_e32 v24, v24
	v_cvt_f16_f32_e32 v25, v25
	v_cvt_f16_f32_e32 v26, v26
	v_cvt_f16_f32_e32 v27, v27
	v_cvt_f32_f16_e32 v24, v24
	v_cvt_f32_f16_e32 v25, v25
	;; [unrolled: 1-line block ×4, first 2 shown]
	s_nop 1
	v_mfma_f32_16x16x16f16 v[22:25], v[28:29], v[22:23], v[24:27]
	s_nop 6
	ds_read_u16 v26, v167 offset:8928
	ds_read_u16 v28, v141 offset:9200
	;; [unrolled: 1-line block ×4, first 2 shown]
	s_waitcnt lgkmcnt(2)
	v_perm_b32 v26, v28, v26, s62
	s_waitcnt lgkmcnt(0)
	v_perm_b32 v27, v29, v27, s62
	v_cvt_f16_f32_e32 v22, v22
	v_cvt_f16_f32_e32 v23, v23
	;; [unrolled: 1-line block ×4, first 2 shown]
	v_cvt_f32_f16_e32 v22, v22
	v_cvt_f32_f16_e32 v23, v23
	;; [unrolled: 1-line block ×4, first 2 shown]
	s_nop 1
	v_mfma_f32_16x16x16f16 v[22:25], v[26:27], v[20:21], v[22:25]
	s_nop 7
	s_nop 2
	v_cvt_f16_f32_e32 v21, v22
	v_cvt_f16_f32_e32 v22, v23
	v_cvt_f16_f32_e32 v23, v24
	v_cvt_f16_f32_e32 v24, v25
	ds_read_u16 v20, v167 offset:13280
	ds_read_u16 v25, v141 offset:13552
	ds_read_u16 v26, v181 offset:544
	ds_read_u16 v27, v142 offset:13280
	v_cvt_f32_f16_e32 v28, v21
	v_cvt_f32_f16_e32 v29, v22
	s_waitcnt lgkmcnt(2)
	v_perm_b32 v20, v25, v20, s62
	v_cvt_f32_f16_e32 v30, v23
	s_waitcnt lgkmcnt(0)
	v_perm_b32 v21, v27, v26, s62
	v_cvt_f32_f16_e32 v31, v24
	s_barrier
	s_nop 0
	v_mfma_f32_16x16x16f16 v[18:21], v[20:21], v[18:19], v[28:31]
	s_nop 7
	s_nop 2
	v_cvt_f16_f32_e32 v18, v18
	v_cvt_f16_f32_e32 v19, v19
	v_cvt_f16_f32_e32 v20, v20
	v_cvt_f16_f32_e32 v21, v21
	v_pack_b32_f16 v194, v18, v19
	v_pack_b32_f16 v195, v20, v21
	s_cbranch_scc0 .LBB24_105
; %bb.101:                              ;   in Loop: Header=BB24_88 Depth=2
	v_mov_b32_e32 v197, v32
	v_mov_b32_e32 v198, v61
	s_branch .LBB24_88
.LBB24_102:                             ;   in Loop: Header=BB24_13 Depth=1
	s_mov_b64 s[8:9], 0
                                        ; implicit-def: $vgpr2_vgpr3
                                        ; implicit-def: $vgpr249
	s_cbranch_execnz .LBB24_225
.LBB24_103:                             ;   in Loop: Header=BB24_13 Depth=1
	v_readlane_b32 s63, v254, 18
	v_readlane_b32 s64, v253, 62
	s_and_saveexec_b64 s[42:43], s[8:9]
	s_cbranch_execz .LBB24_12
	s_branch .LBB24_426
.LBB24_104:                             ;   in Loop: Header=BB24_13 Depth=1
	v_mov_b32_e32 v32, 0
	v_mov_b32_e32 v61, 0xfeffffff
	;; [unrolled: 1-line block ×17, first 2 shown]
.LBB24_105:                             ;   in Loop: Header=BB24_13 Depth=1
	s_lshl_b32 s58, s54, 6
	v_readlane_b32 s8, v253, 4
	v_cmp_eq_u64_e32 vcc, 0, v[62:63]
	s_sub_i32 s67, s8, s58
	v_cmp_ne_u64_e64 s[84:85], 0, v[62:63]
	s_ashr_i32 s59, s58, 31
	v_readlane_b32 s9, v253, 5
	s_cbranch_vccnz .LBB24_123
; %bb.106:                              ;   in Loop: Header=BB24_13 Depth=1
	v_cmp_le_i32_e32 vcc, s67, v34
                                        ; implicit-def: $sgpr44
	s_and_saveexec_b64 s[8:9], vcc
	s_xor_b64 s[8:9], exec, s[8:9]
	s_cbranch_execz .LBB24_108
; %bb.107:                              ;   in Loop: Header=BB24_13 Depth=1
	ds_write_b16 v133, v209 offset:17408
	ds_write_b16 v210, v209 offset:17408
	s_mov_b32 s44, 0
.LBB24_108:                             ;   in Loop: Header=BB24_13 Depth=1
	s_or_saveexec_b64 s[42:43], s[8:9]
	s_lshl_b64 s[8:9], s[58:59], 1
	v_mov_b32_e32 v18, s9
	v_add_co_u32_e64 v19, s[8:9], s8, v62
	v_addc_co_u32_e64 v20, s[8:9], v63, v18, s[8:9]
	v_lshlrev_b32_e32 v18, 1, v34
	v_add_co_u32_e64 v18, s[8:9], v19, v18
	v_addc_co_u32_e64 v19, s[8:9], 0, v20, s[8:9]
	v_mov_b32_e32 v20, s44
	v_mov_b32_e32 v21, s44
	s_xor_b64 exec, exec, s[42:43]
	s_cbranch_execz .LBB24_110
; %bb.109:                              ;   in Loop: Header=BB24_13 Depth=1
	v_readlane_b32 s44, v253, 13
	v_mul_hi_u32 v20, s44, v107
	v_readlane_b32 s45, v253, 14
	v_add_u32_e32 v20, v107, v20
	v_lshrrev_b32_e32 v20, s45, v20
	v_mul_lo_u32 v20, v20, s60
	v_sub_u32_e32 v20, v107, v20
	v_mad_i64_i32 v[20:21], s[8:9], v20, s98, 0
	v_lshlrev_b64 v[20:21], 1, v[20:21]
	v_add_co_u32_e64 v20, s[8:9], v18, v20
	v_addc_co_u32_e64 v21, s[8:9], v19, v21, s[8:9]
	flat_load_ushort v22, v[20:21]
	v_mul_hi_u32 v20, s44, v106
	v_add_u32_e32 v20, v106, v20
	v_lshrrev_b32_e32 v20, s45, v20
	v_mul_lo_u32 v20, v20, s60
	v_sub_u32_e32 v20, v106, v20
	v_mad_i64_i32 v[20:21], s[8:9], v20, s98, 0
	v_lshlrev_b64 v[20:21], 1, v[20:21]
	v_add_co_u32_e64 v20, s[8:9], v18, v20
	v_addc_co_u32_e64 v21, s[8:9], v19, v21, s[8:9]
	flat_load_ushort v20, v[20:21]
	s_waitcnt vmcnt(0) lgkmcnt(0)
	ds_write_b16 v133, v22 offset:17408
	ds_write_b16 v210, v20 offset:17408
	v_mul_hi_u32 v20, s44, v105
	v_add_u32_e32 v20, v105, v20
	v_lshrrev_b32_e32 v20, s45, v20
	v_mul_lo_u32 v20, v20, s60
	v_sub_u32_e32 v20, v105, v20
	v_mad_i64_i32 v[20:21], s[8:9], v20, s98, 0
	v_lshlrev_b64 v[20:21], 1, v[20:21]
	v_add_co_u32_e64 v20, s[8:9], v18, v20
	v_addc_co_u32_e64 v21, s[8:9], v19, v21, s[8:9]
	flat_load_ushort v20, v[20:21]
	v_mul_hi_u32 v21, s44, v104
	v_add_u32_e32 v21, v104, v21
	v_lshrrev_b32_e32 v21, s45, v21
	v_mul_lo_u32 v21, v21, s60
	v_sub_u32_e32 v21, v104, v21
	v_mad_i64_i32 v[22:23], s[8:9], v21, s98, 0
	v_lshlrev_b64 v[22:23], 1, v[22:23]
	v_add_co_u32_e64 v22, s[8:9], v18, v22
	v_addc_co_u32_e64 v23, s[8:9], v19, v23, s[8:9]
	flat_load_ushort v21, v[22:23]
.LBB24_110:                             ;   in Loop: Header=BB24_13 Depth=1
	s_or_b64 exec, exec, s[42:43]
	s_waitcnt vmcnt(0) lgkmcnt(0)
	ds_write_b16 v211, v20 offset:17408
	ds_write_b16 v212, v21 offset:17408
                                        ; implicit-def: $sgpr44
	s_and_saveexec_b64 s[8:9], vcc
	s_xor_b64 s[8:9], exec, s[8:9]
	s_cbranch_execz .LBB24_112
; %bb.111:                              ;   in Loop: Header=BB24_13 Depth=1
	ds_write_b16 v213, v209 offset:17408
	ds_write_b16 v214, v209 offset:17408
	s_mov_b32 s44, 0
.LBB24_112:                             ;   in Loop: Header=BB24_13 Depth=1
	s_or_saveexec_b64 s[42:43], s[8:9]
	v_mov_b32_e32 v20, s44
	v_mov_b32_e32 v21, s44
	s_xor_b64 exec, exec, s[42:43]
	s_cbranch_execz .LBB24_114
; %bb.113:                              ;   in Loop: Header=BB24_13 Depth=1
	v_readlane_b32 s44, v253, 13
	v_mul_hi_u32 v20, s44, v103
	v_readlane_b32 s45, v253, 14
	v_add_u32_e32 v20, v103, v20
	v_lshrrev_b32_e32 v20, s45, v20
	v_mul_lo_u32 v20, v20, s60
	v_sub_u32_e32 v20, v103, v20
	v_mad_i64_i32 v[20:21], s[8:9], v20, s98, 0
	v_lshlrev_b64 v[20:21], 1, v[20:21]
	v_add_co_u32_e64 v20, s[8:9], v18, v20
	v_addc_co_u32_e64 v21, s[8:9], v19, v21, s[8:9]
	flat_load_ushort v22, v[20:21]
	v_mul_hi_u32 v20, s44, v102
	v_add_u32_e32 v20, v102, v20
	v_lshrrev_b32_e32 v20, s45, v20
	v_mul_lo_u32 v20, v20, s60
	v_sub_u32_e32 v20, v102, v20
	v_mad_i64_i32 v[20:21], s[8:9], v20, s98, 0
	v_lshlrev_b64 v[20:21], 1, v[20:21]
	v_add_co_u32_e64 v20, s[8:9], v18, v20
	v_addc_co_u32_e64 v21, s[8:9], v19, v21, s[8:9]
	flat_load_ushort v20, v[20:21]
	s_waitcnt vmcnt(0) lgkmcnt(0)
	ds_write_b16 v213, v22 offset:17408
	ds_write_b16 v214, v20 offset:17408
	v_mul_hi_u32 v20, s44, v101
	v_add_u32_e32 v20, v101, v20
	v_lshrrev_b32_e32 v20, s45, v20
	v_mul_lo_u32 v20, v20, s60
	v_sub_u32_e32 v20, v101, v20
	v_mad_i64_i32 v[20:21], s[8:9], v20, s98, 0
	v_lshlrev_b64 v[20:21], 1, v[20:21]
	v_add_co_u32_e64 v20, s[8:9], v18, v20
	v_addc_co_u32_e64 v21, s[8:9], v19, v21, s[8:9]
	flat_load_ushort v20, v[20:21]
	v_mul_hi_u32 v21, s44, v100
	v_add_u32_e32 v21, v100, v21
	v_lshrrev_b32_e32 v21, s45, v21
	v_mul_lo_u32 v21, v21, s60
	v_sub_u32_e32 v21, v100, v21
	v_mad_i64_i32 v[22:23], s[8:9], v21, s98, 0
	v_lshlrev_b64 v[22:23], 1, v[22:23]
	v_add_co_u32_e64 v22, s[8:9], v18, v22
	v_addc_co_u32_e64 v23, s[8:9], v19, v23, s[8:9]
	flat_load_ushort v21, v[22:23]
.LBB24_114:                             ;   in Loop: Header=BB24_13 Depth=1
	s_or_b64 exec, exec, s[42:43]
	s_waitcnt vmcnt(0) lgkmcnt(0)
	ds_write_b16 v215, v20 offset:17408
	ds_write_b16 v216, v21 offset:17408
                                        ; implicit-def: $sgpr44
	s_and_saveexec_b64 s[8:9], vcc
	s_xor_b64 s[8:9], exec, s[8:9]
	s_cbranch_execz .LBB24_116
; %bb.115:                              ;   in Loop: Header=BB24_13 Depth=1
	ds_write_b16 v217, v209 offset:17408
	ds_write_b16 v218, v209 offset:17408
	s_mov_b32 s44, 0
.LBB24_116:                             ;   in Loop: Header=BB24_13 Depth=1
	s_or_saveexec_b64 s[42:43], s[8:9]
	v_mov_b32_e32 v20, s44
	v_mov_b32_e32 v21, s44
	s_xor_b64 exec, exec, s[42:43]
	s_cbranch_execz .LBB24_118
; %bb.117:                              ;   in Loop: Header=BB24_13 Depth=1
	v_readlane_b32 s44, v253, 13
	v_mul_hi_u32 v20, s44, v99
	v_readlane_b32 s45, v253, 14
	v_add_u32_e32 v20, v99, v20
	v_lshrrev_b32_e32 v20, s45, v20
	v_mul_lo_u32 v20, v20, s60
	v_sub_u32_e32 v20, v99, v20
	v_mad_i64_i32 v[20:21], s[8:9], v20, s98, 0
	v_lshlrev_b64 v[20:21], 1, v[20:21]
	v_add_co_u32_e64 v20, s[8:9], v18, v20
	v_addc_co_u32_e64 v21, s[8:9], v19, v21, s[8:9]
	flat_load_ushort v22, v[20:21]
	v_mul_hi_u32 v20, s44, v98
	v_add_u32_e32 v20, v98, v20
	v_lshrrev_b32_e32 v20, s45, v20
	v_mul_lo_u32 v20, v20, s60
	v_sub_u32_e32 v20, v98, v20
	v_mad_i64_i32 v[20:21], s[8:9], v20, s98, 0
	v_lshlrev_b64 v[20:21], 1, v[20:21]
	v_add_co_u32_e64 v20, s[8:9], v18, v20
	v_addc_co_u32_e64 v21, s[8:9], v19, v21, s[8:9]
	flat_load_ushort v20, v[20:21]
	s_waitcnt vmcnt(0) lgkmcnt(0)
	ds_write_b16 v217, v22 offset:17408
	ds_write_b16 v218, v20 offset:17408
	v_mul_hi_u32 v20, s44, v59
	v_add_u32_e32 v20, v59, v20
	v_lshrrev_b32_e32 v20, s45, v20
	v_mul_lo_u32 v20, v20, s60
	v_sub_u32_e32 v20, v59, v20
	v_mad_i64_i32 v[20:21], s[8:9], v20, s98, 0
	v_lshlrev_b64 v[20:21], 1, v[20:21]
	v_add_co_u32_e64 v20, s[8:9], v18, v20
	v_addc_co_u32_e64 v21, s[8:9], v19, v21, s[8:9]
	flat_load_ushort v20, v[20:21]
	v_mul_hi_u32 v21, s44, v39
	v_add_u32_e32 v21, v39, v21
	v_lshrrev_b32_e32 v21, s45, v21
	v_mul_lo_u32 v21, v21, s60
	v_sub_u32_e32 v21, v39, v21
	v_mad_i64_i32 v[22:23], s[8:9], v21, s98, 0
	v_lshlrev_b64 v[22:23], 1, v[22:23]
	v_add_co_u32_e64 v22, s[8:9], v18, v22
	v_addc_co_u32_e64 v23, s[8:9], v19, v23, s[8:9]
	flat_load_ushort v21, v[22:23]
.LBB24_118:                             ;   in Loop: Header=BB24_13 Depth=1
	s_or_b64 exec, exec, s[42:43]
	s_waitcnt vmcnt(0) lgkmcnt(0)
	ds_write_b16 v219, v20 offset:17408
	ds_write_b16 v220, v21 offset:17408
                                        ; implicit-def: $sgpr42
	s_and_saveexec_b64 s[8:9], vcc
	s_xor_b64 s[8:9], exec, s[8:9]
	s_cbranch_execz .LBB24_120
; %bb.119:                              ;   in Loop: Header=BB24_13 Depth=1
	ds_write_b16 v221, v209 offset:17408
	ds_write_b16 v222, v209 offset:17408
	s_mov_b32 s42, 0
                                        ; implicit-def: $vgpr18
                                        ; implicit-def: $vgpr19
.LBB24_120:                             ;   in Loop: Header=BB24_13 Depth=1
	s_or_saveexec_b64 s[8:9], s[8:9]
	v_mov_b32_e32 v20, s42
	v_mov_b32_e32 v21, s42
	s_xor_b64 exec, exec, s[8:9]
	s_cbranch_execz .LBB24_122
; %bb.121:                              ;   in Loop: Header=BB24_13 Depth=1
	v_readlane_b32 s44, v253, 13
	v_mul_hi_u32 v20, s44, v37
	v_readlane_b32 s45, v253, 14
	v_add_u32_e32 v20, v37, v20
	v_lshrrev_b32_e32 v20, s45, v20
	v_mul_lo_u32 v20, v20, s60
	v_sub_u32_e32 v20, v37, v20
	v_mad_i64_i32 v[20:21], s[42:43], v20, s98, 0
	v_lshlrev_b64 v[20:21], 1, v[20:21]
	v_add_co_u32_e32 v20, vcc, v18, v20
	v_addc_co_u32_e32 v21, vcc, v19, v21, vcc
	flat_load_ushort v22, v[20:21]
	v_mul_hi_u32 v20, s44, v35
	v_add_u32_e32 v20, v35, v20
	v_lshrrev_b32_e32 v20, s45, v20
	v_mul_lo_u32 v20, v20, s60
	v_sub_u32_e32 v20, v35, v20
	v_mad_i64_i32 v[20:21], s[42:43], v20, s98, 0
	v_lshlrev_b64 v[20:21], 1, v[20:21]
	v_add_co_u32_e32 v20, vcc, v18, v20
	v_addc_co_u32_e32 v21, vcc, v19, v21, vcc
	flat_load_ushort v20, v[20:21]
	s_waitcnt vmcnt(0) lgkmcnt(0)
	ds_write_b16 v221, v22 offset:17408
	ds_write_b16 v222, v20 offset:17408
	v_mul_hi_u32 v20, s44, v1
	v_add_u32_e32 v20, v1, v20
	v_lshrrev_b32_e32 v20, s45, v20
	v_mul_lo_u32 v20, v20, s60
	v_sub_u32_e32 v20, v1, v20
	v_mad_i64_i32 v[20:21], s[42:43], v20, s98, 0
	v_lshlrev_b64 v[20:21], 1, v[20:21]
	v_add_co_u32_e32 v20, vcc, v18, v20
	v_addc_co_u32_e32 v21, vcc, v19, v21, vcc
	flat_load_ushort v20, v[20:21]
	v_mul_hi_u32 v21, s44, v249
	v_add_u32_e32 v21, v249, v21
	v_lshrrev_b32_e32 v21, s45, v21
	v_mul_lo_u32 v21, v21, s60
	v_sub_u32_e32 v21, v249, v21
	v_mad_i64_i32 v[22:23], s[42:43], v21, s98, 0
	v_lshlrev_b64 v[22:23], 1, v[22:23]
	v_add_co_u32_e32 v18, vcc, v18, v22
	v_addc_co_u32_e32 v19, vcc, v19, v23, vcc
	flat_load_ushort v21, v[18:19]
.LBB24_122:                             ;   in Loop: Header=BB24_13 Depth=1
	s_or_b64 exec, exec, s[8:9]
	s_waitcnt vmcnt(0) lgkmcnt(0)
	ds_write_b16 v223, v20 offset:17408
	ds_write_b16 v224, v21 offset:17408
.LBB24_123:                             ;   in Loop: Header=BB24_13 Depth=1
	s_mul_hi_i32 s9, s58, s72
	s_mul_i32 s8, s58, s72
	s_lshl_b64 s[8:9], s[8:9], 2
	s_add_u32 s8, s50, s8
	s_addc_u32 s9, s51, s9
	v_mov_b32_e32 v18, s9
	v_add_co_u32_e32 v19, vcc, s8, v50
	v_addc_co_u32_e32 v18, vcc, v18, v51, vcc
	v_lshlrev_b32_e32 v64, 2, v38
	v_add_co_u32_e32 v20, vcc, v19, v64
	s_mov_b64 s[42:43], src_private_base
	v_addc_co_u32_e32 v18, vcc, 0, v18, vcc
	v_mov_b32_e32 v24, s43
	v_cmp_gt_i32_e64 s[76:77], s67, v134
	v_mov_b32_e32 v25, s66
	buffer_store_dword v209, off, s[0:3], 0
	buffer_store_dword v209, off, s[0:3], 0 offset:4
	buffer_store_dword v209, off, s[0:3], 0 offset:8
	;; [unrolled: 1-line block ×3, first 2 shown]
	v_cndmask_b32_e64 v19, v24, v18, s[76:77]
	v_cndmask_b32_e64 v18, v25, v20, s[76:77]
	flat_load_dwordx4 v[18:21], v[18:19]
	v_mov_b32_e32 v22, s9
	v_add_co_u32_e32 v23, vcc, s8, v52
	v_addc_co_u32_e32 v22, vcc, v22, v53, vcc
	v_add_co_u32_e32 v26, vcc, v23, v64
	v_addc_co_u32_e32 v22, vcc, 0, v22, vcc
	v_cmp_gt_i32_e64 s[78:79], s67, v225
	v_cndmask_b32_e64 v23, v24, v22, s[78:79]
	v_cndmask_b32_e64 v22, v25, v26, s[78:79]
	v_cmp_gt_i32_e64 s[80:81], s67, v227
	v_cmp_gt_i32_e64 s[82:83], s67, v229
	v_add_u32_e32 v30, 0x1000, v136
	v_add_u32_e32 v31, 0x2000, v136
	;; [unrolled: 1-line block ×3, first 2 shown]
	s_mov_b32 s59, s99
	s_waitcnt vmcnt(0) lgkmcnt(0)
	ds_write_b128 v135, v[18:21]
	flat_load_dwordx4 v[18:21], v[22:23]
	v_mov_b32_e32 v22, s9
	v_add_co_u32_e32 v23, vcc, s8, v54
	v_addc_co_u32_e32 v22, vcc, v22, v55, vcc
	v_add_co_u32_e32 v26, vcc, v23, v64
	v_addc_co_u32_e32 v22, vcc, 0, v22, vcc
	v_cndmask_b32_e64 v23, v24, v22, s[80:81]
	v_cndmask_b32_e64 v22, v25, v26, s[80:81]
	s_waitcnt vmcnt(0) lgkmcnt(0)
	ds_write_b128 v226, v[18:21]
	flat_load_dwordx4 v[18:21], v[22:23]
	v_mov_b32_e32 v22, s9
	v_add_co_u32_e32 v23, vcc, s8, v56
	v_addc_co_u32_e32 v22, vcc, v22, v57, vcc
	v_add_co_u32_e32 v26, vcc, v23, v64
	v_addc_co_u32_e32 v22, vcc, 0, v22, vcc
	v_cndmask_b32_e64 v23, v24, v22, s[82:83]
	v_cndmask_b32_e64 v22, v25, v26, s[82:83]
	s_andn2_b64 vcc, exec, s[84:85]
	s_waitcnt vmcnt(0) lgkmcnt(0)
	ds_write_b128 v228, v[18:21]
	flat_load_dwordx4 v[18:21], v[22:23]
	s_waitcnt vmcnt(0) lgkmcnt(0)
	ds_write_b128 v230, v[18:21]
	s_waitcnt lgkmcnt(0)
	s_barrier
	ds_read2_b64 v[18:21], v136 offset1:4
	ds_read2_b64 v[26:29], v30 offset0:32 offset1:36
	ds_read2_b64 v[70:73], v31 offset0:64 offset1:68
	;; [unrolled: 1-line block ×3, first 2 shown]
	s_waitcnt lgkmcnt(3)
	v_mfma_f32_16x16x16f16 v[22:25], v[18:19], v[14:15], 0
	s_waitcnt lgkmcnt(2)
	v_mfma_f32_16x16x16f16 v[66:69], v[26:27], v[14:15], 0
	;; [unrolled: 2-line block ×4, first 2 shown]
	v_mfma_f32_16x16x16f16 v[18:21], v[20:21], v[16:17], v[22:25]
	v_mfma_f32_16x16x16f16 v[22:25], v[28:29], v[16:17], v[66:69]
	;; [unrolled: 1-line block ×3, first 2 shown]
	s_nop 5
	ds_read2_b64 v[66:69], v136 offset0:8 offset1:12
	ds_read2_b64 v[70:73], v30 offset0:40 offset1:44
	v_mfma_f32_16x16x16f16 v[14:17], v[80:81], v[16:17], v[82:85]
	ds_read2_b64 v[74:77], v31 offset0:72 offset1:76
	ds_read2_b64 v[78:81], v33 offset0:104 offset1:108
	s_waitcnt lgkmcnt(3)
	v_mfma_f32_16x16x16f16 v[18:21], v[66:67], v[10:11], v[18:21]
	s_waitcnt lgkmcnt(2)
	v_mfma_f32_16x16x16f16 v[22:25], v[70:71], v[10:11], v[22:25]
	;; [unrolled: 2-line block ×4, first 2 shown]
	v_mfma_f32_16x16x16f16 v[18:21], v[68:69], v[12:13], v[18:21]
	ds_read2_b64 v[66:69], v30 offset0:48 offset1:52
	v_mfma_f32_16x16x16f16 v[22:25], v[72:73], v[12:13], v[22:25]
	ds_read2_b64 v[70:73], v31 offset0:80 offset1:84
	;; [unrolled: 2-line block ×3, first 2 shown]
	v_mfma_f32_16x16x16f16 v[10:13], v[80:81], v[12:13], v[14:17]
	s_nop 6
	ds_read2_b64 v[14:17], v136 offset0:16 offset1:20
	s_waitcnt lgkmcnt(0)
	v_mfma_f32_16x16x16f16 v[18:21], v[14:15], v[6:7], v[18:21]
	v_mfma_f32_16x16x16f16 v[22:25], v[66:67], v[6:7], v[22:25]
	;; [unrolled: 1-line block ×6, first 2 shown]
	ds_read2_b64 v[66:69], v31 offset0:88 offset1:92
	v_mfma_f32_16x16x16f16 v[22:25], v[72:73], v[8:9], v[26:29]
	ds_read2_b64 v[70:73], v33 offset0:120 offset1:124
	v_mfma_f32_16x16x16f16 v[6:9], v[76:77], v[8:9], v[10:13]
	s_nop 4
	ds_read2_b64 v[26:29], v30 offset0:56 offset1:60
	s_nop 0
	ds_read2_b64 v[10:13], v136 offset0:24 offset1:28
	s_waitcnt lgkmcnt(0)
	v_mfma_f32_16x16x16f16 v[14:17], v[10:11], v[2:3], v[14:17]
	s_barrier
	v_mfma_f32_16x16x16f16 v[18:21], v[26:27], v[2:3], v[18:21]
	v_mfma_f32_16x16x16f16 v[22:25], v[66:67], v[2:3], v[22:25]
	;; [unrolled: 1-line block ×7, first 2 shown]
	s_cbranch_vccnz .LBB24_125
; %bb.124:                              ;   in Loop: Header=BB24_13 Depth=1
	s_nop 3
	ds_read_b32 v18, v138 offset:17408
	ds_read_b32 v20, v163 offset:17408
	s_waitcnt lgkmcnt(1)
	v_cvt_f32_f16_sdwa v19, v18 dst_sel:DWORD dst_unused:UNUSED_PAD src0_sel:WORD_1
	v_cvt_f32_f16_e32 v18, v18
	v_pk_fma_f32 v[14:15], v[40:41], v[18:19], v[14:15] op_sel_hi:[0,1,1]
	v_add_u32_e32 v18, 0x4400, v154
	ds_read2_b32 v[18:19], v18 offset1:1
	s_waitcnt lgkmcnt(1)
	v_cvt_f32_f16_sdwa v21, v20 dst_sel:DWORD dst_unused:UNUSED_PAD src0_sel:WORD_1
	v_cvt_f32_f16_e32 v20, v20
	v_pk_fma_f32 v[16:17], v[40:41], v[20:21], v[16:17] op_sel_hi:[0,1,1]
	s_waitcnt lgkmcnt(0)
	v_cvt_f32_f16_e32 v20, v18
	v_cvt_f32_f16_sdwa v21, v18 dst_sel:DWORD dst_unused:UNUSED_PAD src0_sel:WORD_1
	v_cvt_f32_f16_e32 v18, v19
	v_cvt_f32_f16_sdwa v19, v19 dst_sel:DWORD dst_unused:UNUSED_PAD src0_sel:WORD_1
	v_pk_fma_f32 v[10:11], v[40:41], v[20:21], v[10:11] op_sel_hi:[0,1,1]
	v_pk_fma_f32 v[12:13], v[40:41], v[18:19], v[12:13] op_sel_hi:[0,1,1]
	v_add_u32_e32 v18, 0x4400, v158
	ds_read2_b32 v[18:19], v18 offset1:1
	s_waitcnt lgkmcnt(0)
	v_cvt_f32_f16_e32 v20, v18
	v_cvt_f32_f16_sdwa v21, v18 dst_sel:DWORD dst_unused:UNUSED_PAD src0_sel:WORD_1
	v_cvt_f32_f16_e32 v18, v19
	v_cvt_f32_f16_sdwa v19, v19 dst_sel:DWORD dst_unused:UNUSED_PAD src0_sel:WORD_1
	v_pk_fma_f32 v[6:7], v[40:41], v[20:21], v[6:7] op_sel_hi:[0,1,1]
	v_pk_fma_f32 v[8:9], v[40:41], v[18:19], v[8:9] op_sel_hi:[0,1,1]
	v_add_u32_e32 v18, 0x4400, v165
	ds_read2_b32 v[18:19], v18 offset1:1
	s_waitcnt lgkmcnt(0)
	v_cvt_f32_f16_e32 v20, v18
	v_cvt_f32_f16_sdwa v21, v18 dst_sel:DWORD dst_unused:UNUSED_PAD src0_sel:WORD_1
	v_cvt_f32_f16_e32 v18, v19
	v_cvt_f32_f16_sdwa v19, v19 dst_sel:DWORD dst_unused:UNUSED_PAD src0_sel:WORD_1
	v_pk_fma_f32 v[2:3], v[40:41], v[20:21], v[2:3] op_sel_hi:[0,1,1]
	v_pk_fma_f32 v[4:5], v[40:41], v[18:19], v[4:5] op_sel_hi:[0,1,1]
.LBB24_125:                             ;   in Loop: Header=BB24_13 Depth=1
	s_nop 6
	v_add_f32_e32 v18, 0x40051340, v14
	v_max_f32_e32 v19, v61, v61
	v_cmp_gt_u32_e64 s[54:55], s67, v137
	v_max_f32_e32 v18, v19, v18
	v_cndmask_b32_e64 v18, v61, v18, s[54:55]
	v_add_f32_e32 v19, 0x40051340, v15
	v_max_f32_e32 v20, v18, v18
	v_cmp_gt_u32_e64 s[52:53], s67, v234
	v_max_f32_e32 v19, v20, v19
	v_cndmask_b32_e64 v18, v18, v19, s[52:53]
	;; [unrolled: 5-line block ×4, first 2 shown]
	v_add_f32_e32 v19, 0x40051340, v10
	v_max_f32_e32 v20, v18, v18
	v_cmp_gt_u32_e32 vcc, s67, v139
	v_max_f32_e32 v19, v20, v19
	v_cndmask_b32_e32 v18, v18, v19, vcc
	v_add_f32_e32 v19, 0x40051340, v11
	v_max_f32_e32 v20, v18, v18
	v_cmp_gt_u32_e64 s[46:47], s67, v236
	v_max_f32_e32 v19, v20, v19
	v_cndmask_b32_e64 v18, v18, v19, s[46:47]
	v_add_f32_e32 v19, 0x40051340, v12
	v_max_f32_e32 v20, v18, v18
	v_cmp_gt_u32_e64 s[44:45], s67, v231
	v_max_f32_e32 v19, v20, v19
	v_cndmask_b32_e64 v18, v18, v19, s[44:45]
	;; [unrolled: 5-line block ×11, first 2 shown]
	v_and_b32_e32 v19, 64, v208
	v_add_u32_e32 v19, 64, v19
	v_xor_b32_e32 v20, 32, v208
	v_cmp_lt_i32_e64 s[8:9], v20, v19
	v_cndmask_b32_e64 v20, v208, v20, s[8:9]
	v_lshlrev_b32_e32 v26, 2, v20
	ds_bpermute_b32 v20, v26, v18
	v_max_f32_e32 v18, v18, v18
	v_cndmask_b32_e64 v16, v16, v16, s[52:53]
	v_cndmask_b32_e64 v17, v17, v17, s[52:53]
	v_cndmask_b32_e32 v11, v11, v11, vcc
	s_waitcnt lgkmcnt(0)
	v_max_f32_e32 v20, v20, v20
	v_max_f32_e32 v18, v18, v20
	v_xor_b32_e32 v20, 16, v208
	v_cmp_lt_i32_e64 s[8:9], v20, v19
	v_cndmask_b32_e64 v19, v208, v20, s[8:9]
	v_lshlrev_b32_e32 v19, 2, v19
	ds_bpermute_b32 v20, v19, v18
	v_cndmask_b32_e32 v13, v13, v13, vcc
	v_cndmask_b32_e32 v12, v12, v12, vcc
	v_cndmask_b32_e64 v7, v7, v7, s[96:97]
	v_cndmask_b32_e64 v8, v8, v8, s[96:97]
	s_waitcnt lgkmcnt(0)
	v_max_f32_e32 v20, v20, v20
	v_max_f32_e32 v18, v18, v20
	v_sub_f32_e32 v14, v14, v18
	v_mul_f32_e32 v20, 0x3fb8aa3b, v14
	v_fma_f32 v21, v14, s74, -v20
	v_rndne_f32_e32 v22, v20
	v_fmac_f32_e32 v21, 0x32a5705f, v14
	v_sub_f32_e32 v20, v20, v22
	v_add_f32_e32 v20, v20, v21
	v_exp_f32_e32 v20, v20
	v_cvt_i32_f32_e32 v21, v22
	v_cmp_ngt_f32_e64 s[8:9], s75, v14
	v_sub_f32_e32 v15, v15, v18
	v_sub_f32_e32 v16, v16, v18
	v_ldexp_f32 v20, v20, v21
	v_cndmask_b32_e64 v20, 0, v20, s[8:9]
	v_cmp_nlt_f32_e64 s[8:9], s61, v14
	v_cndmask_b32_e64 v14, v247, v20, s[8:9]
	v_mul_f32_e32 v20, 0x3fb8aa3b, v15
	v_fma_f32 v21, v15, s74, -v20
	v_rndne_f32_e32 v22, v20
	v_fmac_f32_e32 v21, 0x32a5705f, v15
	v_sub_f32_e32 v20, v20, v22
	v_add_f32_e32 v20, v20, v21
	v_exp_f32_e32 v20, v20
	v_cvt_i32_f32_e32 v21, v22
	v_cmp_ngt_f32_e64 s[8:9], s75, v15
	v_cndmask_b32_e64 v14, 0, v14, s[54:55]
	v_sub_f32_e32 v10, v10, v18
	v_ldexp_f32 v20, v20, v21
	v_cndmask_b32_e64 v20, 0, v20, s[8:9]
	v_cmp_nlt_f32_e64 s[8:9], s61, v15
	v_cndmask_b32_e64 v20, v247, v20, s[8:9]
	v_mov_b32_e32 v15, s65
	v_add_f32_e32 v21, v20, v14
	v_cndmask_b32_e64 v41, v15, v20, s[52:53]
	v_mul_f32_e32 v20, 0x3fb8aa3b, v16
	v_cndmask_b32_e64 v15, v14, v21, s[52:53]
	v_fma_f32 v21, v16, s74, -v20
	v_rndne_f32_e32 v22, v20
	v_fmac_f32_e32 v21, 0x32a5705f, v16
	v_sub_f32_e32 v20, v20, v22
	v_add_f32_e32 v20, v20, v21
	v_exp_f32_e32 v20, v20
	v_cvt_i32_f32_e32 v21, v22
	v_cmp_ngt_f32_e64 s[8:9], s75, v16
	v_sub_f32_e32 v11, v11, v18
	v_sub_f32_e32 v6, v6, v18
	v_ldexp_f32 v20, v20, v21
	v_cndmask_b32_e64 v20, 0, v20, s[8:9]
	v_cmp_nlt_f32_e64 s[8:9], s61, v16
	v_cndmask_b32_e64 v20, v247, v20, s[8:9]
	v_add_f32_e32 v21, v15, v20
	v_mov_b32_e32 v16, s65
	v_cndmask_b32_e64 v60, v16, v20, s[50:51]
	v_cndmask_b32_e64 v16, v15, v21, s[50:51]
	v_sub_f32_e32 v15, v17, v18
	v_mul_f32_e32 v17, 0x3fb8aa3b, v15
	v_fma_f32 v20, v15, s74, -v17
	v_rndne_f32_e32 v21, v17
	v_fmac_f32_e32 v20, 0x32a5705f, v15
	v_sub_f32_e32 v17, v17, v21
	v_add_f32_e32 v17, v17, v20
	v_exp_f32_e32 v17, v17
	v_cvt_i32_f32_e32 v20, v21
	v_cmp_ngt_f32_e64 s[8:9], s75, v15
	v_sub_f32_e32 v7, v7, v18
	v_cndmask_b32_e64 v9, v9, v9, s[96:97]
	v_ldexp_f32 v17, v17, v20
	v_cndmask_b32_e64 v17, 0, v17, s[8:9]
	v_cmp_nlt_f32_e64 s[8:9], s61, v15
	v_cndmask_b32_e64 v17, v247, v17, s[8:9]
	v_mov_b32_e32 v15, s65
	v_add_f32_e32 v20, v16, v17
	v_cndmask_b32_e64 v15, v15, v17, s[48:49]
	v_mul_f32_e32 v17, 0x3fb8aa3b, v10
	v_cndmask_b32_e64 v16, v16, v20, s[48:49]
	v_fma_f32 v20, v10, s74, -v17
	v_rndne_f32_e32 v21, v17
	v_fmac_f32_e32 v20, 0x32a5705f, v10
	v_sub_f32_e32 v17, v17, v21
	v_add_f32_e32 v17, v17, v20
	v_exp_f32_e32 v17, v17
	v_cvt_i32_f32_e32 v20, v21
	v_cmp_ngt_f32_e64 s[8:9], s75, v10
	v_sub_f32_e32 v2, v2, v18
	v_cndmask_b32_e64 v3, v3, v3, s[88:89]
	v_ldexp_f32 v17, v17, v20
	v_cndmask_b32_e64 v17, 0, v17, s[8:9]
	v_cmp_nlt_f32_e64 s[8:9], s61, v10
	v_cndmask_b32_e64 v17, v247, v17, s[8:9]
	v_add_f32_e32 v20, v17, v16
	v_mov_b32_e32 v10, s65
	v_cndmask_b32_e32 v65, v10, v17, vcc
	v_cndmask_b32_e32 v10, v16, v20, vcc
	v_mul_f32_e32 v16, 0x3fb8aa3b, v11
	v_fma_f32 v17, v11, s74, -v16
	v_rndne_f32_e32 v20, v16
	v_fmac_f32_e32 v17, 0x32a5705f, v11
	v_sub_f32_e32 v16, v16, v20
	v_add_f32_e32 v16, v16, v17
	v_exp_f32_e32 v16, v16
	v_cvt_i32_f32_e32 v17, v20
	v_cmp_ngt_f32_e32 vcc, s75, v11
	v_sub_f32_e32 v3, v3, v18
	v_cndmask_b32_e64 v4, v4, v4, s[88:89]
	v_ldexp_f32 v16, v16, v17
	v_cndmask_b32_e32 v16, 0, v16, vcc
	v_cmp_nlt_f32_e32 vcc, s61, v11
	v_cndmask_b32_e32 v16, v247, v16, vcc
	v_add_f32_e32 v17, v16, v10
	v_mov_b32_e32 v11, s65
	v_cndmask_b32_e64 v66, v11, v16, s[46:47]
	v_cndmask_b32_e64 v11, v10, v17, s[46:47]
	v_sub_f32_e32 v10, v12, v18
	v_mul_f32_e32 v12, 0x3fb8aa3b, v10
	v_fma_f32 v16, v10, s74, -v12
	v_rndne_f32_e32 v17, v12
	v_fmac_f32_e32 v16, 0x32a5705f, v10
	v_sub_f32_e32 v12, v12, v17
	v_add_f32_e32 v12, v12, v16
	v_exp_f32_e32 v12, v12
	v_cvt_i32_f32_e32 v16, v17
	v_cmp_ngt_f32_e32 vcc, s75, v10
	v_cndmask_b32_e64 v5, v5, v5, s[88:89]
	buffer_store_dword v209, off, s[0:3], 0
	buffer_store_dword v209, off, s[0:3], 0 offset:4
	buffer_store_dword v209, off, s[0:3], 0 offset:8
	buffer_store_dword v209, off, s[0:3], 0 offset:12
	v_ldexp_f32 v12, v12, v16
	v_cndmask_b32_e32 v12, 0, v12, vcc
	v_cmp_nlt_f32_e32 vcc, s61, v10
	v_cndmask_b32_e32 v12, v247, v12, vcc
	v_add_f32_e32 v16, v12, v11
	v_mov_b32_e32 v10, s65
	v_cndmask_b32_e64 v10, v10, v12, s[44:45]
	v_cndmask_b32_e64 v12, v11, v16, s[44:45]
	v_sub_f32_e32 v11, v13, v18
	v_mul_f32_e32 v13, 0x3fb8aa3b, v11
	v_fma_f32 v16, v11, s74, -v13
	v_rndne_f32_e32 v17, v13
	v_fmac_f32_e32 v16, 0x32a5705f, v11
	v_sub_f32_e32 v13, v13, v17
	v_add_f32_e32 v13, v13, v16
	v_exp_f32_e32 v13, v13
	v_cvt_i32_f32_e32 v16, v17
	v_cmp_ngt_f32_e32 vcc, s75, v11
	s_mov_b32 s44, 0xc1a00000
	v_ldexp_f32 v13, v13, v16
	v_cndmask_b32_e32 v13, 0, v13, vcc
	v_cmp_nlt_f32_e32 vcc, s61, v11
	v_cndmask_b32_e32 v13, v247, v13, vcc
	v_mov_b32_e32 v11, s65
	v_add_f32_e32 v16, v13, v12
	v_cndmask_b32_e64 v11, v11, v13, s[98:99]
	v_mul_f32_e32 v13, 0x3fb8aa3b, v6
	v_cndmask_b32_e64 v12, v12, v16, s[98:99]
	v_fma_f32 v16, v6, s74, -v13
	v_rndne_f32_e32 v17, v13
	v_fmac_f32_e32 v16, 0x32a5705f, v6
	v_sub_f32_e32 v13, v13, v17
	v_add_f32_e32 v13, v13, v16
	v_exp_f32_e32 v13, v13
	v_cvt_i32_f32_e32 v16, v17
	v_cmp_ngt_f32_e32 vcc, s75, v6
	v_ldexp_f32 v13, v13, v16
	v_cndmask_b32_e32 v13, 0, v13, vcc
	v_cmp_nlt_f32_e32 vcc, s61, v6
	v_cndmask_b32_e32 v13, v247, v13, vcc
	v_add_f32_e32 v16, v13, v12
	v_mov_b32_e32 v6, s65
	v_cndmask_b32_e64 v13, v6, v13, s[96:97]
	v_cndmask_b32_e64 v6, v12, v16, s[96:97]
	v_mul_f32_e32 v12, 0x3fb8aa3b, v7
	v_fma_f32 v16, v7, s74, -v12
	v_rndne_f32_e32 v17, v12
	v_fmac_f32_e32 v16, 0x32a5705f, v7
	v_sub_f32_e32 v12, v12, v17
	v_add_f32_e32 v12, v12, v16
	v_exp_f32_e32 v12, v12
	v_cvt_i32_f32_e32 v16, v17
	v_cmp_ngt_f32_e32 vcc, s75, v7
	v_readlane_b32 s96, v254, 14
	s_mul_hi_i32 s9, s58, s96
	v_ldexp_f32 v12, v12, v16
	v_cndmask_b32_e32 v12, 0, v12, vcc
	v_cmp_nlt_f32_e32 vcc, s61, v7
	v_cndmask_b32_e32 v12, v247, v12, vcc
	v_add_f32_e32 v16, v12, v6
	v_mov_b32_e32 v7, s65
	v_cndmask_b32_e64 v12, v7, v12, s[94:95]
	v_cndmask_b32_e64 v7, v6, v16, s[94:95]
	v_sub_f32_e32 v6, v8, v18
	v_mul_f32_e32 v8, 0x3fb8aa3b, v6
	v_fma_f32 v16, v6, s74, -v8
	v_rndne_f32_e32 v17, v8
	v_fmac_f32_e32 v16, 0x32a5705f, v6
	v_sub_f32_e32 v8, v8, v17
	v_add_f32_e32 v8, v8, v16
	v_exp_f32_e32 v8, v8
	v_cvt_i32_f32_e32 v16, v17
	v_cmp_ngt_f32_e32 vcc, s75, v6
	s_mul_i32 s8, s58, s96
	s_lshl_b64 s[8:9], s[8:9], 2
	v_ldexp_f32 v8, v8, v16
	v_cndmask_b32_e32 v8, 0, v8, vcc
	v_cmp_nlt_f32_e32 vcc, s61, v6
	v_cndmask_b32_e32 v8, v247, v8, vcc
	v_add_f32_e32 v16, v8, v7
	v_mov_b32_e32 v6, s65
	v_cndmask_b32_e64 v67, v6, v8, s[92:93]
	v_cndmask_b32_e64 v6, v7, v16, s[92:93]
	v_sub_f32_e32 v7, v9, v18
	v_mul_f32_e32 v8, 0x3fb8aa3b, v7
	v_fma_f32 v9, v7, s74, -v8
	v_rndne_f32_e32 v16, v8
	v_fmac_f32_e32 v9, 0x32a5705f, v7
	v_sub_f32_e32 v8, v8, v16
	v_add_f32_e32 v8, v8, v9
	v_exp_f32_e32 v8, v8
	v_cvt_i32_f32_e32 v9, v16
	v_cmp_ngt_f32_e32 vcc, s75, v7
	v_readlane_b32 s97, v254, 15
	v_ldexp_f32 v8, v8, v9
	v_cndmask_b32_e32 v8, 0, v8, vcc
	v_cmp_nlt_f32_e32 vcc, s61, v7
	v_cndmask_b32_e32 v8, v247, v8, vcc
	v_mov_b32_e32 v7, s65
	v_add_f32_e32 v9, v8, v6
	v_cndmask_b32_e64 v68, v7, v8, s[90:91]
	v_mul_f32_e32 v7, 0x3fb8aa3b, v2
	v_cndmask_b32_e64 v6, v6, v9, s[90:91]
	v_fma_f32 v8, v2, s74, -v7
	v_rndne_f32_e32 v9, v7
	v_fmac_f32_e32 v8, 0x32a5705f, v2
	v_sub_f32_e32 v7, v7, v9
	v_add_f32_e32 v7, v7, v8
	v_exp_f32_e32 v7, v7
	v_cvt_i32_f32_e32 v8, v9
	v_cmp_ngt_f32_e32 vcc, s75, v2
	v_ldexp_f32 v7, v7, v8
	v_cndmask_b32_e32 v7, 0, v7, vcc
	v_cmp_nlt_f32_e32 vcc, s61, v2
	v_cndmask_b32_e32 v7, v247, v7, vcc
	v_add_f32_e32 v8, v7, v6
	v_mov_b32_e32 v2, s65
	v_cndmask_b32_e64 v69, v2, v7, s[88:89]
	v_cndmask_b32_e64 v2, v6, v8, s[88:89]
	v_mul_f32_e32 v6, 0x3fb8aa3b, v3
	v_fma_f32 v7, v3, s74, -v6
	v_rndne_f32_e32 v8, v6
	v_fmac_f32_e32 v7, 0x32a5705f, v3
	v_sub_f32_e32 v6, v6, v8
	v_add_f32_e32 v6, v6, v7
	v_exp_f32_e32 v6, v6
	v_cvt_i32_f32_e32 v7, v8
	v_cmp_ngt_f32_e32 vcc, s75, v3
	v_ldexp_f32 v6, v6, v7
	v_cndmask_b32_e32 v6, 0, v6, vcc
	v_cmp_nlt_f32_e32 vcc, s61, v3
	v_cndmask_b32_e32 v6, v247, v6, vcc
	v_add_f32_e32 v7, v6, v2
	v_mov_b32_e32 v3, s65
	v_cndmask_b32_e64 v70, v3, v6, s[86:87]
	v_cndmask_b32_e64 v3, v2, v7, s[86:87]
	v_sub_f32_e32 v2, v4, v18
	v_mul_f32_e32 v4, 0x3fb8aa3b, v2
	v_fma_f32 v6, v2, s74, -v4
	v_rndne_f32_e32 v7, v4
	v_fmac_f32_e32 v6, 0x32a5705f, v2
	v_sub_f32_e32 v4, v4, v7
	v_add_f32_e32 v4, v4, v6
	v_exp_f32_e32 v4, v4
	v_cvt_i32_f32_e32 v6, v7
	v_cmp_ngt_f32_e32 vcc, s75, v2
	v_ldexp_f32 v4, v4, v6
	v_cndmask_b32_e32 v4, 0, v4, vcc
	v_cmp_nlt_f32_e32 vcc, s61, v2
	v_cndmask_b32_e32 v4, v247, v4, vcc
	v_add_f32_e32 v6, v4, v3
	v_mov_b32_e32 v2, s65
	v_cndmask_b32_e64 v71, v2, v4, s[84:85]
	v_cndmask_b32_e64 v2, v3, v6, s[84:85]
	v_sub_f32_e32 v3, v5, v18
	v_mul_f32_e32 v4, 0x3fb8aa3b, v3
	v_fma_f32 v5, v3, s74, -v4
	v_rndne_f32_e32 v6, v4
	v_fmac_f32_e32 v5, 0x32a5705f, v3
	v_sub_f32_e32 v4, v4, v6
	v_add_f32_e32 v4, v4, v5
	v_exp_f32_e32 v4, v4
	v_cvt_i32_f32_e32 v5, v6
	v_cmp_ngt_f32_e32 vcc, s75, v3
	v_ldexp_f32 v4, v4, v5
	v_cndmask_b32_e32 v4, 0, v4, vcc
	v_cmp_nlt_f32_e32 vcc, s61, v3
	v_cndmask_b32_e32 v4, v247, v4, vcc
	v_add_f32_e32 v5, v4, v2
	v_mov_b32_e32 v3, s65
	v_cndmask_b32_e64 v27, v2, v5, s[42:43]
	v_sub_f32_e32 v2, v61, v18
	v_cndmask_b32_e64 v3, v3, v4, s[42:43]
	v_mul_f32_e32 v4, 0x3fb8aa3b, v2
	v_fma_f32 v5, v2, s74, -v4
	v_rndne_f32_e32 v6, v4
	v_fmac_f32_e32 v5, 0x32a5705f, v2
	v_sub_f32_e32 v4, v4, v6
	v_add_f32_e32 v4, v4, v5
	v_exp_f32_e32 v4, v4
	v_cvt_i32_f32_e32 v5, v6
	v_cmp_ngt_f32_e32 vcc, s75, v2
	v_cvt_f16_f32_e32 v3, v3
	v_readlane_b32 s42, v254, 24
	v_ldexp_f32 v4, v4, v5
	v_cndmask_b32_e32 v4, 0, v4, vcc
	v_cmp_nlt_f32_e32 vcc, s61, v2
	v_cndmask_b32_e32 v4, v247, v4, vcc
	v_cmp_le_f32_e32 vcc, s44, v2
	v_cndmask_b32_e32 v2, 0, v4, vcc
	v_fmac_f32_e32 v27, v32, v2
	v_cvt_f16_f32_e32 v2, v2
	v_cvt_f16_f32_e32 v4, v41
	;; [unrolled: 1-line block ×3, first 2 shown]
	s_add_u32 s8, s42, s8
	v_pk_mul_f16 v61, v2, v112 op_sel_hi:[0,1]
	v_pk_mul_f16 v33, v2, v0 op_sel_hi:[0,1]
	;; [unrolled: 1-line block ×16, first 2 shown]
	v_cvt_f16_f32_e32 v2, v14
	v_readlane_b32 s42, v254, 26
	s_addc_u32 s9, s42, s9
	s_mov_b64 s[42:43], src_private_base
	v_pack_b32_f16 v8, v2, v4
	v_cvt_f16_f32_e32 v2, v60
	v_cvt_f16_f32_e32 v4, v15
	v_mov_b32_e32 v41, s43
	v_mov_b32_e32 v60, s66
	v_pack_b32_f16 v9, v2, v4
	v_cvt_f16_f32_e32 v2, v65
	v_cvt_f16_f32_e32 v4, v66
	v_pack_b32_f16 v6, v2, v4
	v_cvt_f16_f32_e32 v2, v10
	v_cvt_f16_f32_e32 v4, v11
	;; [unrolled: 1-line block ×3, first 2 shown]
	v_mov_b32_e32 v11, s9
	v_pack_b32_f16 v7, v2, v4
	v_cvt_f16_f32_e32 v2, v13
	v_cvt_f16_f32_e32 v4, v12
	v_pack_b32_f16 v4, v2, v4
	v_cvt_f16_f32_e32 v2, v67
	v_pack_b32_f16 v5, v2, v5
	;; [unrolled: 2-line block ×4, first 2 shown]
	v_add_co_u32_e32 v10, vcc, s8, v42
	v_addc_co_u32_e32 v11, vcc, v11, v43, vcc
	v_add_co_u32_e32 v10, vcc, v10, v64
	v_addc_co_u32_e32 v11, vcc, 0, v11, vcc
	v_cndmask_b32_e64 v67, v41, v11, s[76:77]
	v_cndmask_b32_e64 v66, v60, v10, s[76:77]
	v_add_co_u32_e32 v10, vcc, s8, v44
	v_mov_b32_e32 v11, s9
	v_addc_co_u32_e32 v11, vcc, v11, v45, vcc
	v_add_co_u32_e32 v10, vcc, v10, v64
	v_addc_co_u32_e32 v11, vcc, 0, v11, vcc
	v_cndmask_b32_e64 v15, v41, v11, s[78:79]
	v_cndmask_b32_e64 v14, v60, v10, s[78:79]
	v_add_co_u32_e32 v10, vcc, s8, v46
	v_mov_b32_e32 v11, s9
	;; [unrolled: 7-line block ×3, first 2 shown]
	v_addc_co_u32_e32 v11, vcc, v11, v49, vcc
	v_add_co_u32_e32 v10, vcc, v10, v64
	flat_load_dwordx4 v[64:67], v[66:67]
	v_addc_co_u32_e32 v11, vcc, 0, v11, vcc
	v_cndmask_b32_e64 v11, v41, v11, s[82:83]
	v_cndmask_b32_e64 v10, v60, v10, s[82:83]
	v_readlane_b32 s8, v254, 27
	v_readlane_b32 s9, v254, 28
	s_cmp_lg_u64 s[8:9], 0
	s_waitcnt vmcnt(0) lgkmcnt(0)
	ds_write_b128 v135, v[64:67]
	flat_load_dwordx4 v[64:67], v[14:15]
	s_waitcnt vmcnt(0) lgkmcnt(0)
	ds_write_b128 v226, v[64:67]
	flat_load_dwordx4 v[12:15], v[12:13]
	v_cvt_f32_f16_sdwa v65, v30 dst_sel:DWORD dst_unused:UNUSED_PAD src0_sel:WORD_1
	v_cvt_f32_f16_e32 v66, v29
	v_cvt_f32_f16_sdwa v67, v29 dst_sel:DWORD dst_unused:UNUSED_PAD src0_sel:WORD_1
	s_waitcnt vmcnt(0) lgkmcnt(0)
	ds_write_b128 v228, v[12:15]
	flat_load_dwordx4 v[10:13], v[10:11]
	s_waitcnt vmcnt(0) lgkmcnt(0)
	ds_write_b128 v230, v[10:13]
	s_waitcnt lgkmcnt(0)
	s_barrier
	ds_read_u16 v14, v141 offset:544
	v_cvt_f32_f16_e32 v12, v33
	v_cvt_f32_f16_sdwa v13, v33 dst_sel:DWORD dst_unused:UNUSED_PAD src0_sel:WORD_1
	ds_read_u16 v15, v142
	ds_read_u16 v33, v142 offset:32
	v_cvt_f32_f16_e32 v10, v61
	v_cvt_f32_f16_sdwa v11, v61 dst_sel:DWORD dst_unused:UNUSED_PAD src0_sel:WORD_1
	s_waitcnt lgkmcnt(1)
	v_perm_b32 v15, v15, v14, s62
	ds_read_u16 v14, v167
	ds_read_u16 v41, v167 offset:32
	ds_read_u16 v60, v141 offset:272
	ds_read_u16 v61, v141 offset:304
	s_waitcnt lgkmcnt(1)
	v_perm_b32 v14, v60, v14, s62
	s_nop 1
	v_mfma_f32_16x16x16f16 v[10:13], v[14:15], v[8:9], v[10:13]
	ds_read_u16 v14, v167 offset:4352
	ds_read_u16 v60, v141 offset:4624
	;; [unrolled: 1-line block ×4, first 2 shown]
	s_waitcnt lgkmcnt(2)
	v_perm_b32 v14, v60, v14, s62
	s_waitcnt lgkmcnt(0)
	v_perm_b32 v15, v64, v15, s62
	s_nop 2
	v_cvt_f16_f32_e32 v10, v10
	v_cvt_f16_f32_e32 v11, v11
	;; [unrolled: 1-line block ×4, first 2 shown]
	v_cvt_f32_f16_e32 v10, v10
	v_cvt_f32_f16_e32 v11, v11
	;; [unrolled: 1-line block ×4, first 2 shown]
	s_nop 1
	v_mfma_f32_16x16x16f16 v[10:13], v[14:15], v[6:7], v[10:13]
	ds_read_u16 v14, v167 offset:8704
	ds_read_u16 v60, v141 offset:8976
	;; [unrolled: 1-line block ×4, first 2 shown]
	s_waitcnt lgkmcnt(2)
	v_perm_b32 v14, v60, v14, s62
	s_waitcnt lgkmcnt(0)
	v_perm_b32 v15, v64, v15, s62
	s_nop 2
	v_cvt_f16_f32_e32 v10, v10
	v_cvt_f16_f32_e32 v11, v11
	;; [unrolled: 1-line block ×4, first 2 shown]
	v_cvt_f32_f16_e32 v10, v10
	v_cvt_f32_f16_e32 v11, v11
	;; [unrolled: 1-line block ×4, first 2 shown]
	s_nop 1
	v_mfma_f32_16x16x16f16 v[10:13], v[14:15], v[4:5], v[10:13]
	ds_read_u16 v14, v167 offset:13056
	ds_read_u16 v60, v141 offset:13328
	;; [unrolled: 1-line block ×4, first 2 shown]
	s_waitcnt lgkmcnt(2)
	v_perm_b32 v14, v60, v14, s62
	ds_read_u16 v60, v170 offset:544
	s_waitcnt lgkmcnt(1)
	v_perm_b32 v15, v64, v15, s62
	v_cvt_f32_f16_e32 v64, v30
	s_nop 0
	v_cvt_f16_f32_e32 v10, v10
	v_cvt_f16_f32_e32 v11, v11
	;; [unrolled: 1-line block ×4, first 2 shown]
	v_cvt_f32_f16_e32 v10, v10
	v_cvt_f32_f16_e32 v11, v11
	;; [unrolled: 1-line block ×4, first 2 shown]
	s_waitcnt lgkmcnt(0)
	v_perm_b32 v33, v33, v60, s62
	v_mfma_f32_16x16x16f16 v[10:13], v[14:15], v[2:3], v[10:13]
	v_cvt_f32_f16_e32 v14, v31
	v_cvt_f32_f16_sdwa v15, v31 dst_sel:DWORD dst_unused:UNUSED_PAD src0_sel:WORD_1
	s_nop 7
	s_nop 0
	v_cvt_f16_f32_e32 v10, v10
	v_cvt_f16_f32_e32 v11, v11
	;; [unrolled: 1-line block ×4, first 2 shown]
	v_pack_b32_f16 v10, v10, v11
	v_pack_b32_f16 v11, v12, v13
	v_cvt_f32_f16_e32 v12, v32
	v_cvt_f32_f16_sdwa v13, v32 dst_sel:DWORD dst_unused:UNUSED_PAD src0_sel:WORD_1
	v_perm_b32 v32, v61, v41, s62
	s_nop 1
	v_mfma_f32_16x16x16f16 v[12:15], v[32:33], v[8:9], v[12:15]
	ds_read_u16 v31, v167 offset:4384
	ds_read_u16 v32, v141 offset:4656
	ds_read_u16 v33, v146 offset:544
	ds_read_u16 v41, v142 offset:4384
	s_waitcnt lgkmcnt(2)
	v_perm_b32 v32, v32, v31, s62
	s_waitcnt lgkmcnt(0)
	v_perm_b32 v33, v41, v33, s62
	s_nop 2
	v_cvt_f16_f32_e32 v12, v12
	v_cvt_f16_f32_e32 v13, v13
	v_cvt_f16_f32_e32 v14, v14
	v_cvt_f16_f32_e32 v15, v15
	v_cvt_f32_f16_e32 v12, v12
	v_cvt_f32_f16_e32 v13, v13
	v_cvt_f32_f16_e32 v14, v14
	v_cvt_f32_f16_e32 v15, v15
	s_nop 1
	v_mfma_f32_16x16x16f16 v[12:15], v[32:33], v[6:7], v[12:15]
	ds_read_u16 v31, v167 offset:8736
	ds_read_u16 v32, v141 offset:9008
	ds_read_u16 v33, v147 offset:544
	ds_read_u16 v41, v142 offset:8736
	s_waitcnt lgkmcnt(2)
	v_perm_b32 v32, v32, v31, s62
	s_waitcnt lgkmcnt(0)
	v_perm_b32 v33, v41, v33, s62
	s_nop 2
	v_cvt_f16_f32_e32 v12, v12
	v_cvt_f16_f32_e32 v13, v13
	v_cvt_f16_f32_e32 v14, v14
	v_cvt_f16_f32_e32 v15, v15
	v_cvt_f32_f16_e32 v12, v12
	v_cvt_f32_f16_e32 v13, v13
	v_cvt_f32_f16_e32 v14, v14
	v_cvt_f32_f16_e32 v15, v15
	;; [unrolled: 19-line block ×3, first 2 shown]
	s_nop 1
	v_mfma_f32_16x16x16f16 v[12:15], v[32:33], v[2:3], v[12:15]
	s_nop 7
	s_nop 2
	v_cvt_f16_f32_e32 v12, v12
	v_cvt_f16_f32_e32 v13, v13
	v_cvt_f16_f32_e32 v14, v14
	v_cvt_f16_f32_e32 v15, v15
	v_pack_b32_f16 v12, v12, v13
	v_pack_b32_f16 v13, v14, v15
	ds_read_u16 v14, v167 offset:64
	ds_read_u16 v31, v141 offset:336
	;; [unrolled: 1-line block ×4, first 2 shown]
	s_waitcnt lgkmcnt(2)
	v_perm_b32 v14, v31, v14, s62
	s_waitcnt lgkmcnt(0)
	v_perm_b32 v15, v32, v15, s62
	s_nop 1
	v_mfma_f32_16x16x16f16 v[30:33], v[14:15], v[8:9], v[64:67]
	ds_read_u16 v41, v167 offset:4416
	ds_read_u16 v60, v141 offset:4688
	;; [unrolled: 1-line block ×3, first 2 shown]
	s_nop 3
	ds_read_u16 v64, v142 offset:4416
	s_nop 2
	v_cvt_f16_f32_e32 v14, v30
	v_cvt_f16_f32_e32 v15, v31
	;; [unrolled: 1-line block ×4, first 2 shown]
	v_cvt_f32_f16_e32 v30, v14
	v_cvt_f32_f16_e32 v31, v15
	s_waitcnt lgkmcnt(0)
	v_perm_b32 v15, v64, v61, s62
	v_perm_b32 v14, v60, v41, s62
	v_cvt_f32_f16_e32 v32, v29
	v_cvt_f32_f16_e32 v33, v33
	ds_read_u16 v41, v167 offset:8768
	ds_read_u16 v60, v141 offset:9040
	;; [unrolled: 1-line block ×4, first 2 shown]
	v_mfma_f32_16x16x16f16 v[30:33], v[14:15], v[6:7], v[30:33]
	s_nop 7
	s_nop 2
	v_cvt_f16_f32_e32 v14, v30
	v_cvt_f16_f32_e32 v15, v31
	;; [unrolled: 1-line block ×4, first 2 shown]
	v_cvt_f32_f16_e32 v30, v14
	v_cvt_f32_f16_e32 v31, v15
	s_waitcnt lgkmcnt(0)
	v_perm_b32 v15, v64, v61, s62
	v_perm_b32 v14, v60, v41, s62
	v_cvt_f32_f16_e32 v32, v29
	v_cvt_f32_f16_e32 v33, v33
	ds_read_u16 v41, v167 offset:13120
	ds_read_u16 v60, v141 offset:13392
	;; [unrolled: 1-line block ×4, first 2 shown]
	v_mfma_f32_16x16x16f16 v[30:33], v[14:15], v[4:5], v[30:33]
	s_nop 7
	s_nop 2
	v_cvt_f16_f32_e32 v14, v30
	v_cvt_f16_f32_e32 v15, v31
	;; [unrolled: 1-line block ×4, first 2 shown]
	v_cvt_f32_f16_e32 v30, v14
	v_cvt_f32_f16_e32 v31, v15
	s_waitcnt lgkmcnt(0)
	v_perm_b32 v15, v64, v61, s62
	v_perm_b32 v14, v60, v41, s62
	v_cvt_f32_f16_e32 v32, v29
	v_cvt_f32_f16_e32 v33, v33
	s_nop 1
	v_mfma_f32_16x16x16f16 v[30:33], v[14:15], v[2:3], v[30:33]
	s_nop 7
	s_nop 2
	v_cvt_f16_f32_e32 v14, v30
	v_cvt_f16_f32_e32 v15, v31
	v_cvt_f16_f32_e32 v29, v32
	v_cvt_f16_f32_e32 v30, v33
	v_cvt_f32_f16_sdwa v31, v17 dst_sel:DWORD dst_unused:UNUSED_PAD src0_sel:WORD_1
	v_pack_b32_f16 v14, v14, v15
	v_cvt_f32_f16_e32 v32, v16
	v_pack_b32_f16 v15, v29, v30
	ds_read_u16 v29, v167 offset:96
	ds_read_u16 v41, v141 offset:368
	;; [unrolled: 1-line block ×4, first 2 shown]
	v_cvt_f32_f16_e32 v30, v17
	v_cvt_f32_f16_sdwa v33, v16 dst_sel:DWORD dst_unused:UNUSED_PAD src0_sel:WORD_1
	s_waitcnt lgkmcnt(2)
	v_perm_b32 v16, v41, v29, s62
	s_waitcnt lgkmcnt(0)
	v_perm_b32 v17, v61, v60, s62
	ds_read_u16 v41, v167 offset:4448
	ds_read_u16 v60, v141 offset:4720
	ds_read_u16 v61, v153 offset:544
	ds_read_u16 v64, v142 offset:4448
	v_mfma_f32_16x16x16f16 v[30:33], v[16:17], v[8:9], v[30:33]
	s_nop 7
	s_nop 2
	v_cvt_f16_f32_e32 v16, v30
	v_cvt_f16_f32_e32 v17, v31
	v_cvt_f16_f32_e32 v29, v32
	v_cvt_f16_f32_e32 v33, v33
	v_cvt_f32_f16_e32 v30, v16
	v_cvt_f32_f16_e32 v31, v17
	s_waitcnt lgkmcnt(0)
	v_perm_b32 v17, v64, v61, s62
	v_perm_b32 v16, v60, v41, s62
	v_cvt_f32_f16_e32 v32, v29
	v_cvt_f32_f16_e32 v33, v33
	ds_read_u16 v41, v167 offset:8800
	ds_read_u16 v60, v141 offset:9072
	ds_read_u16 v61, v157 offset:544
	ds_read_u16 v64, v142 offset:8800
	v_mfma_f32_16x16x16f16 v[30:33], v[16:17], v[6:7], v[30:33]
	s_nop 7
	s_nop 2
	v_cvt_f16_f32_e32 v16, v30
	v_cvt_f16_f32_e32 v17, v31
	v_cvt_f16_f32_e32 v29, v32
	v_cvt_f16_f32_e32 v33, v33
	v_cvt_f32_f16_e32 v30, v16
	v_cvt_f32_f16_e32 v31, v17
	s_waitcnt lgkmcnt(0)
	v_perm_b32 v17, v64, v61, s62
	v_perm_b32 v16, v60, v41, s62
	v_cvt_f32_f16_e32 v32, v29
	v_cvt_f32_f16_e32 v33, v33
	;; [unrolled: 18-line block ×3, first 2 shown]
	s_nop 1
	v_mfma_f32_16x16x16f16 v[30:33], v[16:17], v[2:3], v[30:33]
	s_nop 7
	s_nop 2
	v_cvt_f16_f32_e32 v16, v30
	v_cvt_f16_f32_e32 v17, v31
	v_cvt_f16_f32_e32 v29, v32
	v_cvt_f16_f32_e32 v30, v33
	v_cvt_f32_f16_sdwa v31, v21 dst_sel:DWORD dst_unused:UNUSED_PAD src0_sel:WORD_1
	v_pack_b32_f16 v16, v16, v17
	v_cvt_f32_f16_e32 v32, v20
	v_pack_b32_f16 v17, v29, v30
	ds_read_u16 v29, v167 offset:128
	ds_read_u16 v41, v141 offset:400
	ds_read_u16 v60, v160 offset:544
	ds_read_u16 v61, v142 offset:128
	v_cvt_f32_f16_e32 v30, v21
	v_cvt_f32_f16_sdwa v33, v20 dst_sel:DWORD dst_unused:UNUSED_PAD src0_sel:WORD_1
	s_waitcnt lgkmcnt(2)
	v_perm_b32 v20, v41, v29, s62
	s_waitcnt lgkmcnt(0)
	v_perm_b32 v21, v61, v60, s62
	ds_read_u16 v41, v167 offset:4480
	ds_read_u16 v60, v141 offset:4752
	ds_read_u16 v61, v161 offset:544
	ds_read_u16 v64, v142 offset:4480
	v_mfma_f32_16x16x16f16 v[30:33], v[20:21], v[8:9], v[30:33]
	s_nop 7
	s_nop 2
	v_cvt_f16_f32_e32 v20, v30
	v_cvt_f16_f32_e32 v21, v31
	v_cvt_f16_f32_e32 v29, v32
	v_cvt_f16_f32_e32 v33, v33
	v_cvt_f32_f16_e32 v30, v20
	v_cvt_f32_f16_e32 v31, v21
	s_waitcnt lgkmcnt(0)
	v_perm_b32 v21, v64, v61, s62
	v_perm_b32 v20, v60, v41, s62
	v_cvt_f32_f16_e32 v32, v29
	v_cvt_f32_f16_e32 v33, v33
	ds_read_u16 v41, v167 offset:8832
	ds_read_u16 v60, v141 offset:9104
	ds_read_u16 v61, v162 offset:544
	ds_read_u16 v64, v142 offset:8832
	v_mfma_f32_16x16x16f16 v[30:33], v[20:21], v[6:7], v[30:33]
	s_nop 7
	s_nop 2
	v_cvt_f16_f32_e32 v20, v30
	v_cvt_f16_f32_e32 v21, v31
	v_cvt_f16_f32_e32 v29, v32
	v_cvt_f16_f32_e32 v33, v33
	v_cvt_f32_f16_e32 v30, v20
	v_cvt_f32_f16_e32 v31, v21
	s_waitcnt lgkmcnt(0)
	v_perm_b32 v21, v64, v61, s62
	v_perm_b32 v20, v60, v41, s62
	v_cvt_f32_f16_e32 v32, v29
	v_cvt_f32_f16_e32 v33, v33
	ds_read_u16 v41, v167 offset:13184
	ds_read_u16 v60, v141 offset:13456
	ds_read_u16 v61, v166 offset:544
	ds_read_u16 v64, v142 offset:13184
	v_mfma_f32_16x16x16f16 v[30:33], v[20:21], v[4:5], v[30:33]
	s_nop 7
	s_nop 2
	v_cvt_f16_f32_e32 v20, v30
	v_cvt_f16_f32_e32 v21, v31
	v_cvt_f16_f32_e32 v29, v32
	v_cvt_f16_f32_e32 v33, v33
	v_cvt_f32_f16_e32 v30, v20
	v_cvt_f32_f16_e32 v31, v21
	s_waitcnt lgkmcnt(0)
	v_perm_b32 v21, v64, v61, s62
	v_perm_b32 v20, v60, v41, s62
	v_cvt_f32_f16_e32 v32, v29
	v_cvt_f32_f16_e32 v33, v33
	s_nop 1
	v_mfma_f32_16x16x16f16 v[30:33], v[20:21], v[2:3], v[30:33]
	s_nop 7
	s_nop 2
	v_cvt_f16_f32_e32 v20, v30
	v_cvt_f16_f32_e32 v21, v31
	;; [unrolled: 1-line block ×4, first 2 shown]
	v_cvt_f32_f16_sdwa v31, v23 dst_sel:DWORD dst_unused:UNUSED_PAD src0_sel:WORD_1
	v_pack_b32_f16 v20, v20, v21
	v_cvt_f32_f16_e32 v32, v22
	v_pack_b32_f16 v21, v29, v30
	ds_read_u16 v29, v167 offset:160
	ds_read_u16 v41, v141 offset:432
	;; [unrolled: 1-line block ×4, first 2 shown]
	v_cvt_f32_f16_e32 v30, v23
	v_cvt_f32_f16_sdwa v33, v22 dst_sel:DWORD dst_unused:UNUSED_PAD src0_sel:WORD_1
	s_waitcnt lgkmcnt(2)
	v_perm_b32 v22, v41, v29, s62
	s_waitcnt lgkmcnt(0)
	v_perm_b32 v23, v61, v60, s62
	ds_read_u16 v41, v167 offset:4512
	ds_read_u16 v60, v141 offset:4784
	ds_read_u16 v61, v169 offset:544
	ds_read_u16 v64, v142 offset:4512
	v_mfma_f32_16x16x16f16 v[30:33], v[22:23], v[8:9], v[30:33]
	s_nop 7
	s_nop 2
	v_cvt_f16_f32_e32 v22, v30
	v_cvt_f16_f32_e32 v23, v31
	v_cvt_f16_f32_e32 v29, v32
	v_cvt_f16_f32_e32 v33, v33
	v_cvt_f32_f16_e32 v30, v22
	v_cvt_f32_f16_e32 v31, v23
	s_waitcnt lgkmcnt(0)
	v_perm_b32 v23, v64, v61, s62
	v_perm_b32 v22, v60, v41, s62
	v_cvt_f32_f16_e32 v32, v29
	v_cvt_f32_f16_e32 v33, v33
	ds_read_u16 v41, v167 offset:8864
	ds_read_u16 v60, v141 offset:9136
	ds_read_u16 v61, v172 offset:544
	ds_read_u16 v64, v142 offset:8864
	v_mfma_f32_16x16x16f16 v[30:33], v[22:23], v[6:7], v[30:33]
	s_nop 7
	s_nop 2
	v_cvt_f16_f32_e32 v22, v30
	v_cvt_f16_f32_e32 v23, v31
	v_cvt_f16_f32_e32 v29, v32
	v_cvt_f16_f32_e32 v33, v33
	v_cvt_f32_f16_e32 v30, v22
	v_cvt_f32_f16_e32 v31, v23
	s_waitcnt lgkmcnt(0)
	v_perm_b32 v23, v64, v61, s62
	v_perm_b32 v22, v60, v41, s62
	v_cvt_f32_f16_e32 v32, v29
	v_cvt_f32_f16_e32 v33, v33
	;; [unrolled: 18-line block ×3, first 2 shown]
	s_nop 1
	v_mfma_f32_16x16x16f16 v[30:33], v[22:23], v[2:3], v[30:33]
	s_nop 7
	s_nop 2
	v_cvt_f16_f32_e32 v22, v30
	v_cvt_f16_f32_e32 v23, v31
	v_cvt_f16_f32_e32 v29, v32
	v_cvt_f16_f32_e32 v30, v33
	v_cvt_f32_f16_sdwa v31, v25 dst_sel:DWORD dst_unused:UNUSED_PAD src0_sel:WORD_1
	v_pack_b32_f16 v22, v22, v23
	v_cvt_f32_f16_e32 v32, v24
	v_pack_b32_f16 v23, v29, v30
	ds_read_u16 v29, v167 offset:192
	ds_read_u16 v41, v141 offset:464
	;; [unrolled: 1-line block ×4, first 2 shown]
	v_cvt_f32_f16_e32 v30, v25
	v_cvt_f32_f16_sdwa v33, v24 dst_sel:DWORD dst_unused:UNUSED_PAD src0_sel:WORD_1
	s_waitcnt lgkmcnt(2)
	v_perm_b32 v24, v41, v29, s62
	s_waitcnt lgkmcnt(0)
	v_perm_b32 v25, v61, v60, s62
	ds_read_u16 v41, v167 offset:4544
	ds_read_u16 v60, v141 offset:4816
	ds_read_u16 v61, v175 offset:544
	ds_read_u16 v64, v142 offset:4544
	v_mfma_f32_16x16x16f16 v[30:33], v[24:25], v[8:9], v[30:33]
	s_nop 7
	s_nop 2
	v_cvt_f16_f32_e32 v24, v30
	v_cvt_f16_f32_e32 v25, v31
	v_cvt_f16_f32_e32 v29, v32
	v_cvt_f16_f32_e32 v33, v33
	v_cvt_f32_f16_e32 v30, v24
	v_cvt_f32_f16_e32 v31, v25
	s_waitcnt lgkmcnt(0)
	v_perm_b32 v25, v64, v61, s62
	v_perm_b32 v24, v60, v41, s62
	v_cvt_f32_f16_e32 v32, v29
	v_cvt_f32_f16_e32 v33, v33
	ds_read_u16 v41, v167 offset:8896
	ds_read_u16 v60, v141 offset:9168
	ds_read_u16 v61, v176 offset:544
	ds_read_u16 v64, v142 offset:8896
	v_mfma_f32_16x16x16f16 v[30:33], v[24:25], v[6:7], v[30:33]
	s_nop 7
	s_nop 2
	v_cvt_f16_f32_e32 v24, v30
	v_cvt_f16_f32_e32 v25, v31
	v_cvt_f16_f32_e32 v29, v32
	v_cvt_f16_f32_e32 v33, v33
	v_cvt_f32_f16_e32 v30, v24
	v_cvt_f32_f16_e32 v31, v25
	s_waitcnt lgkmcnt(0)
	v_perm_b32 v25, v64, v61, s62
	v_perm_b32 v24, v60, v41, s62
	v_cvt_f32_f16_e32 v32, v29
	v_cvt_f32_f16_e32 v33, v33
	;; [unrolled: 18-line block ×3, first 2 shown]
	s_nop 1
	v_mfma_f32_16x16x16f16 v[30:33], v[24:25], v[2:3], v[30:33]
	s_nop 7
	s_nop 2
	v_cvt_f16_f32_e32 v24, v30
	v_cvt_f16_f32_e32 v25, v31
	;; [unrolled: 1-line block ×4, first 2 shown]
	v_cvt_f32_f16_sdwa v31, v28 dst_sel:DWORD dst_unused:UNUSED_PAD src0_sel:WORD_1
	v_pack_b32_f16 v24, v24, v25
	v_cvt_f32_f16_e32 v32, v0
	v_pack_b32_f16 v25, v29, v30
	ds_read_u16 v41, v167 offset:224
	ds_read_u16 v60, v141 offset:496
	;; [unrolled: 1-line block ×4, first 2 shown]
	v_cvt_f32_f16_e32 v30, v28
	v_cvt_f32_f16_sdwa v33, v0 dst_sel:DWORD dst_unused:UNUSED_PAD src0_sel:WORD_1
	s_waitcnt lgkmcnt(2)
	v_perm_b32 v28, v60, v41, s62
	s_waitcnt lgkmcnt(0)
	v_perm_b32 v29, v61, v29, s62
	s_nop 1
	v_mfma_f32_16x16x16f16 v[28:31], v[28:29], v[8:9], v[30:33]
	s_nop 6
	ds_read_u16 v32, v167 offset:4576
	ds_read_u16 v33, v141 offset:4848
	;; [unrolled: 1-line block ×4, first 2 shown]
	v_cvt_f16_f32_e32 v8, v29
	v_cvt_f16_f32_e32 v9, v30
	;; [unrolled: 1-line block ×4, first 2 shown]
	v_cvt_f32_f16_e32 v29, v8
	v_cvt_f32_f16_e32 v30, v9
	s_waitcnt lgkmcnt(0)
	v_perm_b32 v9, v60, v41, s62
	v_perm_b32 v8, v33, v32, s62
	v_cvt_f32_f16_e32 v28, v0
	v_cvt_f32_f16_e32 v31, v31
	s_nop 1
	v_mfma_f32_16x16x16f16 v[6:9], v[8:9], v[6:7], v[28:31]
	s_nop 6
	ds_read_u16 v28, v167 offset:8928
	ds_read_u16 v30, v141 offset:9200
	;; [unrolled: 1-line block ×4, first 2 shown]
	s_waitcnt lgkmcnt(2)
	v_perm_b32 v28, v30, v28, s62
	s_waitcnt lgkmcnt(0)
	v_perm_b32 v29, v31, v29, s62
	v_cvt_f16_f32_e32 v0, v6
	v_cvt_f16_f32_e32 v7, v7
	;; [unrolled: 1-line block ×4, first 2 shown]
	v_cvt_f32_f16_e32 v6, v0
	v_cvt_f32_f16_e32 v7, v7
	;; [unrolled: 1-line block ×4, first 2 shown]
	s_nop 1
	v_mfma_f32_16x16x16f16 v[4:7], v[28:29], v[4:5], v[6:9]
	ds_read_u16 v0, v167 offset:13280
	s_nop 5
	ds_read_u16 v8, v141 offset:13552
	ds_read_u16 v9, v181 offset:544
	;; [unrolled: 1-line block ×3, first 2 shown]
	s_waitcnt lgkmcnt(0)
	s_barrier
	v_perm_b32 v8, v8, v0, s62
	v_perm_b32 v9, v28, v9, s62
	v_cvt_f16_f32_e32 v4, v4
	v_cvt_f16_f32_e32 v5, v5
	;; [unrolled: 1-line block ×4, first 2 shown]
	v_cvt_f32_f16_e32 v4, v4
	v_cvt_f32_f16_e32 v5, v5
	;; [unrolled: 1-line block ×4, first 2 shown]
	s_nop 1
	v_mfma_f32_16x16x16f16 v[2:5], v[8:9], v[2:3], v[4:7]
	s_nop 7
	s_nop 2
	v_cvt_f16_f32_e32 v0, v2
	v_cvt_f16_f32_e32 v2, v3
	;; [unrolled: 1-line block ×4, first 2 shown]
	v_pack_b32_f16 v2, v0, v2
	ds_bpermute_b32 v0, v26, v27
	v_pack_b32_f16 v3, v3, v4
	s_waitcnt lgkmcnt(0)
	v_add_f32_e32 v0, v27, v0
	ds_bpermute_b32 v4, v19, v0
	s_waitcnt lgkmcnt(0)
	v_add_f32_e32 v19, v0, v4
	s_cbranch_scc0 .LBB24_127
; %bb.126:                              ;   in Loop: Header=BB24_13 Depth=1
	global_load_dword v0, v209, s[8:9]
	v_max_f32_e32 v4, v18, v18
	s_mov_b64 s[8:9], 0
	s_waitcnt vmcnt(0)
	v_max_f32_e32 v5, v0, v0
	v_max_f32_e32 v4, v4, v5
	v_sub_f32_e32 v5, v18, v4
	v_sub_f32_e32 v0, v0, v4
	v_mul_f32_e32 v6, 0x3fb8aa3b, v5
	v_mul_f32_e32 v7, 0x3fb8aa3b, v0
	v_fma_f32 v8, v5, s74, -v6
	v_rndne_f32_e32 v9, v6
	v_fma_f32 v26, v0, s74, -v7
	v_rndne_f32_e32 v27, v7
	v_fmac_f32_e32 v8, 0x32a5705f, v5
	v_sub_f32_e32 v6, v6, v9
	v_fmac_f32_e32 v26, 0x32a5705f, v0
	v_sub_f32_e32 v7, v7, v27
	v_add_f32_e32 v6, v6, v8
	v_cvt_i32_f32_e32 v9, v9
	v_add_f32_e32 v7, v7, v26
	v_exp_f32_e32 v6, v6
	v_cvt_i32_f32_e32 v27, v27
	v_exp_f32_e32 v7, v7
	v_cmp_ngt_f32_e32 vcc, s75, v5
	v_ldexp_f32 v6, v6, v9
	v_cndmask_b32_e32 v6, 0, v6, vcc
	v_ldexp_f32 v7, v7, v27
	v_cmp_ngt_f32_e32 vcc, s75, v0
	v_cndmask_b32_e32 v7, 0, v7, vcc
	v_cmp_nlt_f32_e32 vcc, s61, v5
	v_cndmask_b32_e32 v6, v247, v6, vcc
	v_cmp_le_f32_e32 vcc, s44, v5
	v_cndmask_b32_e32 v6, 0, v6, vcc
	v_cvt_f16_f32_e32 v41, v6
	v_cmp_nlt_f32_e32 vcc, s61, v0
	v_cndmask_b32_e32 v5, v247, v7, vcc
	v_fmac_f32_e32 v5, v19, v6
	v_pk_mul_f16 v6, v41, v10 op_sel_hi:[0,1]
	v_pk_mul_f16 v7, v41, v11 op_sel_hi:[0,1]
	;; [unrolled: 1-line block ×16, first 2 shown]
	s_branch .LBB24_128
.LBB24_127:                             ;   in Loop: Header=BB24_13 Depth=1
	s_mov_b64 s[8:9], -1
                                        ; implicit-def: $vgpr4_vgpr5
                                        ; implicit-def: $vgpr6_vgpr7
                                        ; implicit-def: $vgpr8_vgpr9
                                        ; implicit-def: $vgpr26_vgpr27
                                        ; implicit-def: $vgpr28_vgpr29
                                        ; implicit-def: $vgpr30_vgpr31
                                        ; implicit-def: $vgpr32_vgpr33
                                        ; implicit-def: $vgpr64_vgpr65
                                        ; implicit-def: $vgpr66_vgpr67
.LBB24_128:                             ;   in Loop: Header=BB24_13 Depth=1
	v_readlane_b32 s67, v254, 19
	v_readlane_b32 s94, v254, 35
	s_mov_b32 s97, 0xc1a00000
	s_andn2_b64 vcc, exec, s[8:9]
	v_readlane_b32 s98, v254, 16
	v_readlane_b32 s95, v254, 36
	;; [unrolled: 1-line block ×3, first 2 shown]
	s_cbranch_vccnz .LBB24_130
; %bb.129:                              ;   in Loop: Header=BB24_13 Depth=1
	v_pk_mov_b32 v[66:67], v[2:3], v[2:3] op_sel:[0,1]
	v_pk_mov_b32 v[64:65], v[24:25], v[24:25] op_sel:[0,1]
	v_pk_mov_b32 v[32:33], v[22:23], v[22:23] op_sel:[0,1]
	v_pk_mov_b32 v[30:31], v[20:21], v[20:21] op_sel:[0,1]
	v_pk_mov_b32 v[28:29], v[16:17], v[16:17] op_sel:[0,1]
	v_pk_mov_b32 v[26:27], v[14:15], v[14:15] op_sel:[0,1]
	v_pk_mov_b32 v[8:9], v[12:13], v[12:13] op_sel:[0,1]
	v_pk_mov_b32 v[6:7], v[10:11], v[10:11] op_sel:[0,1]
	v_pk_mov_b32 v[4:5], v[18:19], v[18:19] op_sel:[0,1]
.LBB24_130:                             ;   in Loop: Header=BB24_13 Depth=1
	s_barrier
	s_mov_b64 s[8:9], exec
	v_readlane_b32 s42, v254, 10
	v_readlane_b32 s43, v254, 11
	s_and_b64 s[42:43], s[8:9], s[42:43]
	s_mov_b32 s99, s59
	s_mov_b64 exec, s[42:43]
	s_cbranch_execz .LBB24_132
; %bb.131:                              ;   in Loop: Header=BB24_13 Depth=1
	buffer_load_dword v2, off, s[0:3], 0 offset:24 ; 4-byte Folded Reload
	buffer_load_dword v3, off, s[0:3], 0 offset:28 ; 4-byte Folded Reload
	s_waitcnt vmcnt(0)
	global_store_dwordx2 v[2:3], v[4:5], off
.LBB24_132:                             ;   in Loop: Header=BB24_13 Depth=1
	s_or_b64 exec, exec, s[8:9]
	v_mov_b32_e32 v0, 50
	ds_write2_b32 v132, v6, v7 offset1:1
	ds_write2_b32 v132, v8, v9 offset0:8 offset1:9
	ds_write2_b32 v132, v26, v27 offset0:16 offset1:17
	;; [unrolled: 1-line block ×7, first 2 shown]
	s_waitcnt lgkmcnt(0)
	s_barrier
	s_mov_b64 s[8:9], exec
	v_readlane_b32 s42, v255, 7
	v_readlane_b32 s43, v255, 8
	s_and_b64 s[42:43], s[8:9], s[42:43]
	s_mov_b64 exec, s[42:43]
	s_cbranch_execz .LBB24_134
; %bb.133:                              ;   in Loop: Header=BB24_13 Depth=1
	ds_read_b32 v0, v183
	v_readlane_b32 s42, v254, 0
	v_mad_u64_u32 v[2:3], s[42:43], s42, v107, v[34:35]
	v_ashrrev_i32_e32 v3, 31, v2
	s_waitcnt lgkmcnt(0)
	v_cvt_f32_f16_sdwa v5, v0 dst_sel:DWORD dst_unused:UNUSED_PAD src0_sel:WORD_1
	v_cvt_f32_f16_e32 v4, v0
	v_lshlrev_b64 v[2:3], 3, v[2:3]
	v_readlane_b32 s42, v254, 20
	v_mov_b32_e32 v6, s42
	v_add_co_u32_e32 v2, vcc, s99, v2
	v_addc_co_u32_e32 v3, vcc, v6, v3, vcc
	v_pk_add_f32 v[4:5], v[4:5], 0 op_sel_hi:[1,0]
	v_mov_b32_e32 v0, 0
	global_store_dwordx2 v[2:3], v[4:5], off
.LBB24_134:                             ;   in Loop: Header=BB24_13 Depth=1
	s_or_b64 exec, exec, s[8:9]
	v_cmp_gt_i32_e32 vcc, 50, v0
	s_mov_b64 s[46:47], -1
	s_and_saveexec_b64 s[8:9], vcc
; %bb.135:                              ;   in Loop: Header=BB24_13 Depth=1
	v_cmp_eq_u32_e32 vcc, 0, v0
	s_orn2_b64 s[46:47], vcc, exec
; %bb.136:                              ;   in Loop: Header=BB24_13 Depth=1
	s_or_b64 exec, exec, s[8:9]
	s_mov_b64 s[42:43], 0
	s_mov_b64 s[8:9], 0
                                        ; implicit-def: $vgpr2_vgpr3
	s_and_saveexec_b64 s[44:45], s[46:47]
	s_cbranch_execz .LBB24_224
; %bb.137:                              ;   in Loop: Header=BB24_13 Depth=1
	v_mov_b32_e32 v0, 50
	s_mov_b64 s[8:9], exec
	v_readlane_b32 s46, v255, 9
	v_readlane_b32 s47, v255, 10
	s_and_b64 s[46:47], s[8:9], s[46:47]
	s_mov_b64 exec, s[46:47]
	s_cbranch_execz .LBB24_139
; %bb.138:                              ;   in Loop: Header=BB24_13 Depth=1
	ds_read_b32 v0, v242
	v_readlane_b32 s46, v254, 0
	v_mad_u64_u32 v[2:3], s[46:47], s46, v106, v[34:35]
	v_ashrrev_i32_e32 v3, 31, v2
	s_waitcnt lgkmcnt(0)
	v_cvt_f32_f16_sdwa v5, v0 dst_sel:DWORD dst_unused:UNUSED_PAD src0_sel:WORD_1
	v_cvt_f32_f16_e32 v4, v0
	v_lshlrev_b64 v[2:3], 3, v[2:3]
	v_readlane_b32 s46, v254, 20
	v_mov_b32_e32 v6, s46
	v_add_co_u32_e32 v2, vcc, s99, v2
	v_addc_co_u32_e32 v3, vcc, v6, v3, vcc
	v_pk_add_f32 v[4:5], v[4:5], 0 op_sel_hi:[1,0]
	v_mov_b32_e32 v0, 0
	global_store_dwordx2 v[2:3], v[4:5], off
.LBB24_139:                             ;   in Loop: Header=BB24_13 Depth=1
	s_or_b64 exec, exec, s[8:9]
	v_cmp_gt_i32_e32 vcc, 50, v0
	s_mov_b64 s[48:49], -1
	s_and_saveexec_b64 s[8:9], vcc
; %bb.140:                              ;   in Loop: Header=BB24_13 Depth=1
	v_cmp_eq_u32_e32 vcc, 0, v0
	s_orn2_b64 s[48:49], vcc, exec
; %bb.141:                              ;   in Loop: Header=BB24_13 Depth=1
	s_or_b64 exec, exec, s[8:9]
	s_mov_b64 s[46:47], 0
                                        ; implicit-def: $vgpr2_vgpr3
	s_and_saveexec_b64 s[8:9], s[48:49]
	s_cbranch_execz .LBB24_223
; %bb.142:                              ;   in Loop: Header=BB24_13 Depth=1
	v_mov_b32_e32 v0, 50
	s_mov_b64 s[46:47], exec
	v_readlane_b32 s48, v255, 11
	v_readlane_b32 s49, v255, 12
	s_and_b64 s[48:49], s[46:47], s[48:49]
	s_mov_b64 exec, s[48:49]
	s_cbranch_execz .LBB24_144
; %bb.143:                              ;   in Loop: Header=BB24_13 Depth=1
	ds_read_b32 v0, v243
	v_readlane_b32 s48, v254, 0
	v_mad_u64_u32 v[2:3], s[48:49], s48, v105, v[34:35]
	v_ashrrev_i32_e32 v3, 31, v2
	s_waitcnt lgkmcnt(0)
	v_cvt_f32_f16_sdwa v5, v0 dst_sel:DWORD dst_unused:UNUSED_PAD src0_sel:WORD_1
	v_cvt_f32_f16_e32 v4, v0
	v_lshlrev_b64 v[2:3], 3, v[2:3]
	v_readlane_b32 s48, v254, 20
	v_mov_b32_e32 v6, s48
	v_add_co_u32_e32 v2, vcc, s99, v2
	v_addc_co_u32_e32 v3, vcc, v6, v3, vcc
	v_pk_add_f32 v[4:5], v[4:5], 0 op_sel_hi:[1,0]
	v_mov_b32_e32 v0, 0
	global_store_dwordx2 v[2:3], v[4:5], off
.LBB24_144:                             ;   in Loop: Header=BB24_13 Depth=1
	s_or_b64 exec, exec, s[46:47]
	v_cmp_gt_i32_e32 vcc, 50, v0
	s_mov_b64 s[50:51], -1
	s_and_saveexec_b64 s[46:47], vcc
; %bb.145:                              ;   in Loop: Header=BB24_13 Depth=1
	v_cmp_eq_u32_e32 vcc, 0, v0
	s_orn2_b64 s[50:51], vcc, exec
; %bb.146:                              ;   in Loop: Header=BB24_13 Depth=1
	s_or_b64 exec, exec, s[46:47]
	;; [unrolled: 38-line block ×3, first 2 shown]
	s_mov_b64 s[50:51], 0
                                        ; implicit-def: $vgpr2_vgpr3
	s_and_saveexec_b64 s[48:49], s[52:53]
	s_cbranch_execz .LBB24_221
; %bb.152:                              ;   in Loop: Header=BB24_13 Depth=1
	v_mov_b32_e32 v0, 50
	s_mov_b64 s[50:51], exec
	v_readlane_b32 s52, v255, 15
	v_readlane_b32 s53, v255, 16
	s_and_b64 s[52:53], s[50:51], s[52:53]
	s_mov_b64 exec, s[52:53]
	s_cbranch_execz .LBB24_154
; %bb.153:                              ;   in Loop: Header=BB24_13 Depth=1
	buffer_load_dword v0, off, s[0:3], 0 offset:104 ; 4-byte Folded Reload
	v_readlane_b32 s52, v254, 0
	v_mad_u64_u32 v[2:3], s[52:53], s52, v103, v[34:35]
	v_ashrrev_i32_e32 v3, 31, v2
	v_lshlrev_b64 v[2:3], 3, v[2:3]
	v_readlane_b32 s52, v254, 20
	v_mov_b32_e32 v6, s52
	v_add_co_u32_e32 v2, vcc, s99, v2
	v_addc_co_u32_e32 v3, vcc, v6, v3, vcc
	s_waitcnt vmcnt(0)
	ds_read_b32 v0, v0
	s_waitcnt lgkmcnt(0)
	v_cvt_f32_f16_sdwa v5, v0 dst_sel:DWORD dst_unused:UNUSED_PAD src0_sel:WORD_1
	v_cvt_f32_f16_e32 v4, v0
	v_mov_b32_e32 v0, 0
	v_pk_add_f32 v[4:5], v[4:5], 0 op_sel_hi:[1,0]
	global_store_dwordx2 v[2:3], v[4:5], off
.LBB24_154:                             ;   in Loop: Header=BB24_13 Depth=1
	s_or_b64 exec, exec, s[50:51]
	v_cmp_gt_i32_e32 vcc, 50, v0
	s_mov_b64 s[54:55], -1
	s_and_saveexec_b64 s[50:51], vcc
; %bb.155:                              ;   in Loop: Header=BB24_13 Depth=1
	v_cmp_eq_u32_e32 vcc, 0, v0
	s_orn2_b64 s[54:55], vcc, exec
; %bb.156:                              ;   in Loop: Header=BB24_13 Depth=1
	s_or_b64 exec, exec, s[50:51]
	s_mov_b64 s[52:53], 0
                                        ; implicit-def: $vgpr2_vgpr3
	s_and_saveexec_b64 s[50:51], s[54:55]
	s_cbranch_execz .LBB24_220
; %bb.157:                              ;   in Loop: Header=BB24_13 Depth=1
	v_mov_b32_e32 v0, 50
	s_mov_b64 s[52:53], exec
	v_readlane_b32 s54, v255, 17
	v_readlane_b32 s55, v255, 18
	s_and_b64 s[54:55], s[52:53], s[54:55]
	s_mov_b64 exec, s[54:55]
	s_cbranch_execz .LBB24_159
; %bb.158:                              ;   in Loop: Header=BB24_13 Depth=1
	ds_read_b32 v0, v244 offset:2176
	v_readlane_b32 s54, v254, 0
	v_mad_u64_u32 v[2:3], s[54:55], s54, v102, v[34:35]
	v_ashrrev_i32_e32 v3, 31, v2
	s_waitcnt lgkmcnt(0)
	v_cvt_f32_f16_sdwa v5, v0 dst_sel:DWORD dst_unused:UNUSED_PAD src0_sel:WORD_1
	v_cvt_f32_f16_e32 v4, v0
	v_lshlrev_b64 v[2:3], 3, v[2:3]
	v_readlane_b32 s54, v254, 20
	v_mov_b32_e32 v6, s54
	v_add_co_u32_e32 v2, vcc, s99, v2
	v_addc_co_u32_e32 v3, vcc, v6, v3, vcc
	v_pk_add_f32 v[4:5], v[4:5], 0 op_sel_hi:[1,0]
	v_mov_b32_e32 v0, 0
	global_store_dwordx2 v[2:3], v[4:5], off
.LBB24_159:                             ;   in Loop: Header=BB24_13 Depth=1
	s_or_b64 exec, exec, s[52:53]
	v_cmp_gt_i32_e32 vcc, 50, v0
	s_mov_b64 s[58:59], -1
	s_and_saveexec_b64 s[52:53], vcc
; %bb.160:                              ;   in Loop: Header=BB24_13 Depth=1
	v_cmp_eq_u32_e32 vcc, 0, v0
	s_orn2_b64 s[58:59], vcc, exec
; %bb.161:                              ;   in Loop: Header=BB24_13 Depth=1
	s_or_b64 exec, exec, s[52:53]
	s_mov_b64 s[54:55], 0
                                        ; implicit-def: $vgpr2_vgpr3
	s_and_saveexec_b64 s[52:53], s[58:59]
	s_cbranch_execz .LBB24_219
; %bb.162:                              ;   in Loop: Header=BB24_13 Depth=1
	v_mov_b32_e32 v0, 50
	s_mov_b64 s[54:55], exec
	v_readlane_b32 s58, v255, 19
	v_readlane_b32 s59, v255, 20
	s_and_b64 s[58:59], s[54:55], s[58:59]
	s_mov_b64 exec, s[58:59]
	s_cbranch_execz .LBB24_164
; %bb.163:                              ;   in Loop: Header=BB24_13 Depth=1
	ds_read_b32 v0, v244 offset:3264
	v_readlane_b32 s58, v254, 0
	v_mad_u64_u32 v[2:3], s[58:59], s58, v101, v[34:35]
	v_ashrrev_i32_e32 v3, 31, v2
	s_waitcnt lgkmcnt(0)
	v_cvt_f32_f16_sdwa v5, v0 dst_sel:DWORD dst_unused:UNUSED_PAD src0_sel:WORD_1
	v_cvt_f32_f16_e32 v4, v0
	v_lshlrev_b64 v[2:3], 3, v[2:3]
	v_readlane_b32 s58, v254, 20
	v_mov_b32_e32 v6, s58
	v_add_co_u32_e32 v2, vcc, s99, v2
	v_addc_co_u32_e32 v3, vcc, v6, v3, vcc
	v_pk_add_f32 v[4:5], v[4:5], 0 op_sel_hi:[1,0]
	v_mov_b32_e32 v0, 0
	global_store_dwordx2 v[2:3], v[4:5], off
.LBB24_164:                             ;   in Loop: Header=BB24_13 Depth=1
	;; [unrolled: 38-line block ×3, first 2 shown]
	s_or_b64 exec, exec, s[58:59]
	v_cmp_gt_i32_e32 vcc, 50, v0
	s_mov_b64 s[78:79], -1
	s_and_saveexec_b64 s[58:59], vcc
; %bb.170:                              ;   in Loop: Header=BB24_13 Depth=1
	v_cmp_eq_u32_e32 vcc, 0, v0
	s_orn2_b64 s[78:79], vcc, exec
; %bb.171:                              ;   in Loop: Header=BB24_13 Depth=1
	s_or_b64 exec, exec, s[58:59]
	s_mov_b64 s[76:77], 0
                                        ; implicit-def: $vgpr2_vgpr3
	s_and_saveexec_b64 s[58:59], s[78:79]
	s_cbranch_execz .LBB24_217
; %bb.172:                              ;   in Loop: Header=BB24_13 Depth=1
	v_mov_b32_e32 v0, 50
	s_mov_b64 s[76:77], exec
	v_readlane_b32 s78, v255, 23
	v_readlane_b32 s79, v255, 24
	s_and_b64 s[78:79], s[76:77], s[78:79]
	s_mov_b64 exec, s[78:79]
	s_cbranch_execz .LBB24_174
; %bb.173:                              ;   in Loop: Header=BB24_13 Depth=1
	buffer_load_dword v0, off, s[0:3], 0 offset:112 ; 4-byte Folded Reload
	v_readlane_b32 s78, v254, 0
	v_mad_u64_u32 v[2:3], s[78:79], s78, v99, v[34:35]
	v_ashrrev_i32_e32 v3, 31, v2
	v_lshlrev_b64 v[2:3], 3, v[2:3]
	v_readlane_b32 s78, v254, 20
	v_mov_b32_e32 v6, s78
	v_add_co_u32_e32 v2, vcc, s99, v2
	v_addc_co_u32_e32 v3, vcc, v6, v3, vcc
	s_waitcnt vmcnt(0)
	ds_read_b32 v0, v0
	s_waitcnt lgkmcnt(0)
	v_cvt_f32_f16_sdwa v5, v0 dst_sel:DWORD dst_unused:UNUSED_PAD src0_sel:WORD_1
	v_cvt_f32_f16_e32 v4, v0
	v_mov_b32_e32 v0, 0
	v_pk_add_f32 v[4:5], v[4:5], 0 op_sel_hi:[1,0]
	global_store_dwordx2 v[2:3], v[4:5], off
.LBB24_174:                             ;   in Loop: Header=BB24_13 Depth=1
	s_or_b64 exec, exec, s[76:77]
	v_cmp_gt_i32_e32 vcc, 50, v0
	s_mov_b64 s[80:81], -1
	s_and_saveexec_b64 s[76:77], vcc
; %bb.175:                              ;   in Loop: Header=BB24_13 Depth=1
	v_cmp_eq_u32_e32 vcc, 0, v0
	s_orn2_b64 s[80:81], vcc, exec
; %bb.176:                              ;   in Loop: Header=BB24_13 Depth=1
	s_or_b64 exec, exec, s[76:77]
	s_mov_b64 s[78:79], 0
                                        ; implicit-def: $vgpr2_vgpr3
	s_and_saveexec_b64 s[76:77], s[80:81]
	s_cbranch_execz .LBB24_216
; %bb.177:                              ;   in Loop: Header=BB24_13 Depth=1
	v_mov_b32_e32 v0, 50
	s_mov_b64 s[78:79], exec
	v_readlane_b32 s80, v255, 25
	v_readlane_b32 s81, v255, 26
	s_and_b64 s[80:81], s[78:79], s[80:81]
	s_mov_b64 exec, s[80:81]
	s_cbranch_execz .LBB24_179
; %bb.178:                              ;   in Loop: Header=BB24_13 Depth=1
	ds_read_b32 v0, v244 offset:6528
	v_readlane_b32 s80, v254, 0
	v_mad_u64_u32 v[2:3], s[80:81], s80, v98, v[34:35]
	v_ashrrev_i32_e32 v3, 31, v2
	s_waitcnt lgkmcnt(0)
	v_cvt_f32_f16_sdwa v5, v0 dst_sel:DWORD dst_unused:UNUSED_PAD src0_sel:WORD_1
	v_cvt_f32_f16_e32 v4, v0
	v_lshlrev_b64 v[2:3], 3, v[2:3]
	v_readlane_b32 s80, v254, 20
	v_mov_b32_e32 v6, s80
	v_add_co_u32_e32 v2, vcc, s99, v2
	v_addc_co_u32_e32 v3, vcc, v6, v3, vcc
	v_pk_add_f32 v[4:5], v[4:5], 0 op_sel_hi:[1,0]
	v_mov_b32_e32 v0, 0
	global_store_dwordx2 v[2:3], v[4:5], off
.LBB24_179:                             ;   in Loop: Header=BB24_13 Depth=1
	s_or_b64 exec, exec, s[78:79]
	v_cmp_gt_i32_e32 vcc, 50, v0
	s_mov_b64 s[82:83], -1
	s_and_saveexec_b64 s[78:79], vcc
; %bb.180:                              ;   in Loop: Header=BB24_13 Depth=1
	v_cmp_eq_u32_e32 vcc, 0, v0
	s_orn2_b64 s[82:83], vcc, exec
; %bb.181:                              ;   in Loop: Header=BB24_13 Depth=1
	s_or_b64 exec, exec, s[78:79]
	s_mov_b64 s[80:81], 0
                                        ; implicit-def: $vgpr2_vgpr3
	s_and_saveexec_b64 s[78:79], s[82:83]
	s_cbranch_execz .LBB24_215
; %bb.182:                              ;   in Loop: Header=BB24_13 Depth=1
	v_mov_b32_e32 v0, 50
	s_mov_b64 s[80:81], exec
	v_readlane_b32 s82, v255, 27
	v_readlane_b32 s83, v255, 28
	s_and_b64 s[82:83], s[80:81], s[82:83]
	s_mov_b64 exec, s[82:83]
	s_cbranch_execz .LBB24_184
; %bb.183:                              ;   in Loop: Header=BB24_13 Depth=1
	ds_read_b32 v0, v244 offset:7616
	v_readlane_b32 s82, v254, 0
	v_mad_u64_u32 v[2:3], s[82:83], s82, v59, v[34:35]
	v_ashrrev_i32_e32 v3, 31, v2
	s_waitcnt lgkmcnt(0)
	v_cvt_f32_f16_sdwa v5, v0 dst_sel:DWORD dst_unused:UNUSED_PAD src0_sel:WORD_1
	v_cvt_f32_f16_e32 v4, v0
	v_lshlrev_b64 v[2:3], 3, v[2:3]
	v_readlane_b32 s82, v254, 20
	v_mov_b32_e32 v6, s82
	v_add_co_u32_e32 v2, vcc, s99, v2
	v_addc_co_u32_e32 v3, vcc, v6, v3, vcc
	v_pk_add_f32 v[4:5], v[4:5], 0 op_sel_hi:[1,0]
	v_mov_b32_e32 v0, 0
	global_store_dwordx2 v[2:3], v[4:5], off
.LBB24_184:                             ;   in Loop: Header=BB24_13 Depth=1
	;; [unrolled: 38-line block ×3, first 2 shown]
	s_or_b64 exec, exec, s[82:83]
	v_cmp_gt_i32_e32 vcc, 50, v0
	s_mov_b64 s[86:87], -1
	s_and_saveexec_b64 s[82:83], vcc
; %bb.190:                              ;   in Loop: Header=BB24_13 Depth=1
	v_cmp_eq_u32_e32 vcc, 0, v0
	s_orn2_b64 s[86:87], vcc, exec
; %bb.191:                              ;   in Loop: Header=BB24_13 Depth=1
	s_or_b64 exec, exec, s[82:83]
	s_mov_b64 s[84:85], 0
                                        ; implicit-def: $vgpr2_vgpr3
	s_and_saveexec_b64 s[82:83], s[86:87]
	s_cbranch_execz .LBB24_213
; %bb.192:                              ;   in Loop: Header=BB24_13 Depth=1
	v_mov_b32_e32 v0, 50
	s_mov_b64 s[84:85], exec
	v_readlane_b32 s86, v255, 31
	v_readlane_b32 s87, v255, 32
	s_and_b64 s[86:87], s[84:85], s[86:87]
	s_mov_b64 exec, s[86:87]
	s_cbranch_execz .LBB24_194
; %bb.193:                              ;   in Loop: Header=BB24_13 Depth=1
	buffer_load_dword v0, off, s[0:3], 0 offset:120 ; 4-byte Folded Reload
	v_readlane_b32 s86, v254, 0
	v_mad_u64_u32 v[2:3], s[86:87], s86, v37, v[34:35]
	v_ashrrev_i32_e32 v3, 31, v2
	v_lshlrev_b64 v[2:3], 3, v[2:3]
	v_readlane_b32 s86, v254, 20
	v_mov_b32_e32 v6, s86
	v_add_co_u32_e32 v2, vcc, s99, v2
	v_addc_co_u32_e32 v3, vcc, v6, v3, vcc
	s_waitcnt vmcnt(0)
	ds_read_b32 v0, v0
	s_waitcnt lgkmcnt(0)
	v_cvt_f32_f16_sdwa v5, v0 dst_sel:DWORD dst_unused:UNUSED_PAD src0_sel:WORD_1
	v_cvt_f32_f16_e32 v4, v0
	v_mov_b32_e32 v0, 0
	v_pk_add_f32 v[4:5], v[4:5], 0 op_sel_hi:[1,0]
	global_store_dwordx2 v[2:3], v[4:5], off
.LBB24_194:                             ;   in Loop: Header=BB24_13 Depth=1
	s_or_b64 exec, exec, s[84:85]
	v_cmp_gt_i32_e32 vcc, 50, v0
	s_mov_b64 s[88:89], -1
	s_and_saveexec_b64 s[84:85], vcc
; %bb.195:                              ;   in Loop: Header=BB24_13 Depth=1
	v_cmp_eq_u32_e32 vcc, 0, v0
	s_orn2_b64 s[88:89], vcc, exec
; %bb.196:                              ;   in Loop: Header=BB24_13 Depth=1
	s_or_b64 exec, exec, s[84:85]
	s_mov_b64 s[86:87], 0
                                        ; implicit-def: $vgpr2_vgpr3
	s_and_saveexec_b64 s[84:85], s[88:89]
	s_cbranch_execz .LBB24_212
; %bb.197:                              ;   in Loop: Header=BB24_13 Depth=1
	v_mov_b32_e32 v0, 50
	s_mov_b64 s[86:87], exec
	v_readlane_b32 s88, v255, 33
	v_readlane_b32 s89, v255, 34
	s_and_b64 s[88:89], s[86:87], s[88:89]
	s_mov_b64 exec, s[88:89]
	s_cbranch_execz .LBB24_199
; %bb.198:                              ;   in Loop: Header=BB24_13 Depth=1
	ds_read_b32 v0, v244 offset:10880
	v_readlane_b32 s88, v254, 0
	v_mad_u64_u32 v[2:3], s[88:89], s88, v35, v[34:35]
	v_ashrrev_i32_e32 v3, 31, v2
	s_waitcnt lgkmcnt(0)
	v_cvt_f32_f16_sdwa v5, v0 dst_sel:DWORD dst_unused:UNUSED_PAD src0_sel:WORD_1
	v_cvt_f32_f16_e32 v4, v0
	v_lshlrev_b64 v[2:3], 3, v[2:3]
	v_readlane_b32 s88, v254, 20
	v_mov_b32_e32 v6, s88
	v_add_co_u32_e32 v2, vcc, s99, v2
	v_addc_co_u32_e32 v3, vcc, v6, v3, vcc
	v_pk_add_f32 v[4:5], v[4:5], 0 op_sel_hi:[1,0]
	v_mov_b32_e32 v0, 0
	global_store_dwordx2 v[2:3], v[4:5], off
.LBB24_199:                             ;   in Loop: Header=BB24_13 Depth=1
	s_or_b64 exec, exec, s[86:87]
	v_cmp_gt_i32_e32 vcc, 50, v0
	s_mov_b64 s[90:91], -1
	s_and_saveexec_b64 s[86:87], vcc
; %bb.200:                              ;   in Loop: Header=BB24_13 Depth=1
	v_cmp_eq_u32_e32 vcc, 0, v0
	s_orn2_b64 s[90:91], vcc, exec
; %bb.201:                              ;   in Loop: Header=BB24_13 Depth=1
	s_or_b64 exec, exec, s[86:87]
	s_mov_b64 s[88:89], 0
                                        ; implicit-def: $vgpr2_vgpr3
	s_and_saveexec_b64 s[86:87], s[90:91]
	s_cbranch_execz .LBB24_211
; %bb.202:                              ;   in Loop: Header=BB24_13 Depth=1
	v_mov_b32_e32 v0, 50
	s_mov_b64 s[88:89], exec
	v_readlane_b32 s90, v255, 35
	v_readlane_b32 s91, v255, 36
	s_and_b64 s[90:91], s[88:89], s[90:91]
	s_mov_b64 exec, s[90:91]
	s_cbranch_execz .LBB24_204
; %bb.203:                              ;   in Loop: Header=BB24_13 Depth=1
	ds_read_b32 v2, v244 offset:11968
	v_readlane_b32 s90, v254, 0
	v_mad_u64_u32 v[0:1], s[90:91], s90, v1, v[34:35]
	v_ashrrev_i32_e32 v1, 31, v0
	s_waitcnt lgkmcnt(0)
	v_cvt_f32_f16_sdwa v3, v2 dst_sel:DWORD dst_unused:UNUSED_PAD src0_sel:WORD_1
	v_cvt_f32_f16_e32 v2, v2
	v_lshlrev_b64 v[0:1], 3, v[0:1]
	v_readlane_b32 s90, v254, 20
	v_mov_b32_e32 v4, s90
	v_add_co_u32_e32 v0, vcc, s99, v0
	v_addc_co_u32_e32 v1, vcc, v4, v1, vcc
	v_pk_add_f32 v[2:3], v[2:3], 0 op_sel_hi:[1,0]
	global_store_dwordx2 v[0:1], v[2:3], off
	v_mov_b32_e32 v0, 0
.LBB24_204:                             ;   in Loop: Header=BB24_13 Depth=1
	s_or_b64 exec, exec, s[88:89]
	v_cmp_gt_i32_e32 vcc, 50, v0
	s_mov_b64 s[92:93], -1
	s_and_saveexec_b64 s[88:89], vcc
; %bb.205:                              ;   in Loop: Header=BB24_13 Depth=1
	v_cmp_eq_u32_e32 vcc, 0, v0
	s_orn2_b64 s[92:93], vcc, exec
; %bb.206:                              ;   in Loop: Header=BB24_13 Depth=1
	s_or_b64 exec, exec, s[88:89]
	s_mov_b64 s[90:91], 0
                                        ; implicit-def: $vgpr2_vgpr3
	s_and_saveexec_b64 s[88:89], s[92:93]
	s_cbranch_execz .LBB24_210
; %bb.207:                              ;   in Loop: Header=BB24_13 Depth=1
                                        ; implicit-def: $vgpr2_vgpr3
	s_mov_b64 s[92:93], exec
	v_readlane_b32 s94, v255, 37
	v_readlane_b32 s95, v255, 38
	s_and_b64 s[94:95], s[92:93], s[94:95]
	s_xor_b64 s[92:93], s[94:95], s[92:93]
	s_mov_b64 exec, s[94:95]
	s_cbranch_execz .LBB24_209
; %bb.208:                              ;   in Loop: Header=BB24_13 Depth=1
	ds_read_b32 v0, v244 offset:13056
	s_mov_b64 s[90:91], exec
	s_waitcnt lgkmcnt(0)
	v_cvt_f32_f16_sdwa v1, v0 dst_sel:DWORD dst_unused:UNUSED_PAD src0_sel:WORD_1
	v_cvt_f32_f16_e32 v0, v0
	v_pk_add_f32 v[2:3], v[0:1], 0 op_sel_hi:[1,0]
.LBB24_209:                             ;   in Loop: Header=BB24_13 Depth=1
	s_or_b64 exec, exec, s[92:93]
	s_and_b64 s[90:91], s[90:91], exec
	v_readlane_b32 s94, v254, 35
	v_readlane_b32 s95, v254, 36
.LBB24_210:                             ;   in Loop: Header=BB24_13 Depth=1
	s_or_b64 exec, exec, s[88:89]
	s_and_b64 s[88:89], s[90:91], exec
.LBB24_211:                             ;   in Loop: Header=BB24_13 Depth=1
	s_or_b64 exec, exec, s[86:87]
	s_and_b64 s[86:87], s[88:89], exec
.LBB24_212:                             ;   in Loop: Header=BB24_13 Depth=1
	s_or_b64 exec, exec, s[84:85]
	s_and_b64 s[84:85], s[86:87], exec
.LBB24_213:                             ;   in Loop: Header=BB24_13 Depth=1
	s_or_b64 exec, exec, s[82:83]
	s_and_b64 s[82:83], s[84:85], exec
.LBB24_214:                             ;   in Loop: Header=BB24_13 Depth=1
	s_or_b64 exec, exec, s[80:81]
	s_and_b64 s[80:81], s[82:83], exec
.LBB24_215:                             ;   in Loop: Header=BB24_13 Depth=1
	s_or_b64 exec, exec, s[78:79]
	s_and_b64 s[78:79], s[80:81], exec
.LBB24_216:                             ;   in Loop: Header=BB24_13 Depth=1
	s_or_b64 exec, exec, s[76:77]
	s_and_b64 s[76:77], s[78:79], exec
.LBB24_217:                             ;   in Loop: Header=BB24_13 Depth=1
	s_or_b64 exec, exec, s[58:59]
	s_and_b64 s[58:59], s[76:77], exec
.LBB24_218:                             ;   in Loop: Header=BB24_13 Depth=1
	s_or_b64 exec, exec, s[54:55]
	s_and_b64 s[54:55], s[58:59], exec
.LBB24_219:                             ;   in Loop: Header=BB24_13 Depth=1
	s_or_b64 exec, exec, s[52:53]
	s_and_b64 s[52:53], s[54:55], exec
.LBB24_220:                             ;   in Loop: Header=BB24_13 Depth=1
	s_or_b64 exec, exec, s[50:51]
	s_and_b64 s[50:51], s[52:53], exec
.LBB24_221:                             ;   in Loop: Header=BB24_13 Depth=1
	s_or_b64 exec, exec, s[48:49]
	s_and_b64 s[48:49], s[50:51], exec
.LBB24_222:                             ;   in Loop: Header=BB24_13 Depth=1
	s_or_b64 exec, exec, s[46:47]
	s_and_b64 s[46:47], s[48:49], exec
.LBB24_223:                             ;   in Loop: Header=BB24_13 Depth=1
	s_or_b64 exec, exec, s[8:9]
	s_and_b64 s[8:9], s[46:47], exec
.LBB24_224:                             ;   in Loop: Header=BB24_13 Depth=1
	s_or_b64 exec, exec, s[44:45]
	s_and_b64 vcc, exec, s[42:43]
	s_cbranch_vccz .LBB24_103
.LBB24_225:                             ;   in Loop: Header=BB24_13 Depth=1
	v_readlane_b32 s42, v254, 37
	s_lshl_b32 s44, s42, 6
	v_add_u32_e32 v126, s44, v130
	v_cmp_gt_i32_e64 s[42:43], s60, v126
	v_writelane_b32 v254, s42, 38
	v_writelane_b32 v254, s43, 39
	v_cmp_le_i32_e32 vcc, s60, v126
	s_and_saveexec_b64 s[42:43], vcc
	s_xor_b64 s[42:43], exec, s[42:43]
	s_cbranch_execz .LBB24_227
; %bb.226:                              ;   in Loop: Header=BB24_13 Depth=1
	ds_write_b32 v183, v209
.LBB24_227:                             ;   in Loop: Header=BB24_13 Depth=1
	s_or_saveexec_b64 s[42:43], s[42:43]
	v_readlane_b32 s50, v254, 32
	v_readlane_b32 s51, v254, 34
	;; [unrolled: 1-line block ×3, first 2 shown]
	s_xor_b64 exec, exec, s[42:43]
	s_cbranch_execz .LBB24_229
; %bb.228:                              ;   in Loop: Header=BB24_13 Depth=1
	v_mad_u64_u32 v[0:1], s[46:47], v126, s67, v[34:35]
	v_ashrrev_i32_e32 v1, 31, v0
	v_lshlrev_b64 v[0:1], 3, v[0:1]
	v_mov_b32_e32 v2, s63
	v_add_co_u32_e32 v0, vcc, s64, v0
	v_addc_co_u32_e32 v1, vcc, v2, v1, vcc
	global_load_dwordx2 v[0:1], v[0:1], off
	s_waitcnt vmcnt(0)
	v_cvt_f16_f32_e32 v0, v0
	v_cvt_f16_f32_e32 v1, v1
	v_pack_b32_f16 v0, v0, v1
	v_pk_mul_f16 v0, v131, v0
	ds_write_b32 v183, v0
.LBB24_229:                             ;   in Loop: Header=BB24_13 Depth=1
	s_or_b64 exec, exec, s[42:43]
	v_add_u32_e32 v184, s44, v129
	v_cmp_gt_i32_e64 s[42:43], s60, v184
	v_writelane_b32 v254, s42, 40
	v_writelane_b32 v254, s43, 41
	v_cmp_le_i32_e32 vcc, s60, v184
	s_and_saveexec_b64 s[42:43], vcc
	s_xor_b64 s[42:43], exec, s[42:43]
	s_cbranch_execz .LBB24_231
; %bb.230:                              ;   in Loop: Header=BB24_13 Depth=1
	ds_write_b32 v242, v209
.LBB24_231:                             ;   in Loop: Header=BB24_13 Depth=1
	s_andn2_saveexec_b64 s[42:43], s[42:43]
	s_cbranch_execz .LBB24_233
; %bb.232:                              ;   in Loop: Header=BB24_13 Depth=1
	v_mad_u64_u32 v[0:1], s[46:47], v184, s67, v[34:35]
	v_ashrrev_i32_e32 v1, 31, v0
	v_lshlrev_b64 v[0:1], 3, v[0:1]
	v_mov_b32_e32 v2, s63
	v_add_co_u32_e32 v0, vcc, s64, v0
	v_addc_co_u32_e32 v1, vcc, v2, v1, vcc
	global_load_dwordx2 v[0:1], v[0:1], off
	s_waitcnt vmcnt(0)
	v_cvt_f16_f32_e32 v0, v0
	v_cvt_f16_f32_e32 v1, v1
	v_pack_b32_f16 v0, v0, v1
	v_pk_mul_f16 v0, v131, v0
	ds_write_b32 v242, v0
.LBB24_233:                             ;   in Loop: Header=BB24_13 Depth=1
	s_or_b64 exec, exec, s[42:43]
	v_add_u32_e32 v188, s44, v128
	v_cmp_gt_i32_e64 s[42:43], s60, v188
	v_writelane_b32 v254, s42, 42
	v_writelane_b32 v254, s43, 43
	v_cmp_le_i32_e32 vcc, s60, v188
	s_and_saveexec_b64 s[42:43], vcc
	s_xor_b64 s[42:43], exec, s[42:43]
	s_cbranch_execz .LBB24_235
; %bb.234:                              ;   in Loop: Header=BB24_13 Depth=1
	ds_write_b32 v243, v209
.LBB24_235:                             ;   in Loop: Header=BB24_13 Depth=1
	s_andn2_saveexec_b64 s[42:43], s[42:43]
	s_cbranch_execz .LBB24_237
; %bb.236:                              ;   in Loop: Header=BB24_13 Depth=1
	v_mad_u64_u32 v[0:1], s[46:47], v188, s67, v[34:35]
	v_ashrrev_i32_e32 v1, 31, v0
	v_lshlrev_b64 v[0:1], 3, v[0:1]
	v_mov_b32_e32 v2, s63
	v_add_co_u32_e32 v0, vcc, s64, v0
	v_addc_co_u32_e32 v1, vcc, v2, v1, vcc
	global_load_dwordx2 v[0:1], v[0:1], off
	s_waitcnt vmcnt(0)
	v_cvt_f16_f32_e32 v0, v0
	v_cvt_f16_f32_e32 v1, v1
	v_pack_b32_f16 v0, v0, v1
	v_pk_mul_f16 v0, v131, v0
	ds_write_b32 v243, v0
.LBB24_237:                             ;   in Loop: Header=BB24_13 Depth=1
	s_or_b64 exec, exec, s[42:43]
	v_add_u32_e32 v185, s44, v127
	v_cmp_gt_i32_e64 s[42:43], s60, v185
	v_writelane_b32 v254, s42, 44
	v_writelane_b32 v254, s43, 45
	v_cmp_le_i32_e32 vcc, s60, v185
	s_and_saveexec_b64 s[42:43], vcc
	s_xor_b64 s[42:43], exec, s[42:43]
	s_cbranch_execz .LBB24_239
; %bb.238:                              ;   in Loop: Header=BB24_13 Depth=1
	ds_write_b32 v244, v209
.LBB24_239:                             ;   in Loop: Header=BB24_13 Depth=1
	s_andn2_saveexec_b64 s[42:43], s[42:43]
	s_cbranch_execz .LBB24_241
; %bb.240:                              ;   in Loop: Header=BB24_13 Depth=1
	v_mad_u64_u32 v[0:1], s[46:47], v185, s67, v[34:35]
	v_ashrrev_i32_e32 v1, 31, v0
	v_lshlrev_b64 v[0:1], 3, v[0:1]
	v_mov_b32_e32 v2, s63
	v_add_co_u32_e32 v0, vcc, s64, v0
	v_addc_co_u32_e32 v1, vcc, v2, v1, vcc
	global_load_dwordx2 v[0:1], v[0:1], off
	s_waitcnt vmcnt(0)
	v_cvt_f16_f32_e32 v0, v0
	v_cvt_f16_f32_e32 v1, v1
	v_pack_b32_f16 v0, v0, v1
	v_pk_mul_f16 v0, v131, v0
	ds_write_b32 v244, v0
.LBB24_241:                             ;   in Loop: Header=BB24_13 Depth=1
	s_or_b64 exec, exec, s[42:43]
	v_add_u32_e32 v189, s44, v125
	v_cmp_gt_i32_e64 s[42:43], s60, v189
	v_writelane_b32 v254, s42, 46
	v_writelane_b32 v254, s43, 47
	v_cmp_le_i32_e32 vcc, s60, v189
	s_and_saveexec_b64 s[42:43], vcc
	s_xor_b64 s[42:43], exec, s[42:43]
	s_cbranch_execz .LBB24_243
; %bb.242:                              ;   in Loop: Header=BB24_13 Depth=1
	ds_write_b32 v244, v209 offset:1088
.LBB24_243:                             ;   in Loop: Header=BB24_13 Depth=1
	s_andn2_saveexec_b64 s[42:43], s[42:43]
	s_cbranch_execz .LBB24_245
; %bb.244:                              ;   in Loop: Header=BB24_13 Depth=1
	v_mad_u64_u32 v[0:1], s[46:47], v189, s67, v[34:35]
	v_ashrrev_i32_e32 v1, 31, v0
	v_lshlrev_b64 v[0:1], 3, v[0:1]
	v_mov_b32_e32 v2, s63
	v_add_co_u32_e32 v0, vcc, s64, v0
	v_addc_co_u32_e32 v1, vcc, v2, v1, vcc
	global_load_dwordx2 v[0:1], v[0:1], off
	s_waitcnt vmcnt(0)
	v_cvt_f16_f32_e32 v0, v0
	v_cvt_f16_f32_e32 v1, v1
	v_pack_b32_f16 v0, v0, v1
	v_pk_mul_f16 v0, v131, v0
	ds_write_b32 v244, v0 offset:1088
.LBB24_245:                             ;   in Loop: Header=BB24_13 Depth=1
	s_or_b64 exec, exec, s[42:43]
	v_add_u32_e32 v186, s44, v124
	v_cmp_gt_i32_e64 s[42:43], s60, v186
	v_writelane_b32 v254, s42, 48
	v_writelane_b32 v254, s43, 49
	v_cmp_le_i32_e32 vcc, s60, v186
	s_and_saveexec_b64 s[42:43], vcc
	s_xor_b64 s[42:43], exec, s[42:43]
	s_cbranch_execz .LBB24_247
; %bb.246:                              ;   in Loop: Header=BB24_13 Depth=1
	ds_write_b32 v244, v209 offset:2176
.LBB24_247:                             ;   in Loop: Header=BB24_13 Depth=1
	s_andn2_saveexec_b64 s[42:43], s[42:43]
	s_cbranch_execz .LBB24_249
; %bb.248:                              ;   in Loop: Header=BB24_13 Depth=1
	v_mad_u64_u32 v[0:1], s[46:47], v186, s67, v[34:35]
	v_ashrrev_i32_e32 v1, 31, v0
	v_lshlrev_b64 v[0:1], 3, v[0:1]
	v_mov_b32_e32 v2, s63
	v_add_co_u32_e32 v0, vcc, s64, v0
	v_addc_co_u32_e32 v1, vcc, v2, v1, vcc
	global_load_dwordx2 v[0:1], v[0:1], off
	s_waitcnt vmcnt(0)
	v_cvt_f16_f32_e32 v0, v0
	v_cvt_f16_f32_e32 v1, v1
	v_pack_b32_f16 v0, v0, v1
	v_pk_mul_f16 v0, v131, v0
	ds_write_b32 v244, v0 offset:2176
.LBB24_249:                             ;   in Loop: Header=BB24_13 Depth=1
	;; [unrolled: 29-line block ×12, first 2 shown]
	s_or_b64 exec, exec, s[42:43]
	s_waitcnt lgkmcnt(0)
	s_barrier
	ds_read2_b64 v[14:17], v132 offset1:4
	ds_read2_b64 v[10:13], v132 offset0:8 offset1:12
	ds_read2_b64 v[6:9], v132 offset0:16 offset1:20
	ds_read2_b64 v[2:5], v132 offset0:24 offset1:28
	s_mov_b32 s44, 0
	s_cmp_lt_i32 s48, 2
	v_mov_b32_e32 v0, 0
	v_cmp_ne_u64_e64 s[76:77], 0, v[62:63]
	s_waitcnt lgkmcnt(0)
	s_barrier
	s_cbranch_scc1 .LBB24_304
; %bb.290:                              ;   in Loop: Header=BB24_13 Depth=1
	v_readlane_b32 s42, v253, 13
	v_mul_hi_u32 v1, s42, v184
	v_readlane_b32 s43, v253, 14
	v_add_u32_e32 v1, v184, v1
	v_lshrrev_b32_e32 v1, s43, v1
	v_mul_lo_u32 v1, v1, s60
	v_sub_u32_e32 v18, v184, v1
	v_mul_hi_u32 v1, s42, v188
	v_add_u32_e32 v1, v188, v1
	v_lshrrev_b32_e32 v1, s43, v1
	v_mul_lo_u32 v1, v1, s60
	v_sub_u32_e32 v19, v188, v1
	v_mul_hi_u32 v1, s42, v185
	;; [unrolled: 5-line block ×14, first 2 shown]
	v_add_u32_e32 v1, v249, v1
	v_lshrrev_b32_e32 v1, s43, v1
	v_mul_lo_u32 v1, v1, s60
	v_sub_u32_e32 v32, v249, v1
	v_and_b32_e32 v1, 64, v208
	v_add_u32_e32 v1, 64, v1
	v_xor_b32_e32 v33, 32, v208
	v_cmp_lt_i32_e32 vcc, v33, v1
	v_cndmask_b32_e32 v33, v208, v33, vcc
	v_lshlrev_b32_e32 v207, 2, v33
	v_xor_b32_e32 v33, 16, v208
	v_cmp_lt_i32_e32 vcc, v33, v1
	v_cndmask_b32_e32 v1, v208, v33, vcc
	buffer_load_dword v33, off, s[0:3], 0 offset:32 ; 4-byte Folded Reload
	buffer_load_dword v35, off, s[0:3], 0 offset:40 ; 4-byte Folded Reload
	;; [unrolled: 1-line block ×3, first 2 shown]
	v_mul_hi_u32 v0, s42, v126
	v_add_u32_e32 v0, v126, v0
	s_add_i32 s44, s48, -1
	v_lshrrev_b32_e32 v0, s43, v0
	v_readlane_b32 s42, v254, 21
	v_readlane_b32 s43, v254, 23
	s_add_u32 s42, s42, s43
	v_readlane_b32 s43, v254, 22
	v_readlane_b32 s45, v254, 25
	s_addc_u32 s43, s43, s45
	v_lshlrev_b32_e32 v187, 2, v1
	v_mov_b32_e32 v1, s43
	v_readlane_b32 s45, v254, 33
	v_mul_lo_u32 v0, v0, s60
	v_sub_u32_e32 v0, v126, v0
	v_mov_b32_e32 v202, 0
	v_mov_b32_e32 v64, v40
	;; [unrolled: 1-line block ×19, first 2 shown]
	buffer_load_dword v37, off, s[0:3], 0 offset:48 ; 4-byte Folded Reload
	buffer_load_dword v41, off, s[0:3], 0 offset:64 ; 4-byte Folded Reload
	s_waitcnt vmcnt(4)
	v_add_co_u32_e32 v66, vcc, s42, v33
	buffer_load_dword v33, off, s[0:3], 0 offset:36 ; 4-byte Folded Reload
	s_waitcnt vmcnt(0)
	v_addc_co_u32_e32 v1, vcc, v33, v1, vcc
	v_add_co_u32_e32 v68, vcc, s42, v35
	buffer_load_dword v35, off, s[0:3], 0 offset:44 ; 4-byte Folded Reload
	v_mov_b32_e32 v33, s43
	v_readlane_b32 s43, v254, 31
	s_waitcnt vmcnt(0)
	v_addc_co_u32_e32 v35, vcc, v35, v33, vcc
	v_add_co_u32_e32 v70, vcc, s42, v37
	buffer_load_dword v37, off, s[0:3], 0 offset:52 ; 4-byte Folded Reload
	s_waitcnt vmcnt(0)
	v_addc_co_u32_e32 v37, vcc, v37, v33, vcc
	v_add_co_u32_e32 v72, vcc, s42, v39
	buffer_load_dword v39, off, s[0:3], 0 offset:60 ; 4-byte Folded Reload
	v_readlane_b32 s42, v254, 29
	s_add_u32 s42, s42, s43
	v_readlane_b32 s43, v254, 30
	s_addc_u32 s43, s43, s45
	s_mov_b32 s45, s44
	s_waitcnt vmcnt(0)
	v_addc_co_u32_e32 v39, vcc, v39, v33, vcc
	v_add_co_u32_e32 v74, vcc, s42, v41
	buffer_load_dword v41, off, s[0:3], 0 offset:68 ; 4-byte Folded Reload
	v_mov_b32_e32 v33, s43
	s_waitcnt vmcnt(0)
	v_addc_co_u32_e32 v59, vcc, v41, v33, vcc
	buffer_load_dword v41, off, s[0:3], 0 offset:72 ; 4-byte Folded Reload
	s_waitcnt vmcnt(0)
	v_add_co_u32_e32 v76, vcc, s42, v41
	buffer_load_dword v41, off, s[0:3], 0 offset:76 ; 4-byte Folded Reload
	s_waitcnt vmcnt(0)
	v_addc_co_u32_e32 v67, vcc, v41, v33, vcc
	buffer_load_dword v41, off, s[0:3], 0 offset:80 ; 4-byte Folded Reload
	s_waitcnt vmcnt(0)
	v_add_co_u32_e32 v78, vcc, s42, v41
	buffer_load_dword v41, off, s[0:3], 0 offset:84 ; 4-byte Folded Reload
	s_waitcnt vmcnt(0)
	v_addc_co_u32_e32 v69, vcc, v41, v33, vcc
	buffer_load_dword v41, off, s[0:3], 0 offset:88 ; 4-byte Folded Reload
	s_waitcnt vmcnt(0)
	v_add_co_u32_e32 v80, vcc, s42, v41
	buffer_load_dword v41, off, s[0:3], 0 offset:92 ; 4-byte Folded Reload
	v_readlane_b32 s42, v254, 12
	v_readlane_b32 s43, v254, 13
	s_mov_b32 s46, s42
	v_mad_i64_i32 v[82:83], s[42:43], s46, v20, v[62:63]
	v_mad_i64_i32 v[84:85], s[42:43], s46, v19, v[62:63]
	;; [unrolled: 1-line block ×16, first 2 shown]
	v_mov_b32_e32 v0, 0
	s_waitcnt vmcnt(0)
	v_addc_co_u32_e32 v71, vcc, v41, v33, vcc
	v_cndmask_b32_e64 v18, 0, 1, s[76:77]
	v_cmp_ne_u32_e64 s[78:79], 1, v18
	s_andn2_b64 vcc, exec, s[76:77]
	s_cbranch_vccnz .LBB24_300
.LBB24_291:                             ;   in Loop: Header=BB24_13 Depth=1
                                        ; implicit-def: $sgpr46
	s_and_saveexec_b64 s[42:43], s[6:7]
	s_xor_b64 s[42:43], exec, s[42:43]
	s_cbranch_execz .LBB24_293
; %bb.292:                              ;   in Loop: Header=BB24_13 Depth=1
	ds_write_b16 v133, v209 offset:17408
	ds_write_b16 v210, v209 offset:17408
	;; [unrolled: 1-line block ×4, first 2 shown]
	s_mov_b32 s46, 0
.LBB24_293:                             ;   in Loop: Header=BB24_13 Depth=1
	s_or_saveexec_b64 s[42:43], s[42:43]
	v_mov_b32_e32 v18, s46
	v_mov_b32_e32 v19, s46
	;; [unrolled: 1-line block ×4, first 2 shown]
	s_xor_b64 exec, exec, s[42:43]
	s_cbranch_execz .LBB24_295
; %bb.294:                              ;   in Loop: Header=BB24_13 Depth=1
	v_add_co_u32_e32 v18, vcc, v88, v36
	v_addc_co_u32_e32 v19, vcc, 0, v89, vcc
	flat_load_ushort v20, v[18:19]
	v_add_co_u32_e32 v18, vcc, v86, v36
	v_addc_co_u32_e32 v19, vcc, 0, v87, vcc
	flat_load_ushort v21, v[18:19]
	;; [unrolled: 3-line block ×4, first 2 shown]
	s_waitcnt vmcnt(0) lgkmcnt(0)
	ds_write_b16 v133, v20 offset:17408
	ds_write_b16 v210, v21 offset:17408
	;; [unrolled: 1-line block ×4, first 2 shown]
	v_add_co_u32_e32 v18, vcc, v96, v36
	v_addc_co_u32_e32 v19, vcc, 0, v97, vcc
	v_add_co_u32_e32 v20, vcc, v94, v36
	v_addc_co_u32_e32 v21, vcc, 0, v95, vcc
	flat_load_ushort v18, v[18:19]
	s_nop 0
	flat_load_ushort v19, v[20:21]
	v_add_co_u32_e32 v20, vcc, v92, v36
	v_addc_co_u32_e32 v21, vcc, 0, v93, vcc
	v_add_co_u32_e32 v22, vcc, v90, v36
	v_addc_co_u32_e32 v23, vcc, 0, v91, vcc
	flat_load_ushort v20, v[20:21]
	s_nop 0
	flat_load_ushort v21, v[22:23]
.LBB24_295:                             ;   in Loop: Header=BB24_13 Depth=1
	s_or_b64 exec, exec, s[42:43]
	s_waitcnt vmcnt(0) lgkmcnt(0)
	ds_write_b16 v213, v18 offset:17408
	ds_write_b16 v214, v19 offset:17408
	;; [unrolled: 1-line block ×4, first 2 shown]
                                        ; implicit-def: $sgpr46
	s_and_saveexec_b64 s[42:43], s[6:7]
	s_xor_b64 s[42:43], exec, s[42:43]
	s_cbranch_execz .LBB24_297
; %bb.296:                              ;   in Loop: Header=BB24_13 Depth=1
	ds_write_b16 v217, v209 offset:17408
	ds_write_b16 v218, v209 offset:17408
	;; [unrolled: 1-line block ×4, first 2 shown]
	s_mov_b32 s46, 0
.LBB24_297:                             ;   in Loop: Header=BB24_13 Depth=1
	s_or_saveexec_b64 s[42:43], s[42:43]
	v_mov_b32_e32 v18, s46
	v_mov_b32_e32 v19, s46
	;; [unrolled: 1-line block ×4, first 2 shown]
	s_xor_b64 exec, exec, s[42:43]
	s_cbranch_execz .LBB24_299
; %bb.298:                              ;   in Loop: Header=BB24_13 Depth=1
	v_add_co_u32_e32 v18, vcc, v104, v36
	v_addc_co_u32_e32 v19, vcc, 0, v105, vcc
	flat_load_ushort v20, v[18:19]
	v_add_co_u32_e32 v18, vcc, v102, v36
	v_addc_co_u32_e32 v19, vcc, 0, v103, vcc
	flat_load_ushort v21, v[18:19]
	;; [unrolled: 3-line block ×4, first 2 shown]
	s_waitcnt vmcnt(0) lgkmcnt(0)
	ds_write_b16 v217, v20 offset:17408
	ds_write_b16 v218, v21 offset:17408
	;; [unrolled: 1-line block ×4, first 2 shown]
	v_add_co_u32_e32 v18, vcc, v112, v36
	v_addc_co_u32_e32 v19, vcc, 0, v113, vcc
	v_add_co_u32_e32 v20, vcc, v110, v36
	v_addc_co_u32_e32 v21, vcc, 0, v111, vcc
	flat_load_ushort v18, v[18:19]
	s_nop 0
	flat_load_ushort v19, v[20:21]
	v_add_co_u32_e32 v20, vcc, v108, v36
	v_addc_co_u32_e32 v21, vcc, 0, v109, vcc
	v_add_co_u32_e32 v22, vcc, v106, v36
	v_addc_co_u32_e32 v23, vcc, 0, v107, vcc
	flat_load_ushort v20, v[20:21]
	s_nop 0
	flat_load_ushort v21, v[22:23]
.LBB24_299:                             ;   in Loop: Header=BB24_13 Depth=1
	s_or_b64 exec, exec, s[42:43]
	s_waitcnt vmcnt(0) lgkmcnt(0)
	ds_write_b16 v221, v18 offset:17408
	ds_write_b16 v222, v19 offset:17408
	;; [unrolled: 1-line block ×4, first 2 shown]
.LBB24_300:                             ;   Parent Loop BB24_13 Depth=1
                                        ; =>  This Inner Loop Header: Depth=2
	v_add_co_u32_e32 v18, vcc, v74, v58
	s_mov_b64 s[42:43], src_private_base
	v_addc_co_u32_e32 v19, vcc, 0, v59, vcc
	v_mov_b32_e32 v22, s43
	v_mov_b32_e32 v23, s66
	buffer_store_dword v209, off, s[0:3], 0
	buffer_store_dword v209, off, s[0:3], 0 offset:4
	buffer_store_dword v209, off, s[0:3], 0 offset:8
	;; [unrolled: 1-line block ×3, first 2 shown]
	v_cndmask_b32_e64 v19, v22, v19, s[56:57]
	v_cndmask_b32_e64 v18, v23, v18, s[56:57]
	flat_load_dwordx4 v[18:21], v[18:19]
	v_add_u32_e32 v30, 0x1000, v136
	v_add_u32_e32 v41, 0x2000, v136
	s_waitcnt vmcnt(0) lgkmcnt(0)
	ds_write_b128 v135, v[18:21]
	v_add_co_u32_e32 v18, vcc, v76, v58
	v_addc_co_u32_e32 v19, vcc, 0, v67, vcc
	v_cndmask_b32_e64 v19, v22, v19, s[10:11]
	v_cndmask_b32_e64 v18, v23, v18, s[10:11]
	flat_load_dwordx4 v[18:21], v[18:19]
	s_waitcnt vmcnt(0) lgkmcnt(0)
	ds_write_b128 v226, v[18:21]
	v_add_co_u32_e32 v18, vcc, v78, v58
	v_addc_co_u32_e32 v19, vcc, 0, v69, vcc
	v_cndmask_b32_e64 v19, v22, v19, s[12:13]
	v_cndmask_b32_e64 v18, v23, v18, s[12:13]
	flat_load_dwordx4 v[18:21], v[18:19]
	;; [unrolled: 7-line block ×3, first 2 shown]
	s_and_b64 vcc, exec, s[78:79]
	s_waitcnt vmcnt(0) lgkmcnt(0)
	ds_write_b128 v230, v[18:21]
	s_waitcnt lgkmcnt(0)
	s_barrier
	ds_read2_b64 v[18:21], v136 offset1:4
	s_waitcnt lgkmcnt(0)
	v_mfma_f32_16x16x16f16 v[22:25], v[18:19], v[14:15], 0
	v_mfma_f32_16x16x16f16 v[18:21], v[20:21], v[16:17], v[22:25]
	s_nop 7
	s_nop 1
	ds_read2_b64 v[22:25], v136 offset0:8 offset1:12
	s_waitcnt lgkmcnt(0)
	v_mfma_f32_16x16x16f16 v[18:21], v[22:23], v[10:11], v[18:21]
	v_mfma_f32_16x16x16f16 v[18:21], v[24:25], v[12:13], v[18:21]
	ds_read2_b64 v[22:25], v136 offset0:16 offset1:20
	s_waitcnt lgkmcnt(0)
	v_mfma_f32_16x16x16f16 v[18:21], v[22:23], v[6:7], v[18:21]
	v_mfma_f32_16x16x16f16 v[18:21], v[24:25], v[8:9], v[18:21]
	;; [unrolled: 4-line block ×3, first 2 shown]
	s_nop 7
	s_nop 1
	ds_read2_b64 v[18:21], v30 offset0:32 offset1:36
	s_waitcnt lgkmcnt(0)
	v_mfma_f32_16x16x16f16 v[22:25], v[18:19], v[14:15], 0
	v_mfma_f32_16x16x16f16 v[18:21], v[20:21], v[16:17], v[22:25]
	s_nop 7
	s_nop 1
	ds_read2_b64 v[22:25], v30 offset0:40 offset1:44
	s_waitcnt lgkmcnt(0)
	v_mfma_f32_16x16x16f16 v[18:21], v[22:23], v[10:11], v[18:21]
	v_mfma_f32_16x16x16f16 v[18:21], v[24:25], v[12:13], v[18:21]
	ds_read2_b64 v[22:25], v30 offset0:48 offset1:52
	s_waitcnt lgkmcnt(0)
	v_mfma_f32_16x16x16f16 v[18:21], v[22:23], v[6:7], v[18:21]
	v_mfma_f32_16x16x16f16 v[18:21], v[24:25], v[8:9], v[18:21]
	;; [unrolled: 4-line block ×3, first 2 shown]
	s_nop 7
	s_nop 1
	ds_read2_b64 v[18:21], v41 offset0:64 offset1:68
	s_waitcnt lgkmcnt(0)
	v_mfma_f32_16x16x16f16 v[30:33], v[18:19], v[14:15], 0
	v_mfma_f32_16x16x16f16 v[18:21], v[20:21], v[16:17], v[30:33]
	s_nop 7
	s_nop 1
	ds_read2_b64 v[30:33], v41 offset0:72 offset1:76
	s_waitcnt lgkmcnt(0)
	v_mfma_f32_16x16x16f16 v[18:21], v[30:31], v[10:11], v[18:21]
	v_mfma_f32_16x16x16f16 v[18:21], v[32:33], v[12:13], v[18:21]
	ds_read2_b64 v[30:33], v41 offset0:80 offset1:84
	s_waitcnt lgkmcnt(0)
	v_mfma_f32_16x16x16f16 v[18:21], v[30:31], v[6:7], v[18:21]
	v_mfma_f32_16x16x16f16 v[18:21], v[32:33], v[8:9], v[18:21]
	ds_read2_b64 v[30:33], v41 offset0:88 offset1:92
	v_add_u32_e32 v41, 0x3000, v136
	s_waitcnt lgkmcnt(0)
	v_mfma_f32_16x16x16f16 v[18:21], v[30:31], v[2:3], v[18:21]
	v_mfma_f32_16x16x16f16 v[18:21], v[32:33], v[4:5], v[18:21]
	ds_read2_b64 v[30:33], v41 offset0:96 offset1:100
	s_waitcnt lgkmcnt(0)
	v_mfma_f32_16x16x16f16 v[114:117], v[30:31], v[14:15], 0
	v_mfma_f32_16x16x16f16 v[30:33], v[32:33], v[16:17], v[114:117]
	s_nop 7
	s_nop 1
	ds_read2_b64 v[114:117], v41 offset0:104 offset1:108
	s_waitcnt lgkmcnt(0)
	v_mfma_f32_16x16x16f16 v[30:33], v[114:115], v[10:11], v[30:33]
	v_mfma_f32_16x16x16f16 v[30:33], v[116:117], v[12:13], v[30:33]
	ds_read2_b64 v[114:117], v41 offset0:112 offset1:116
	s_waitcnt lgkmcnt(0)
	v_mfma_f32_16x16x16f16 v[30:33], v[114:115], v[6:7], v[30:33]
	v_mfma_f32_16x16x16f16 v[30:33], v[116:117], v[8:9], v[30:33]
	ds_read2_b64 v[114:117], v41 offset0:120 offset1:124
	s_waitcnt lgkmcnt(0)
	s_barrier
	v_mfma_f32_16x16x16f16 v[30:33], v[114:115], v[2:3], v[30:33]
	v_mfma_f32_16x16x16f16 v[30:33], v[116:117], v[4:5], v[30:33]
	s_cbranch_vccnz .LBB24_302
; %bb.301:                              ;   in Loop: Header=BB24_300 Depth=2
	ds_read_b32 v41, v138 offset:17408
	v_add_u32_e32 v60, 0x4400, v154
	s_waitcnt lgkmcnt(0)
	v_cvt_f32_f16_sdwa v115, v41 dst_sel:DWORD dst_unused:UNUSED_PAD src0_sel:WORD_1
	v_cvt_f32_f16_e32 v114, v41
	ds_read_b32 v41, v163 offset:17408
	v_pk_fma_f32 v[26:27], v[64:65], v[114:115], v[26:27]
	ds_read2_b32 v[114:115], v60 offset1:1
	s_waitcnt lgkmcnt(1)
	v_cvt_f32_f16_sdwa v117, v41 dst_sel:DWORD dst_unused:UNUSED_PAD src0_sel:WORD_1
	v_cvt_f32_f16_e32 v116, v41
	v_mov_b32_e32 v41, v40
	v_add_u32_e32 v60, 0x4400, v158
	v_pk_fma_f32 v[28:29], v[40:41], v[116:117], v[28:29]
	s_waitcnt lgkmcnt(0)
	v_cvt_f32_f16_e32 v116, v114
	v_cvt_f32_f16_sdwa v117, v114 dst_sel:DWORD dst_unused:UNUSED_PAD src0_sel:WORD_1
	v_cvt_f32_f16_e32 v114, v115
	v_cvt_f32_f16_sdwa v115, v115 dst_sel:DWORD dst_unused:UNUSED_PAD src0_sel:WORD_1
	v_pk_fma_f32 v[22:23], v[64:65], v[116:117], v[22:23]
	v_pk_fma_f32 v[24:25], v[40:41], v[114:115], v[24:25]
	ds_read2_b32 v[114:115], v60 offset1:1
	v_add_u32_e32 v60, 0x4400, v165
	s_waitcnt lgkmcnt(0)
	v_cvt_f32_f16_e32 v116, v114
	v_cvt_f32_f16_sdwa v117, v114 dst_sel:DWORD dst_unused:UNUSED_PAD src0_sel:WORD_1
	v_cvt_f32_f16_e32 v114, v115
	v_cvt_f32_f16_sdwa v115, v115 dst_sel:DWORD dst_unused:UNUSED_PAD src0_sel:WORD_1
	v_pk_fma_f32 v[18:19], v[64:65], v[116:117], v[18:19]
	v_pk_fma_f32 v[20:21], v[40:41], v[114:115], v[20:21]
	ds_read2_b32 v[114:115], v60 offset1:1
	s_waitcnt lgkmcnt(0)
	v_cvt_f32_f16_e32 v116, v114
	v_cvt_f32_f16_sdwa v117, v114 dst_sel:DWORD dst_unused:UNUSED_PAD src0_sel:WORD_1
	v_cvt_f32_f16_e32 v114, v115
	v_cvt_f32_f16_sdwa v115, v115 dst_sel:DWORD dst_unused:UNUSED_PAD src0_sel:WORD_1
	v_pk_fma_f32 v[30:31], v[64:65], v[116:117], v[30:31]
	v_pk_fma_f32 v[32:33], v[40:41], v[114:115], v[32:33]
.LBB24_302:                             ;   in Loop: Header=BB24_300 Depth=2
	v_add_f32_e32 v41, 0x40051340, v26
	v_max_f32_e32 v60, v61, v61
	v_max_f32_e32 v41, v60, v41
	v_cndmask_b32_e64 v41, v61, v41, s[16:17]
	v_add_f32_e32 v60, 0x40051340, v27
	v_max_f32_e32 v41, v41, v41
	v_max_f32_e32 v41, v41, v60
	v_cndmask_b32_e64 v41, v61, v41, s[16:17]
	;; [unrolled: 4-line block ×16, first 2 shown]
	ds_bpermute_b32 v60, v207, v41
	v_max_f32_e32 v41, v41, v41
	v_cndmask_b32_e64 v28, v28, v28, s[16:17]
	v_cndmask_b32_e64 v29, v29, v29, s[16:17]
	;; [unrolled: 1-line block ×3, first 2 shown]
	s_waitcnt lgkmcnt(0)
	v_max_f32_e32 v60, v60, v60
	v_max_f32_e32 v41, v41, v60
	ds_bpermute_b32 v60, v187, v41
	v_cndmask_b32_e64 v24, v24, v24, s[18:19]
	v_cndmask_b32_e64 v25, v25, v25, s[18:19]
	;; [unrolled: 1-line block ×4, first 2 shown]
	s_waitcnt lgkmcnt(0)
	v_max_f32_e32 v60, v60, v60
	v_max_f32_e32 v41, v41, v60
	v_sub_f32_e32 v26, v26, v41
	v_mul_f32_e32 v60, 0x3fb8aa3b, v26
	v_fma_f32 v114, v26, s74, -v60
	v_rndne_f32_e32 v115, v60
	v_fmac_f32_e32 v114, 0x32a5705f, v26
	v_sub_f32_e32 v60, v60, v115
	v_add_f32_e32 v60, v60, v114
	v_exp_f32_e32 v60, v60
	v_cvt_i32_f32_e32 v114, v115
	v_sub_f32_e32 v27, v27, v41
	v_cmp_ngt_f32_e32 vcc, s75, v26
	v_sub_f32_e32 v22, v22, v41
	v_ldexp_f32 v60, v60, v114
	v_mul_f32_e32 v114, 0x3fb8aa3b, v27
	v_fma_f32 v115, v27, s74, -v114
	v_rndne_f32_e32 v116, v114
	v_fmac_f32_e32 v115, 0x32a5705f, v27
	v_sub_f32_e32 v114, v114, v116
	v_add_f32_e32 v114, v114, v115
	v_exp_f32_e32 v114, v114
	v_cvt_i32_f32_e32 v115, v116
	v_cndmask_b32_e32 v60, 0, v60, vcc
	v_cmp_nlt_f32_e32 vcc, s61, v26
	v_cndmask_b32_e32 v60, v247, v60, vcc
	v_ldexp_f32 v114, v114, v115
	v_cmp_ngt_f32_e32 vcc, s75, v27
	v_cndmask_b32_e32 v114, 0, v114, vcc
	v_cmp_nlt_f32_e32 vcc, s61, v27
	v_cndmask_b32_e32 v114, v247, v114, vcc
	v_mov_b32_e32 v27, s65
	v_cndmask_b32_e64 v26, 0, v60, s[16:17]
	v_add_f32_e32 v60, v60, v114
	v_cndmask_b32_e64 v114, v27, v114, s[16:17]
	v_sub_f32_e32 v27, v28, v41
	v_mul_f32_e32 v28, 0x3fb8aa3b, v27
	v_fma_f32 v115, v27, s74, -v28
	v_rndne_f32_e32 v116, v28
	v_fmac_f32_e32 v115, 0x32a5705f, v27
	v_sub_f32_e32 v28, v28, v116
	v_add_f32_e32 v28, v28, v115
	v_exp_f32_e32 v28, v28
	v_cvt_i32_f32_e32 v115, v116
	v_cmp_ngt_f32_e32 vcc, s75, v27
	v_sub_f32_e32 v23, v23, v41
	v_sub_f32_e32 v18, v18, v41
	v_ldexp_f32 v28, v28, v115
	v_cndmask_b32_e32 v28, 0, v28, vcc
	v_cmp_nlt_f32_e32 vcc, s61, v27
	v_cndmask_b32_e32 v27, v247, v28, vcc
	v_mov_b32_e32 v28, s65
	v_add_f32_e32 v60, v60, v27
	v_cndmask_b32_e64 v28, v28, v27, s[16:17]
	v_sub_f32_e32 v27, v29, v41
	v_mul_f32_e32 v29, 0x3fb8aa3b, v27
	v_fma_f32 v115, v27, s74, -v29
	v_rndne_f32_e32 v116, v29
	v_fmac_f32_e32 v115, 0x32a5705f, v27
	v_sub_f32_e32 v29, v29, v116
	v_add_f32_e32 v29, v29, v115
	v_exp_f32_e32 v29, v29
	v_cvt_i32_f32_e32 v115, v116
	v_cmp_ngt_f32_e32 vcc, s75, v27
	v_sub_f32_e32 v19, v19, v41
	v_cndmask_b32_e64 v21, v21, v21, s[26:27]
	v_ldexp_f32 v29, v29, v115
	v_cndmask_b32_e32 v29, 0, v29, vcc
	v_cmp_nlt_f32_e32 vcc, s61, v27
	v_cndmask_b32_e32 v29, v247, v29, vcc
	v_add_f32_e32 v60, v60, v29
	v_mov_b32_e32 v27, s65
	v_cndmask_b32_e64 v27, v27, v29, s[16:17]
	v_cndmask_b32_e64 v29, 0, v60, s[16:17]
	v_mul_f32_e32 v60, 0x3fb8aa3b, v22
	v_fma_f32 v115, v22, s74, -v60
	v_rndne_f32_e32 v116, v60
	v_fmac_f32_e32 v115, 0x32a5705f, v22
	v_sub_f32_e32 v60, v60, v116
	v_add_f32_e32 v60, v60, v115
	v_exp_f32_e32 v60, v60
	v_cvt_i32_f32_e32 v115, v116
	v_cmp_ngt_f32_e32 vcc, s75, v22
	s_mov_b64 s[42:43], src_private_base
	buffer_store_dword v209, off, s[0:3], 0
	buffer_store_dword v209, off, s[0:3], 0 offset:4
	buffer_store_dword v209, off, s[0:3], 0 offset:8
	;; [unrolled: 1-line block ×3, first 2 shown]
	v_ldexp_f32 v60, v60, v115
	v_cndmask_b32_e32 v60, 0, v60, vcc
	v_cmp_nlt_f32_e32 vcc, s61, v22
	v_cndmask_b32_e32 v60, v247, v60, vcc
	v_add_f32_e32 v115, v60, v29
	v_mov_b32_e32 v22, s65
	v_cndmask_b32_e64 v60, v22, v60, s[18:19]
	v_cndmask_b32_e64 v22, v29, v115, s[18:19]
	v_mul_f32_e32 v29, 0x3fb8aa3b, v23
	v_fma_f32 v115, v23, s74, -v29
	v_rndne_f32_e32 v116, v29
	v_fmac_f32_e32 v115, 0x32a5705f, v23
	v_sub_f32_e32 v29, v29, v116
	v_add_f32_e32 v29, v29, v115
	v_exp_f32_e32 v29, v29
	v_cvt_i32_f32_e32 v115, v116
	v_cmp_ngt_f32_e32 vcc, s75, v23
	s_add_i32 s45, s45, -1
	s_cmp_lg_u32 s45, 0
	v_ldexp_f32 v29, v29, v115
	v_cndmask_b32_e32 v29, 0, v29, vcc
	v_cmp_nlt_f32_e32 vcc, s61, v23
	v_cndmask_b32_e32 v29, v247, v29, vcc
	v_add_f32_e32 v115, v29, v22
	v_mov_b32_e32 v23, s65
	v_cndmask_b32_e64 v29, v23, v29, s[20:21]
	v_cndmask_b32_e64 v23, v22, v115, s[20:21]
	v_sub_f32_e32 v22, v24, v41
	v_mul_f32_e32 v24, 0x3fb8aa3b, v22
	v_fma_f32 v115, v22, s74, -v24
	v_rndne_f32_e32 v116, v24
	v_fmac_f32_e32 v115, 0x32a5705f, v22
	v_sub_f32_e32 v24, v24, v116
	v_add_f32_e32 v24, v24, v115
	v_exp_f32_e32 v24, v24
	v_cvt_i32_f32_e32 v115, v116
	v_cmp_ngt_f32_e32 vcc, s75, v22
	v_ldexp_f32 v24, v24, v115
	v_cndmask_b32_e32 v24, 0, v24, vcc
	v_cmp_nlt_f32_e32 vcc, s61, v22
	v_cndmask_b32_e32 v24, v247, v24, vcc
	v_add_f32_e32 v115, v24, v23
	v_mov_b32_e32 v22, s65
	v_cndmask_b32_e64 v116, v22, v24, s[22:23]
	v_cndmask_b32_e64 v22, v23, v115, s[22:23]
	v_sub_f32_e32 v23, v25, v41
	v_mul_f32_e32 v24, 0x3fb8aa3b, v23
	v_fma_f32 v25, v23, s74, -v24
	v_rndne_f32_e32 v115, v24
	v_fmac_f32_e32 v25, 0x32a5705f, v23
	v_sub_f32_e32 v24, v24, v115
	v_add_f32_e32 v24, v24, v25
	v_exp_f32_e32 v24, v24
	v_cvt_i32_f32_e32 v25, v115
	v_cmp_ngt_f32_e32 vcc, s75, v23
	v_ldexp_f32 v24, v24, v25
	v_cndmask_b32_e32 v24, 0, v24, vcc
	v_cmp_nlt_f32_e32 vcc, s61, v23
	v_cndmask_b32_e32 v24, v247, v24, vcc
	v_mov_b32_e32 v23, s65
	v_add_f32_e32 v25, v24, v22
	v_cndmask_b32_e64 v23, v23, v24, s[24:25]
	v_mul_f32_e32 v24, 0x3fb8aa3b, v18
	v_cndmask_b32_e64 v22, v22, v25, s[24:25]
	v_fma_f32 v25, v18, s74, -v24
	v_rndne_f32_e32 v115, v24
	v_fmac_f32_e32 v25, 0x32a5705f, v18
	v_sub_f32_e32 v24, v24, v115
	v_add_f32_e32 v24, v24, v25
	v_exp_f32_e32 v24, v24
	v_cvt_i32_f32_e32 v25, v115
	v_cmp_ngt_f32_e32 vcc, s75, v18
	v_ldexp_f32 v24, v24, v25
	v_cndmask_b32_e32 v24, 0, v24, vcc
	v_cmp_nlt_f32_e32 vcc, s61, v18
	v_cndmask_b32_e32 v24, v247, v24, vcc
	v_add_f32_e32 v25, v24, v22
	v_mov_b32_e32 v18, s65
	v_cndmask_b32_e64 v115, v18, v24, s[26:27]
	v_cndmask_b32_e64 v18, v22, v25, s[26:27]
	v_mul_f32_e32 v22, 0x3fb8aa3b, v19
	v_fma_f32 v24, v19, s74, -v22
	v_rndne_f32_e32 v25, v22
	v_fmac_f32_e32 v24, 0x32a5705f, v19
	v_sub_f32_e32 v22, v22, v25
	v_add_f32_e32 v22, v22, v24
	v_exp_f32_e32 v22, v22
	v_cvt_i32_f32_e32 v24, v25
	v_cmp_ngt_f32_e32 vcc, s75, v19
	v_cndmask_b32_e64 v25, v31, v31, s[4:5]
	v_ldexp_f32 v22, v22, v24
	v_cndmask_b32_e32 v22, 0, v22, vcc
	v_cmp_nlt_f32_e32 vcc, s61, v19
	v_cndmask_b32_e32 v22, v247, v22, vcc
	v_add_f32_e32 v24, v22, v18
	v_mov_b32_e32 v19, s65
	v_cndmask_b32_e64 v117, v19, v22, s[28:29]
	v_cndmask_b32_e64 v19, v18, v24, s[28:29]
	v_sub_f32_e32 v18, v20, v41
	v_mul_f32_e32 v20, 0x3fb8aa3b, v18
	v_fma_f32 v22, v18, s74, -v20
	v_rndne_f32_e32 v24, v20
	v_fmac_f32_e32 v22, 0x32a5705f, v18
	v_sub_f32_e32 v20, v20, v24
	v_add_f32_e32 v20, v20, v22
	v_exp_f32_e32 v20, v20
	v_cvt_i32_f32_e32 v22, v24
	v_cmp_ngt_f32_e32 vcc, s75, v18
	v_cndmask_b32_e64 v24, v32, v32, s[4:5]
	v_ldexp_f32 v20, v20, v22
	v_cndmask_b32_e32 v20, 0, v20, vcc
	v_cmp_nlt_f32_e32 vcc, s61, v18
	v_cndmask_b32_e32 v20, v247, v20, vcc
	v_add_f32_e32 v22, v20, v19
	v_mov_b32_e32 v18, s65
	v_cndmask_b32_e64 v205, v18, v20, s[30:31]
	v_cndmask_b32_e64 v18, v19, v22, s[30:31]
	v_sub_f32_e32 v19, v21, v41
	v_mul_f32_e32 v20, 0x3fb8aa3b, v19
	v_fma_f32 v21, v19, s74, -v20
	v_rndne_f32_e32 v22, v20
	v_fmac_f32_e32 v21, 0x32a5705f, v19
	v_sub_f32_e32 v20, v20, v22
	v_add_f32_e32 v20, v20, v21
	v_exp_f32_e32 v20, v20
	v_cvt_i32_f32_e32 v21, v22
	v_cmp_ngt_f32_e32 vcc, s75, v19
	v_ldexp_f32 v20, v20, v21
	v_cndmask_b32_e32 v20, 0, v20, vcc
	v_cmp_nlt_f32_e32 vcc, s61, v19
	v_cndmask_b32_e32 v20, v247, v20, vcc
	v_add_f32_e32 v21, v20, v18
	v_mov_b32_e32 v19, s65
	v_cndmask_b32_e64 v206, v19, v20, s[34:35]
	v_cndmask_b32_e64 v19, v18, v21, s[34:35]
	v_sub_f32_e32 v18, v30, v41
	v_mul_f32_e32 v20, 0x3fb8aa3b, v18
	v_fma_f32 v21, v18, s74, -v20
	v_rndne_f32_e32 v22, v20
	v_fmac_f32_e32 v21, 0x32a5705f, v18
	v_sub_f32_e32 v20, v20, v22
	v_add_f32_e32 v20, v20, v21
	v_exp_f32_e32 v20, v20
	v_cvt_i32_f32_e32 v21, v22
	v_cmp_ngt_f32_e32 vcc, s75, v18
	v_cndmask_b32_e64 v22, v33, v33, s[4:5]
	v_ldexp_f32 v20, v20, v21
	v_cndmask_b32_e32 v20, 0, v20, vcc
	v_cmp_nlt_f32_e32 vcc, s61, v18
	v_cndmask_b32_e32 v20, v247, v20, vcc
	v_add_f32_e32 v21, v20, v19
	v_mov_b32_e32 v18, s65
	v_cndmask_b32_e64 v30, v18, v20, s[4:5]
	v_cndmask_b32_e64 v18, v19, v21, s[4:5]
	v_sub_f32_e32 v19, v25, v41
	v_mul_f32_e32 v20, 0x3fb8aa3b, v19
	v_fma_f32 v21, v19, s74, -v20
	v_rndne_f32_e32 v25, v20
	v_fmac_f32_e32 v21, 0x32a5705f, v19
	v_sub_f32_e32 v20, v20, v25
	v_add_f32_e32 v20, v20, v21
	v_exp_f32_e32 v20, v20
	v_cvt_i32_f32_e32 v21, v25
	v_cmp_ngt_f32_e32 vcc, s75, v19
	v_ldexp_f32 v20, v20, v21
	v_cndmask_b32_e32 v20, 0, v20, vcc
	v_cmp_nlt_f32_e32 vcc, s61, v19
	v_cndmask_b32_e32 v20, v247, v20, vcc
	v_add_f32_e32 v21, v20, v18
	v_mov_b32_e32 v19, s65
	v_cndmask_b32_e64 v31, v19, v20, s[36:37]
	v_cndmask_b32_e64 v19, v18, v21, s[36:37]
	v_sub_f32_e32 v18, v24, v41
	v_mul_f32_e32 v20, 0x3fb8aa3b, v18
	v_fma_f32 v21, v18, s74, -v20
	v_rndne_f32_e32 v24, v20
	v_fmac_f32_e32 v21, 0x32a5705f, v18
	v_sub_f32_e32 v20, v20, v24
	v_add_f32_e32 v20, v20, v21
	v_exp_f32_e32 v20, v20
	v_cvt_i32_f32_e32 v21, v24
	v_cmp_ngt_f32_e32 vcc, s75, v18
	;; [unrolled: 18-line block ×3, first 2 shown]
	v_ldexp_f32 v20, v20, v21
	v_cndmask_b32_e32 v20, 0, v20, vcc
	v_cmp_nlt_f32_e32 vcc, s61, v19
	v_cndmask_b32_e32 v20, v247, v20, vcc
	v_add_f32_e32 v21, v20, v18
	v_mov_b32_e32 v19, s65
	v_cndmask_b32_e64 v32, v18, v21, s[40:41]
	v_sub_f32_e32 v18, v61, v41
	v_cndmask_b32_e64 v19, v19, v20, s[40:41]
	v_mul_f32_e32 v20, 0x3fb8aa3b, v18
	v_fma_f32 v21, v18, s74, -v20
	v_rndne_f32_e32 v22, v20
	v_fmac_f32_e32 v21, 0x32a5705f, v18
	v_sub_f32_e32 v20, v20, v22
	v_add_f32_e32 v20, v20, v21
	v_exp_f32_e32 v20, v20
	v_cvt_i32_f32_e32 v21, v22
	v_cmp_ngt_f32_e32 vcc, s75, v18
	v_cvt_f16_f32_e32 v19, v19
	v_ldexp_f32 v20, v20, v21
	v_cndmask_b32_e32 v20, 0, v20, vcc
	v_cmp_nlt_f32_e32 vcc, s61, v18
	v_cndmask_b32_e32 v20, v247, v20, vcc
	v_cmp_le_f32_e32 vcc, s97, v18
	v_cndmask_b32_e32 v18, 0, v20, vcc
	v_fmac_f32_e32 v32, v204, v18
	v_cvt_f16_f32_e32 v18, v18
	v_cvt_f16_f32_e32 v20, v114
	v_cvt_f16_f32_e32 v21, v206
	v_mov_b32_e32 v114, s43
	v_pk_mul_f16 v245, v18, v245 op_sel_hi:[0,1]
	v_pk_mul_f16 v0, v18, v0 op_sel_hi:[0,1]
	;; [unrolled: 1-line block ×16, first 2 shown]
	v_cvt_f16_f32_e32 v18, v26
	v_cvt_f16_f32_e32 v26, v31
	v_pack_b32_f16 v24, v18, v20
	v_cvt_f16_f32_e32 v18, v28
	v_cvt_f16_f32_e32 v20, v27
	v_pack_b32_f16 v25, v18, v20
	;; [unrolled: 3-line block ×4, first 2 shown]
	v_cvt_f16_f32_e32 v18, v115
	v_cvt_f16_f32_e32 v20, v117
	v_mov_b32_e32 v115, s66
	v_pack_b32_f16 v20, v18, v20
	v_cvt_f16_f32_e32 v18, v205
	v_pack_b32_f16 v21, v18, v21
	v_cvt_f16_f32_e32 v18, v30
	;; [unrolled: 2-line block ×3, first 2 shown]
	v_pack_b32_f16 v19, v26, v19
	v_add_co_u32_e32 v26, vcc, v66, v58
	v_addc_co_u32_e32 v27, vcc, 0, v1, vcc
	v_cndmask_b32_e64 v60, v115, v26, s[56:57]
	v_add_co_u32_e32 v26, vcc, v68, v58
	v_cndmask_b32_e64 v61, v114, v27, s[56:57]
	v_addc_co_u32_e32 v27, vcc, 0, v35, vcc
	v_cndmask_b32_e64 v30, v115, v26, s[10:11]
	v_add_co_u32_e32 v26, vcc, v70, v58
	v_cndmask_b32_e64 v31, v114, v27, s[10:11]
	;; [unrolled: 4-line block ×3, first 2 shown]
	v_addc_co_u32_e32 v27, vcc, 0, v39, vcc
	v_cndmask_b32_e64 v27, v114, v27, s[14:15]
	v_cndmask_b32_e64 v26, v115, v26, s[14:15]
	flat_load_dwordx4 v[114:117], v[60:61]
	v_add_co_u32_e32 v66, vcc, s68, v66
	s_waitcnt vmcnt(0) lgkmcnt(0)
	ds_write_b128 v135, v[114:117]
	flat_load_dwordx4 v[114:117], v[30:31]
	s_waitcnt vmcnt(0) lgkmcnt(0)
	ds_write_b128 v226, v[114:117]
	flat_load_dwordx4 v[28:31], v[28:29]
	;; [unrolled: 3-line block ×3, first 2 shown]
	s_waitcnt vmcnt(0) lgkmcnt(0)
	ds_write_b128 v230, v[26:29]
	s_waitcnt lgkmcnt(0)
	s_barrier
	ds_read_u16 v30, v141 offset:544
	v_cvt_f32_f16_e32 v28, v0
	v_cvt_f32_f16_sdwa v29, v0 dst_sel:DWORD dst_unused:UNUSED_PAD src0_sel:WORD_1
	ds_read_u16 v0, v142
	ds_read_u16 v60, v142 offset:32
	v_cvt_f32_f16_e32 v26, v245
	v_cvt_f32_f16_sdwa v27, v245 dst_sel:DWORD dst_unused:UNUSED_PAD src0_sel:WORD_1
	s_waitcnt lgkmcnt(1)
	v_perm_b32 v31, v0, v30, s62
	ds_read_u16 v0, v167
	ds_read_u16 v61, v167 offset:32
	ds_read_u16 v30, v141 offset:272
	;; [unrolled: 1-line block ×3, first 2 shown]
	s_waitcnt lgkmcnt(1)
	v_perm_b32 v30, v30, v0, s62
	s_nop 1
	v_mfma_f32_16x16x16f16 v[26:29], v[30:31], v[24:25], v[26:29]
	ds_read_u16 v30, v167 offset:4352
	ds_read_u16 v115, v141 offset:4624
	ds_read_u16 v31, v143 offset:544
	ds_read_u16 v116, v142 offset:4352
	s_waitcnt lgkmcnt(2)
	v_perm_b32 v30, v115, v30, s62
	s_waitcnt lgkmcnt(0)
	v_perm_b32 v31, v116, v31, s62
	s_nop 2
	v_cvt_f16_f32_e32 v0, v26
	v_cvt_f16_f32_e32 v27, v27
	v_cvt_f16_f32_e32 v28, v28
	v_cvt_f16_f32_e32 v29, v29
	v_cvt_f32_f16_e32 v26, v0
	v_cvt_f32_f16_e32 v27, v27
	v_cvt_f32_f16_e32 v28, v28
	v_cvt_f32_f16_e32 v29, v29
	s_nop 1
	v_mfma_f32_16x16x16f16 v[26:29], v[30:31], v[22:23], v[26:29]
	ds_read_u16 v30, v167 offset:8704
	ds_read_u16 v115, v141 offset:8976
	ds_read_u16 v31, v144 offset:544
	ds_read_u16 v116, v142 offset:8704
	s_waitcnt lgkmcnt(2)
	v_perm_b32 v30, v115, v30, s62
	s_waitcnt lgkmcnt(0)
	v_perm_b32 v31, v116, v31, s62
	s_nop 2
	v_cvt_f16_f32_e32 v0, v26
	v_cvt_f16_f32_e32 v27, v27
	v_cvt_f16_f32_e32 v28, v28
	v_cvt_f16_f32_e32 v29, v29
	v_cvt_f32_f16_e32 v26, v0
	v_cvt_f32_f16_e32 v27, v27
	v_cvt_f32_f16_e32 v28, v28
	v_cvt_f32_f16_e32 v29, v29
	;; [unrolled: 19-line block ×3, first 2 shown]
	s_nop 1
	v_mfma_f32_16x16x16f16 v[26:29], v[30:31], v[18:19], v[26:29]
	ds_read_u16 v30, v170 offset:544
	s_waitcnt lgkmcnt(0)
	v_perm_b32 v31, v60, v30, s62
	v_perm_b32 v30, v114, v61, s62
	s_nop 6
	v_cvt_f16_f32_e32 v0, v26
	v_cvt_f16_f32_e32 v26, v27
	;; [unrolled: 1-line block ×4, first 2 shown]
	v_cvt_f32_f16_sdwa v29, v191 dst_sel:DWORD dst_unused:UNUSED_PAD src0_sel:WORD_1
	v_pack_b32_f16 v245, v0, v26
	v_cvt_f32_f16_e32 v26, v204
	v_pack_b32_f16 v0, v27, v28
	v_cvt_f32_f16_sdwa v27, v204 dst_sel:DWORD dst_unused:UNUSED_PAD src0_sel:WORD_1
	v_cvt_f32_f16_e32 v28, v191
	s_nop 1
	v_mfma_f32_16x16x16f16 v[26:29], v[30:31], v[24:25], v[26:29]
	ds_read_u16 v30, v167 offset:4384
	ds_read_u16 v60, v141 offset:4656
	ds_read_u16 v31, v146 offset:544
	ds_read_u16 v61, v142 offset:4384
	s_waitcnt lgkmcnt(2)
	v_perm_b32 v30, v60, v30, s62
	s_waitcnt lgkmcnt(0)
	v_perm_b32 v31, v61, v31, s62
	s_nop 2
	v_cvt_f16_f32_e32 v26, v26
	v_cvt_f16_f32_e32 v27, v27
	v_cvt_f16_f32_e32 v28, v28
	v_cvt_f16_f32_e32 v29, v29
	v_cvt_f32_f16_e32 v26, v26
	v_cvt_f32_f16_e32 v27, v27
	v_cvt_f32_f16_e32 v28, v28
	v_cvt_f32_f16_e32 v29, v29
	s_nop 1
	v_mfma_f32_16x16x16f16 v[26:29], v[30:31], v[22:23], v[26:29]
	ds_read_u16 v30, v167 offset:8736
	ds_read_u16 v60, v141 offset:9008
	ds_read_u16 v31, v147 offset:544
	ds_read_u16 v61, v142 offset:8736
	s_waitcnt lgkmcnt(2)
	v_perm_b32 v30, v60, v30, s62
	s_waitcnt lgkmcnt(0)
	v_perm_b32 v31, v61, v31, s62
	s_nop 2
	v_cvt_f16_f32_e32 v26, v26
	v_cvt_f16_f32_e32 v27, v27
	v_cvt_f16_f32_e32 v28, v28
	v_cvt_f16_f32_e32 v29, v29
	v_cvt_f32_f16_e32 v26, v26
	v_cvt_f32_f16_e32 v27, v27
	v_cvt_f32_f16_e32 v28, v28
	;; [unrolled: 19-line block ×3, first 2 shown]
	v_cvt_f32_f16_e32 v29, v29
	s_nop 1
	v_mfma_f32_16x16x16f16 v[26:29], v[30:31], v[18:19], v[26:29]
	ds_read_u16 v30, v167 offset:64
	ds_read_u16 v60, v141 offset:336
	;; [unrolled: 1-line block ×4, first 2 shown]
	s_waitcnt lgkmcnt(2)
	v_perm_b32 v30, v60, v30, s62
	s_waitcnt lgkmcnt(0)
	v_perm_b32 v31, v61, v31, s62
	s_nop 2
	v_cvt_f16_f32_e32 v26, v26
	v_cvt_f16_f32_e32 v27, v27
	v_cvt_f16_f32_e32 v28, v28
	v_cvt_f16_f32_e32 v29, v29
	v_pack_b32_f16 v191, v26, v27
	v_cvt_f32_f16_e32 v26, v193
	v_pack_b32_f16 v246, v28, v29
	v_cvt_f32_f16_sdwa v27, v193 dst_sel:DWORD dst_unused:UNUSED_PAD src0_sel:WORD_1
	v_cvt_f32_f16_e32 v28, v192
	v_cvt_f32_f16_sdwa v29, v192 dst_sel:DWORD dst_unused:UNUSED_PAD src0_sel:WORD_1
	s_nop 1
	v_mfma_f32_16x16x16f16 v[26:29], v[30:31], v[24:25], v[26:29]
	ds_read_u16 v30, v167 offset:4416
	ds_read_u16 v60, v141 offset:4688
	ds_read_u16 v31, v149 offset:544
	ds_read_u16 v61, v142 offset:4416
	s_waitcnt lgkmcnt(2)
	v_perm_b32 v30, v60, v30, s62
	s_waitcnt lgkmcnt(0)
	v_perm_b32 v31, v61, v31, s62
	s_nop 2
	v_cvt_f16_f32_e32 v26, v26
	v_cvt_f16_f32_e32 v27, v27
	v_cvt_f16_f32_e32 v28, v28
	v_cvt_f16_f32_e32 v29, v29
	v_cvt_f32_f16_e32 v26, v26
	v_cvt_f32_f16_e32 v27, v27
	v_cvt_f32_f16_e32 v28, v28
	v_cvt_f32_f16_e32 v29, v29
	s_nop 1
	v_mfma_f32_16x16x16f16 v[26:29], v[30:31], v[22:23], v[26:29]
	ds_read_u16 v30, v167 offset:8768
	ds_read_u16 v60, v141 offset:9040
	ds_read_u16 v31, v150 offset:544
	ds_read_u16 v61, v142 offset:8768
	s_waitcnt lgkmcnt(2)
	v_perm_b32 v30, v60, v30, s62
	s_waitcnt lgkmcnt(0)
	v_perm_b32 v31, v61, v31, s62
	s_nop 2
	v_cvt_f16_f32_e32 v26, v26
	v_cvt_f16_f32_e32 v27, v27
	v_cvt_f16_f32_e32 v28, v28
	v_cvt_f16_f32_e32 v29, v29
	v_cvt_f32_f16_e32 v26, v26
	v_cvt_f32_f16_e32 v27, v27
	v_cvt_f32_f16_e32 v28, v28
	v_cvt_f32_f16_e32 v29, v29
	;; [unrolled: 19-line block ×3, first 2 shown]
	s_nop 1
	v_mfma_f32_16x16x16f16 v[26:29], v[30:31], v[18:19], v[26:29]
	ds_read_u16 v30, v167 offset:96
	ds_read_u16 v60, v141 offset:368
	;; [unrolled: 1-line block ×4, first 2 shown]
	s_waitcnt lgkmcnt(2)
	v_perm_b32 v30, v60, v30, s62
	s_waitcnt lgkmcnt(0)
	v_perm_b32 v31, v61, v31, s62
	s_nop 2
	v_cvt_f16_f32_e32 v26, v26
	v_cvt_f16_f32_e32 v27, v27
	;; [unrolled: 1-line block ×4, first 2 shown]
	v_pack_b32_f16 v193, v26, v27
	v_cvt_f32_f16_e32 v26, v195
	v_pack_b32_f16 v192, v28, v29
	v_cvt_f32_f16_sdwa v27, v195 dst_sel:DWORD dst_unused:UNUSED_PAD src0_sel:WORD_1
	v_cvt_f32_f16_e32 v28, v194
	v_cvt_f32_f16_sdwa v29, v194 dst_sel:DWORD dst_unused:UNUSED_PAD src0_sel:WORD_1
	s_nop 1
	v_mfma_f32_16x16x16f16 v[26:29], v[30:31], v[24:25], v[26:29]
	ds_read_u16 v30, v167 offset:4448
	ds_read_u16 v60, v141 offset:4720
	ds_read_u16 v31, v153 offset:544
	ds_read_u16 v61, v142 offset:4448
	s_waitcnt lgkmcnt(2)
	v_perm_b32 v30, v60, v30, s62
	s_waitcnt lgkmcnt(0)
	v_perm_b32 v31, v61, v31, s62
	s_nop 2
	v_cvt_f16_f32_e32 v26, v26
	v_cvt_f16_f32_e32 v27, v27
	v_cvt_f16_f32_e32 v28, v28
	v_cvt_f16_f32_e32 v29, v29
	v_cvt_f32_f16_e32 v26, v26
	v_cvt_f32_f16_e32 v27, v27
	v_cvt_f32_f16_e32 v28, v28
	v_cvt_f32_f16_e32 v29, v29
	s_nop 1
	v_mfma_f32_16x16x16f16 v[26:29], v[30:31], v[22:23], v[26:29]
	ds_read_u16 v30, v167 offset:8800
	ds_read_u16 v60, v141 offset:9072
	ds_read_u16 v31, v157 offset:544
	ds_read_u16 v61, v142 offset:8800
	s_waitcnt lgkmcnt(2)
	v_perm_b32 v30, v60, v30, s62
	s_waitcnt lgkmcnt(0)
	v_perm_b32 v31, v61, v31, s62
	s_nop 2
	v_cvt_f16_f32_e32 v26, v26
	v_cvt_f16_f32_e32 v27, v27
	v_cvt_f16_f32_e32 v28, v28
	v_cvt_f16_f32_e32 v29, v29
	v_cvt_f32_f16_e32 v26, v26
	v_cvt_f32_f16_e32 v27, v27
	v_cvt_f32_f16_e32 v28, v28
	v_cvt_f32_f16_e32 v29, v29
	;; [unrolled: 19-line block ×3, first 2 shown]
	s_nop 1
	v_mfma_f32_16x16x16f16 v[26:29], v[30:31], v[18:19], v[26:29]
	ds_read_u16 v30, v167 offset:128
	ds_read_u16 v60, v141 offset:400
	;; [unrolled: 1-line block ×4, first 2 shown]
	s_waitcnt lgkmcnt(2)
	v_perm_b32 v30, v60, v30, s62
	s_waitcnt lgkmcnt(0)
	v_perm_b32 v31, v61, v31, s62
	s_nop 2
	v_cvt_f16_f32_e32 v26, v26
	v_cvt_f16_f32_e32 v27, v27
	;; [unrolled: 1-line block ×4, first 2 shown]
	v_pack_b32_f16 v195, v26, v27
	v_cvt_f32_f16_e32 v26, v197
	v_pack_b32_f16 v194, v28, v29
	v_cvt_f32_f16_sdwa v27, v197 dst_sel:DWORD dst_unused:UNUSED_PAD src0_sel:WORD_1
	v_cvt_f32_f16_e32 v28, v196
	v_cvt_f32_f16_sdwa v29, v196 dst_sel:DWORD dst_unused:UNUSED_PAD src0_sel:WORD_1
	s_nop 1
	v_mfma_f32_16x16x16f16 v[26:29], v[30:31], v[24:25], v[26:29]
	ds_read_u16 v30, v167 offset:4480
	ds_read_u16 v60, v141 offset:4752
	ds_read_u16 v31, v161 offset:544
	ds_read_u16 v61, v142 offset:4480
	s_waitcnt lgkmcnt(2)
	v_perm_b32 v30, v60, v30, s62
	s_waitcnt lgkmcnt(0)
	v_perm_b32 v31, v61, v31, s62
	s_nop 2
	v_cvt_f16_f32_e32 v26, v26
	v_cvt_f16_f32_e32 v27, v27
	v_cvt_f16_f32_e32 v28, v28
	v_cvt_f16_f32_e32 v29, v29
	v_cvt_f32_f16_e32 v26, v26
	v_cvt_f32_f16_e32 v27, v27
	v_cvt_f32_f16_e32 v28, v28
	v_cvt_f32_f16_e32 v29, v29
	s_nop 1
	v_mfma_f32_16x16x16f16 v[26:29], v[30:31], v[22:23], v[26:29]
	ds_read_u16 v30, v167 offset:8832
	ds_read_u16 v60, v141 offset:9104
	ds_read_u16 v31, v162 offset:544
	ds_read_u16 v61, v142 offset:8832
	s_waitcnt lgkmcnt(2)
	v_perm_b32 v30, v60, v30, s62
	s_waitcnt lgkmcnt(0)
	v_perm_b32 v31, v61, v31, s62
	s_nop 2
	v_cvt_f16_f32_e32 v26, v26
	v_cvt_f16_f32_e32 v27, v27
	v_cvt_f16_f32_e32 v28, v28
	v_cvt_f16_f32_e32 v29, v29
	v_cvt_f32_f16_e32 v26, v26
	v_cvt_f32_f16_e32 v27, v27
	v_cvt_f32_f16_e32 v28, v28
	v_cvt_f32_f16_e32 v29, v29
	;; [unrolled: 19-line block ×3, first 2 shown]
	s_nop 1
	v_mfma_f32_16x16x16f16 v[26:29], v[30:31], v[18:19], v[26:29]
	ds_read_u16 v30, v167 offset:160
	ds_read_u16 v60, v141 offset:432
	;; [unrolled: 1-line block ×4, first 2 shown]
	s_waitcnt lgkmcnt(2)
	v_perm_b32 v30, v60, v30, s62
	s_waitcnt lgkmcnt(0)
	v_perm_b32 v31, v61, v31, s62
	s_nop 2
	v_cvt_f16_f32_e32 v26, v26
	v_cvt_f16_f32_e32 v27, v27
	;; [unrolled: 1-line block ×4, first 2 shown]
	v_pack_b32_f16 v197, v26, v27
	v_cvt_f32_f16_e32 v26, v199
	v_pack_b32_f16 v196, v28, v29
	v_cvt_f32_f16_sdwa v27, v199 dst_sel:DWORD dst_unused:UNUSED_PAD src0_sel:WORD_1
	v_cvt_f32_f16_e32 v28, v198
	v_cvt_f32_f16_sdwa v29, v198 dst_sel:DWORD dst_unused:UNUSED_PAD src0_sel:WORD_1
	s_nop 1
	v_mfma_f32_16x16x16f16 v[26:29], v[30:31], v[24:25], v[26:29]
	ds_read_u16 v30, v167 offset:4512
	ds_read_u16 v60, v141 offset:4784
	ds_read_u16 v31, v169 offset:544
	ds_read_u16 v61, v142 offset:4512
	s_waitcnt lgkmcnt(2)
	v_perm_b32 v30, v60, v30, s62
	s_waitcnt lgkmcnt(0)
	v_perm_b32 v31, v61, v31, s62
	s_nop 2
	v_cvt_f16_f32_e32 v26, v26
	v_cvt_f16_f32_e32 v27, v27
	v_cvt_f16_f32_e32 v28, v28
	v_cvt_f16_f32_e32 v29, v29
	v_cvt_f32_f16_e32 v26, v26
	v_cvt_f32_f16_e32 v27, v27
	v_cvt_f32_f16_e32 v28, v28
	v_cvt_f32_f16_e32 v29, v29
	s_nop 1
	v_mfma_f32_16x16x16f16 v[26:29], v[30:31], v[22:23], v[26:29]
	ds_read_u16 v30, v167 offset:8864
	ds_read_u16 v60, v141 offset:9136
	ds_read_u16 v31, v172 offset:544
	ds_read_u16 v61, v142 offset:8864
	s_waitcnt lgkmcnt(2)
	v_perm_b32 v30, v60, v30, s62
	s_waitcnt lgkmcnt(0)
	v_perm_b32 v31, v61, v31, s62
	s_nop 2
	v_cvt_f16_f32_e32 v26, v26
	v_cvt_f16_f32_e32 v27, v27
	v_cvt_f16_f32_e32 v28, v28
	v_cvt_f16_f32_e32 v29, v29
	v_cvt_f32_f16_e32 v26, v26
	v_cvt_f32_f16_e32 v27, v27
	v_cvt_f32_f16_e32 v28, v28
	v_cvt_f32_f16_e32 v29, v29
	;; [unrolled: 19-line block ×3, first 2 shown]
	s_nop 1
	v_mfma_f32_16x16x16f16 v[26:29], v[30:31], v[18:19], v[26:29]
	ds_read_u16 v30, v167 offset:192
	ds_read_u16 v60, v141 offset:464
	;; [unrolled: 1-line block ×4, first 2 shown]
	s_waitcnt lgkmcnt(2)
	v_perm_b32 v30, v60, v30, s62
	s_waitcnt lgkmcnt(0)
	v_perm_b32 v31, v61, v31, s62
	s_nop 2
	v_cvt_f16_f32_e32 v26, v26
	v_cvt_f16_f32_e32 v27, v27
	;; [unrolled: 1-line block ×4, first 2 shown]
	v_pack_b32_f16 v199, v26, v27
	v_cvt_f32_f16_e32 v26, v201
	v_pack_b32_f16 v198, v28, v29
	v_cvt_f32_f16_sdwa v27, v201 dst_sel:DWORD dst_unused:UNUSED_PAD src0_sel:WORD_1
	v_cvt_f32_f16_e32 v28, v200
	v_cvt_f32_f16_sdwa v29, v200 dst_sel:DWORD dst_unused:UNUSED_PAD src0_sel:WORD_1
	s_nop 1
	v_mfma_f32_16x16x16f16 v[26:29], v[30:31], v[24:25], v[26:29]
	ds_read_u16 v30, v167 offset:4544
	ds_read_u16 v60, v141 offset:4816
	ds_read_u16 v31, v175 offset:544
	ds_read_u16 v61, v142 offset:4544
	s_waitcnt lgkmcnt(2)
	v_perm_b32 v30, v60, v30, s62
	s_waitcnt lgkmcnt(0)
	v_perm_b32 v31, v61, v31, s62
	s_nop 2
	v_cvt_f16_f32_e32 v26, v26
	v_cvt_f16_f32_e32 v27, v27
	v_cvt_f16_f32_e32 v28, v28
	v_cvt_f16_f32_e32 v29, v29
	v_cvt_f32_f16_e32 v26, v26
	v_cvt_f32_f16_e32 v27, v27
	v_cvt_f32_f16_e32 v28, v28
	v_cvt_f32_f16_e32 v29, v29
	s_nop 1
	v_mfma_f32_16x16x16f16 v[26:29], v[30:31], v[22:23], v[26:29]
	ds_read_u16 v30, v167 offset:8896
	ds_read_u16 v60, v141 offset:9168
	ds_read_u16 v31, v176 offset:544
	ds_read_u16 v61, v142 offset:8896
	s_waitcnt lgkmcnt(2)
	v_perm_b32 v30, v60, v30, s62
	s_waitcnt lgkmcnt(0)
	v_perm_b32 v31, v61, v31, s62
	s_nop 2
	v_cvt_f16_f32_e32 v26, v26
	v_cvt_f16_f32_e32 v27, v27
	v_cvt_f16_f32_e32 v28, v28
	v_cvt_f16_f32_e32 v29, v29
	v_cvt_f32_f16_e32 v26, v26
	v_cvt_f32_f16_e32 v27, v27
	v_cvt_f32_f16_e32 v28, v28
	v_cvt_f32_f16_e32 v29, v29
	;; [unrolled: 19-line block ×3, first 2 shown]
	s_nop 1
	v_mfma_f32_16x16x16f16 v[26:29], v[30:31], v[18:19], v[26:29]
	ds_read_u16 v30, v167 offset:224
	ds_read_u16 v60, v141 offset:496
	;; [unrolled: 1-line block ×4, first 2 shown]
	s_waitcnt lgkmcnt(2)
	v_perm_b32 v30, v60, v30, s62
	s_waitcnt lgkmcnt(0)
	v_perm_b32 v31, v61, v31, s62
	s_nop 2
	v_cvt_f16_f32_e32 v26, v26
	v_cvt_f16_f32_e32 v27, v27
	;; [unrolled: 1-line block ×4, first 2 shown]
	v_pack_b32_f16 v201, v26, v27
	v_cvt_f32_f16_e32 v26, v202
	v_pack_b32_f16 v200, v28, v29
	v_cvt_f32_f16_sdwa v27, v202 dst_sel:DWORD dst_unused:UNUSED_PAD src0_sel:WORD_1
	v_cvt_f32_f16_e32 v28, v33
	v_cvt_f32_f16_sdwa v29, v33 dst_sel:DWORD dst_unused:UNUSED_PAD src0_sel:WORD_1
	s_nop 1
	v_mfma_f32_16x16x16f16 v[24:27], v[30:31], v[24:25], v[26:29]
	s_nop 6
	ds_read_u16 v28, v167 offset:4576
	ds_read_u16 v30, v141 offset:4848
	;; [unrolled: 1-line block ×4, first 2 shown]
	s_waitcnt lgkmcnt(2)
	v_perm_b32 v28, v30, v28, s62
	s_waitcnt lgkmcnt(0)
	v_perm_b32 v29, v31, v29, s62
	v_cvt_f16_f32_e32 v24, v24
	v_cvt_f16_f32_e32 v25, v25
	v_cvt_f16_f32_e32 v26, v26
	v_cvt_f16_f32_e32 v27, v27
	v_cvt_f32_f16_e32 v24, v24
	v_cvt_f32_f16_e32 v25, v25
	;; [unrolled: 1-line block ×4, first 2 shown]
	s_nop 1
	v_mfma_f32_16x16x16f16 v[22:25], v[28:29], v[22:23], v[24:27]
	s_nop 6
	ds_read_u16 v26, v167 offset:8928
	ds_read_u16 v28, v141 offset:9200
	;; [unrolled: 1-line block ×4, first 2 shown]
	s_waitcnt lgkmcnt(2)
	v_perm_b32 v26, v28, v26, s62
	s_waitcnt lgkmcnt(0)
	v_perm_b32 v27, v29, v27, s62
	v_cvt_f16_f32_e32 v22, v22
	v_cvt_f16_f32_e32 v23, v23
	;; [unrolled: 1-line block ×4, first 2 shown]
	v_cvt_f32_f16_e32 v22, v22
	v_cvt_f32_f16_e32 v23, v23
	v_cvt_f32_f16_e32 v24, v24
	v_cvt_f32_f16_e32 v25, v25
	s_nop 1
	v_mfma_f32_16x16x16f16 v[22:25], v[26:27], v[20:21], v[22:25]
	s_nop 7
	s_nop 2
	v_cvt_f16_f32_e32 v21, v22
	v_cvt_f16_f32_e32 v22, v23
	;; [unrolled: 1-line block ×4, first 2 shown]
	ds_read_u16 v20, v167 offset:13280
	ds_read_u16 v25, v141 offset:13552
	;; [unrolled: 1-line block ×4, first 2 shown]
	v_cvt_f32_f16_e32 v28, v21
	v_cvt_f32_f16_e32 v29, v22
	s_waitcnt lgkmcnt(2)
	v_perm_b32 v20, v25, v20, s62
	v_cvt_f32_f16_e32 v30, v23
	s_waitcnt lgkmcnt(0)
	v_perm_b32 v21, v27, v26, s62
	v_cvt_f32_f16_e32 v31, v24
	s_barrier
	s_nop 0
	v_mfma_f32_16x16x16f16 v[18:21], v[20:21], v[18:19], v[28:31]
	s_nop 7
	s_nop 2
	v_cvt_f16_f32_e32 v18, v18
	v_cvt_f16_f32_e32 v19, v19
	;; [unrolled: 1-line block ×4, first 2 shown]
	v_pack_b32_f16 v202, v18, v19
	v_mov_b32_e32 v18, s69
	v_addc_co_u32_e32 v1, vcc, v1, v18, vcc
	v_add_co_u32_e32 v68, vcc, s68, v68
	v_addc_co_u32_e32 v35, vcc, v35, v18, vcc
	v_add_co_u32_e32 v70, vcc, s68, v70
	;; [unrolled: 2-line block ×4, first 2 shown]
	v_mov_b32_e32 v18, s71
	v_addc_co_u32_e32 v59, vcc, v59, v18, vcc
	v_add_co_u32_e32 v76, vcc, s70, v76
	v_addc_co_u32_e32 v67, vcc, v67, v18, vcc
	v_add_co_u32_e32 v78, vcc, s70, v78
	;; [unrolled: 2-line block ×19, first 2 shown]
	v_pack_b32_f16 v203, v20, v21
	v_addc_co_u32_e32 v113, vcc, 0, v113, vcc
	s_cbranch_scc0 .LBB24_305
; %bb.303:                              ;   in Loop: Header=BB24_300 Depth=2
	v_mov_b32_e32 v204, v32
	v_mov_b32_e32 v61, v41
	v_cndmask_b32_e64 v18, 0, 1, s[76:77]
	v_cmp_ne_u32_e64 s[78:79], 1, v18
	s_andn2_b64 vcc, exec, s[76:77]
	s_cbranch_vccz .LBB24_291
	s_branch .LBB24_300
.LBB24_304:                             ;   in Loop: Header=BB24_13 Depth=1
	v_mov_b32_e32 v32, 0
	v_mov_b32_e32 v41, 0xfeffffff
	;; [unrolled: 1-line block ×17, first 2 shown]
	s_branch .LBB24_306
.LBB24_305:                             ;   in Loop: Header=BB24_13 Depth=1
	v_add_u32_e32 v204, 60, v130
	v_add_u32_e32 v205, 56, v130
	;; [unrolled: 1-line block ×4, first 2 shown]
.LBB24_306:                             ;   in Loop: Header=BB24_13 Depth=1
	s_lshl_b32 s64, s44, 6
	v_readlane_b32 s42, v253, 4
	v_cmp_eq_u64_e32 vcc, 0, v[62:63]
	s_sub_i32 s63, s42, s64
	v_cmp_ne_u64_e64 s[84:85], 0, v[62:63]
	v_readlane_b32 s43, v253, 5
	s_cbranch_vccnz .LBB24_324
; %bb.307:                              ;   in Loop: Header=BB24_13 Depth=1
	v_cmp_le_i32_e32 vcc, s63, v34
                                        ; implicit-def: $sgpr46
	s_and_saveexec_b64 s[42:43], vcc
	s_xor_b64 s[42:43], exec, s[42:43]
	s_cbranch_execz .LBB24_309
; %bb.308:                              ;   in Loop: Header=BB24_13 Depth=1
	ds_write_b16 v133, v209 offset:17408
	ds_write_b16 v210, v209 offset:17408
	s_mov_b32 s46, 0
.LBB24_309:                             ;   in Loop: Header=BB24_13 Depth=1
	s_or_saveexec_b64 s[44:45], s[42:43]
	s_lshl_b64 s[42:43], s[64:65], 1
	v_mov_b32_e32 v1, s43
	v_add_co_u32_e64 v18, s[42:43], s42, v62
	v_addc_co_u32_e64 v19, s[42:43], v63, v1, s[42:43]
	v_lshlrev_b32_e32 v1, 1, v34
	v_add_co_u32_e64 v1, s[42:43], v18, v1
	v_addc_co_u32_e64 v18, s[42:43], 0, v19, s[42:43]
	v_mov_b32_e32 v19, s46
	v_mov_b32_e32 v20, s46
	s_xor_b64 exec, exec, s[44:45]
	s_cbranch_execz .LBB24_311
; %bb.310:                              ;   in Loop: Header=BB24_13 Depth=1
	v_readlane_b32 s46, v253, 13
	v_mul_hi_u32 v19, s46, v126
	v_readlane_b32 s47, v253, 14
	v_add_u32_e32 v19, v126, v19
	v_lshrrev_b32_e32 v19, s47, v19
	v_mul_lo_u32 v19, v19, s60
	v_sub_u32_e32 v19, v126, v19
	v_mad_i64_i32 v[20:21], s[42:43], v19, s98, 0
	v_lshlrev_b64 v[20:21], 1, v[20:21]
	v_add_co_u32_e64 v20, s[42:43], v1, v20
	v_addc_co_u32_e64 v21, s[42:43], v18, v21, s[42:43]
	flat_load_ushort v19, v[20:21]
	v_mul_hi_u32 v20, s46, v184
	v_add_u32_e32 v20, v184, v20
	v_lshrrev_b32_e32 v20, s47, v20
	v_mul_lo_u32 v20, v20, s60
	v_sub_u32_e32 v20, v184, v20
	v_mad_i64_i32 v[20:21], s[42:43], v20, s98, 0
	v_lshlrev_b64 v[20:21], 1, v[20:21]
	v_add_co_u32_e64 v20, s[42:43], v1, v20
	v_addc_co_u32_e64 v21, s[42:43], v18, v21, s[42:43]
	flat_load_ushort v20, v[20:21]
	s_waitcnt vmcnt(0) lgkmcnt(0)
	ds_write_b16 v133, v19 offset:17408
	ds_write_b16 v210, v20 offset:17408
	v_mul_hi_u32 v19, s46, v188
	v_add_u32_e32 v19, v188, v19
	v_lshrrev_b32_e32 v19, s47, v19
	v_mul_lo_u32 v19, v19, s60
	v_sub_u32_e32 v19, v188, v19
	v_mad_i64_i32 v[20:21], s[42:43], v19, s98, 0
	v_lshlrev_b64 v[20:21], 1, v[20:21]
	v_add_co_u32_e64 v20, s[42:43], v1, v20
	v_addc_co_u32_e64 v21, s[42:43], v18, v21, s[42:43]
	flat_load_ushort v19, v[20:21]
	v_mul_hi_u32 v20, s46, v185
	v_add_u32_e32 v20, v185, v20
	v_lshrrev_b32_e32 v20, s47, v20
	v_mul_lo_u32 v20, v20, s60
	v_sub_u32_e32 v20, v185, v20
	v_mad_i64_i32 v[20:21], s[42:43], v20, s98, 0
	v_lshlrev_b64 v[20:21], 1, v[20:21]
	v_add_co_u32_e64 v20, s[42:43], v1, v20
	v_addc_co_u32_e64 v21, s[42:43], v18, v21, s[42:43]
	flat_load_ushort v20, v[20:21]
.LBB24_311:                             ;   in Loop: Header=BB24_13 Depth=1
	s_or_b64 exec, exec, s[44:45]
	s_waitcnt vmcnt(0) lgkmcnt(0)
	ds_write_b16 v211, v19 offset:17408
	ds_write_b16 v212, v20 offset:17408
                                        ; implicit-def: $sgpr46
	s_and_saveexec_b64 s[42:43], vcc
	s_xor_b64 s[42:43], exec, s[42:43]
	s_cbranch_execz .LBB24_313
; %bb.312:                              ;   in Loop: Header=BB24_13 Depth=1
	ds_write_b16 v213, v209 offset:17408
	ds_write_b16 v214, v209 offset:17408
	s_mov_b32 s46, 0
.LBB24_313:                             ;   in Loop: Header=BB24_13 Depth=1
	s_or_saveexec_b64 s[44:45], s[42:43]
	v_mov_b32_e32 v19, s46
	v_mov_b32_e32 v20, s46
	s_xor_b64 exec, exec, s[44:45]
	s_cbranch_execz .LBB24_315
; %bb.314:                              ;   in Loop: Header=BB24_13 Depth=1
	v_readlane_b32 s46, v253, 13
	v_mul_hi_u32 v19, s46, v189
	v_readlane_b32 s47, v253, 14
	v_add_u32_e32 v19, v189, v19
	v_lshrrev_b32_e32 v19, s47, v19
	v_mul_lo_u32 v19, v19, s60
	v_sub_u32_e32 v19, v189, v19
	v_mad_i64_i32 v[20:21], s[42:43], v19, s98, 0
	v_lshlrev_b64 v[20:21], 1, v[20:21]
	v_add_co_u32_e64 v20, s[42:43], v1, v20
	v_addc_co_u32_e64 v21, s[42:43], v18, v21, s[42:43]
	flat_load_ushort v19, v[20:21]
	v_mul_hi_u32 v20, s46, v186
	v_add_u32_e32 v20, v186, v20
	v_lshrrev_b32_e32 v20, s47, v20
	v_mul_lo_u32 v20, v20, s60
	v_sub_u32_e32 v20, v186, v20
	v_mad_i64_i32 v[20:21], s[42:43], v20, s98, 0
	v_lshlrev_b64 v[20:21], 1, v[20:21]
	v_add_co_u32_e64 v20, s[42:43], v1, v20
	v_addc_co_u32_e64 v21, s[42:43], v18, v21, s[42:43]
	flat_load_ushort v20, v[20:21]
	s_waitcnt vmcnt(0) lgkmcnt(0)
	ds_write_b16 v213, v19 offset:17408
	ds_write_b16 v214, v20 offset:17408
	v_mul_hi_u32 v19, s46, v190
	v_add_u32_e32 v19, v190, v19
	v_lshrrev_b32_e32 v19, s47, v19
	v_mul_lo_u32 v19, v19, s60
	v_sub_u32_e32 v19, v190, v19
	v_mad_i64_i32 v[20:21], s[42:43], v19, s98, 0
	v_lshlrev_b64 v[20:21], 1, v[20:21]
	v_add_co_u32_e64 v20, s[42:43], v1, v20
	v_addc_co_u32_e64 v21, s[42:43], v18, v21, s[42:43]
	flat_load_ushort v19, v[20:21]
	v_mul_hi_u32 v20, s46, v252
	v_add_u32_e32 v20, v252, v20
	v_lshrrev_b32_e32 v20, s47, v20
	v_mul_lo_u32 v20, v20, s60
	v_sub_u32_e32 v20, v252, v20
	v_mad_i64_i32 v[20:21], s[42:43], v20, s98, 0
	v_lshlrev_b64 v[20:21], 1, v[20:21]
	v_add_co_u32_e64 v20, s[42:43], v1, v20
	v_addc_co_u32_e64 v21, s[42:43], v18, v21, s[42:43]
	flat_load_ushort v20, v[20:21]
.LBB24_315:                             ;   in Loop: Header=BB24_13 Depth=1
	s_or_b64 exec, exec, s[44:45]
	s_waitcnt vmcnt(0) lgkmcnt(0)
	ds_write_b16 v215, v19 offset:17408
	ds_write_b16 v216, v20 offset:17408
                                        ; implicit-def: $sgpr46
	s_and_saveexec_b64 s[42:43], vcc
	s_xor_b64 s[42:43], exec, s[42:43]
	s_cbranch_execz .LBB24_317
; %bb.316:                              ;   in Loop: Header=BB24_13 Depth=1
	ds_write_b16 v217, v209 offset:17408
	ds_write_b16 v218, v209 offset:17408
	s_mov_b32 s46, 0
.LBB24_317:                             ;   in Loop: Header=BB24_13 Depth=1
	s_or_saveexec_b64 s[44:45], s[42:43]
	v_mov_b32_e32 v19, s46
	v_mov_b32_e32 v20, s46
	s_xor_b64 exec, exec, s[44:45]
	s_cbranch_execz .LBB24_319
; %bb.318:                              ;   in Loop: Header=BB24_13 Depth=1
	v_readlane_b32 s46, v253, 13
	v_mul_hi_u32 v19, s46, v251
	v_readlane_b32 s47, v253, 14
	v_add_u32_e32 v19, v251, v19
	v_lshrrev_b32_e32 v19, s47, v19
	v_mul_lo_u32 v19, v19, s60
	v_sub_u32_e32 v19, v251, v19
	v_mad_i64_i32 v[20:21], s[42:43], v19, s98, 0
	v_lshlrev_b64 v[20:21], 1, v[20:21]
	v_add_co_u32_e64 v20, s[42:43], v1, v20
	v_addc_co_u32_e64 v21, s[42:43], v18, v21, s[42:43]
	flat_load_ushort v19, v[20:21]
	v_mul_hi_u32 v20, s46, v250
	v_add_u32_e32 v20, v250, v20
	v_lshrrev_b32_e32 v20, s47, v20
	v_mul_lo_u32 v20, v20, s60
	v_sub_u32_e32 v20, v250, v20
	v_mad_i64_i32 v[20:21], s[42:43], v20, s98, 0
	v_lshlrev_b64 v[20:21], 1, v[20:21]
	v_add_co_u32_e64 v20, s[42:43], v1, v20
	v_addc_co_u32_e64 v21, s[42:43], v18, v21, s[42:43]
	flat_load_ushort v20, v[20:21]
	s_waitcnt vmcnt(0) lgkmcnt(0)
	ds_write_b16 v217, v19 offset:17408
	ds_write_b16 v218, v20 offset:17408
	v_mul_hi_u32 v19, s46, v81
	v_add_u32_e32 v19, v81, v19
	v_lshrrev_b32_e32 v19, s47, v19
	v_mul_lo_u32 v19, v19, s60
	v_sub_u32_e32 v19, v81, v19
	v_mad_i64_i32 v[20:21], s[42:43], v19, s98, 0
	v_lshlrev_b64 v[20:21], 1, v[20:21]
	v_add_co_u32_e64 v20, s[42:43], v1, v20
	v_addc_co_u32_e64 v21, s[42:43], v18, v21, s[42:43]
	flat_load_ushort v19, v[20:21]
	v_mul_hi_u32 v20, s46, v79
	v_add_u32_e32 v20, v79, v20
	v_lshrrev_b32_e32 v20, s47, v20
	v_mul_lo_u32 v20, v20, s60
	v_sub_u32_e32 v20, v79, v20
	v_mad_i64_i32 v[20:21], s[42:43], v20, s98, 0
	v_lshlrev_b64 v[20:21], 1, v[20:21]
	v_add_co_u32_e64 v20, s[42:43], v1, v20
	v_addc_co_u32_e64 v21, s[42:43], v18, v21, s[42:43]
	flat_load_ushort v20, v[20:21]
.LBB24_319:                             ;   in Loop: Header=BB24_13 Depth=1
	s_or_b64 exec, exec, s[44:45]
	s_waitcnt vmcnt(0) lgkmcnt(0)
	ds_write_b16 v219, v19 offset:17408
	ds_write_b16 v220, v20 offset:17408
                                        ; implicit-def: $sgpr44
	s_and_saveexec_b64 s[42:43], vcc
	s_xor_b64 s[42:43], exec, s[42:43]
	s_cbranch_execz .LBB24_321
; %bb.320:                              ;   in Loop: Header=BB24_13 Depth=1
	ds_write_b16 v221, v209 offset:17408
	ds_write_b16 v222, v209 offset:17408
	s_mov_b32 s44, 0
                                        ; implicit-def: $vgpr1
                                        ; implicit-def: $vgpr18
.LBB24_321:                             ;   in Loop: Header=BB24_13 Depth=1
	s_or_saveexec_b64 s[42:43], s[42:43]
	v_mov_b32_e32 v19, s44
	v_mov_b32_e32 v20, s44
	s_xor_b64 exec, exec, s[42:43]
	s_cbranch_execz .LBB24_323
; %bb.322:                              ;   in Loop: Header=BB24_13 Depth=1
	v_readlane_b32 s46, v253, 13
	v_mul_hi_u32 v19, s46, v77
	v_readlane_b32 s47, v253, 14
	v_add_u32_e32 v19, v77, v19
	v_lshrrev_b32_e32 v19, s47, v19
	v_mul_lo_u32 v19, v19, s60
	v_sub_u32_e32 v19, v77, v19
	v_mad_i64_i32 v[20:21], s[44:45], v19, s98, 0
	v_lshlrev_b64 v[20:21], 1, v[20:21]
	v_add_co_u32_e32 v20, vcc, v1, v20
	v_addc_co_u32_e32 v21, vcc, v18, v21, vcc
	flat_load_ushort v19, v[20:21]
	v_mul_hi_u32 v20, s46, v75
	v_add_u32_e32 v20, v75, v20
	v_lshrrev_b32_e32 v20, s47, v20
	v_mul_lo_u32 v20, v20, s60
	v_sub_u32_e32 v20, v75, v20
	v_mad_i64_i32 v[20:21], s[44:45], v20, s98, 0
	v_lshlrev_b64 v[20:21], 1, v[20:21]
	v_add_co_u32_e32 v20, vcc, v1, v20
	v_addc_co_u32_e32 v21, vcc, v18, v21, vcc
	flat_load_ushort v20, v[20:21]
	s_waitcnt vmcnt(0) lgkmcnt(0)
	ds_write_b16 v221, v19 offset:17408
	ds_write_b16 v222, v20 offset:17408
	v_mul_hi_u32 v19, s46, v73
	v_add_u32_e32 v19, v73, v19
	v_lshrrev_b32_e32 v19, s47, v19
	v_mul_lo_u32 v19, v19, s60
	v_sub_u32_e32 v19, v73, v19
	v_mad_i64_i32 v[20:21], s[44:45], v19, s98, 0
	v_lshlrev_b64 v[20:21], 1, v[20:21]
	v_add_co_u32_e32 v20, vcc, v1, v20
	v_addc_co_u32_e32 v21, vcc, v18, v21, vcc
	flat_load_ushort v19, v[20:21]
	v_mul_hi_u32 v20, s46, v249
	v_add_u32_e32 v20, v249, v20
	v_lshrrev_b32_e32 v20, s47, v20
	v_mul_lo_u32 v20, v20, s60
	v_sub_u32_e32 v20, v249, v20
	v_mad_i64_i32 v[20:21], s[44:45], v20, s98, 0
	v_lshlrev_b64 v[20:21], 1, v[20:21]
	v_add_co_u32_e32 v20, vcc, v1, v20
	v_addc_co_u32_e32 v21, vcc, v18, v21, vcc
	flat_load_ushort v20, v[20:21]
.LBB24_323:                             ;   in Loop: Header=BB24_13 Depth=1
	s_or_b64 exec, exec, s[42:43]
	s_waitcnt vmcnt(0) lgkmcnt(0)
	ds_write_b16 v223, v19 offset:17408
	ds_write_b16 v224, v20 offset:17408
.LBB24_324:                             ;   in Loop: Header=BB24_13 Depth=1
	s_mul_i32 s42, s64, s73
	s_mul_hi_u32 s43, s64, s72
	s_add_i32 s43, s43, s42
	s_mul_i32 s42, s64, s72
	s_lshl_b64 s[42:43], s[42:43], 2
	s_add_u32 s42, s50, s42
	s_addc_u32 s43, s51, s43
	v_mov_b32_e32 v1, s43
	v_add_co_u32_e32 v18, vcc, s42, v50
	v_addc_co_u32_e32 v1, vcc, v1, v51, vcc
	v_lshlrev_b32_e32 v35, 2, v38
	v_add_co_u32_e32 v18, vcc, v18, v35
	s_mov_b64 s[44:45], src_private_base
	v_addc_co_u32_e32 v1, vcc, 0, v1, vcc
	v_mov_b32_e32 v24, s45
	v_cmp_gt_i32_e64 s[76:77], s63, v134
	v_cndmask_b32_e64 v19, v24, v1, s[76:77]
	v_mov_b32_e32 v1, s66
	buffer_store_dword v209, off, s[0:3], 0
	buffer_store_dword v209, off, s[0:3], 0 offset:4
	buffer_store_dword v209, off, s[0:3], 0 offset:8
	;; [unrolled: 1-line block ×3, first 2 shown]
	v_cndmask_b32_e64 v18, v1, v18, s[76:77]
	flat_load_dwordx4 v[18:21], v[18:19]
	v_mov_b32_e32 v22, s43
	v_add_co_u32_e32 v23, vcc, s42, v52
	v_addc_co_u32_e32 v22, vcc, v22, v53, vcc
	v_add_co_u32_e32 v25, vcc, v23, v35
	v_addc_co_u32_e32 v22, vcc, 0, v22, vcc
	v_cmp_gt_i32_e64 s[78:79], s63, v225
	v_cndmask_b32_e64 v23, v24, v22, s[78:79]
	v_cndmask_b32_e64 v22, v1, v25, s[78:79]
	v_cmp_gt_i32_e64 s[80:81], s63, v227
	v_cmp_gt_i32_e64 s[82:83], s63, v229
	v_add_u32_e32 v30, 0x2000, v136
	v_add_u32_e32 v31, 0x3000, v136
	v_writelane_b32 v255, s99, 6
	s_waitcnt vmcnt(0) lgkmcnt(0)
	ds_write_b128 v135, v[18:21]
	flat_load_dwordx4 v[18:21], v[22:23]
	v_mov_b32_e32 v22, s43
	v_add_co_u32_e32 v23, vcc, s42, v54
	v_addc_co_u32_e32 v22, vcc, v22, v55, vcc
	v_add_co_u32_e32 v25, vcc, v23, v35
	v_addc_co_u32_e32 v22, vcc, 0, v22, vcc
	v_cndmask_b32_e64 v23, v24, v22, s[80:81]
	v_cndmask_b32_e64 v22, v1, v25, s[80:81]
	s_waitcnt vmcnt(0) lgkmcnt(0)
	ds_write_b128 v226, v[18:21]
	flat_load_dwordx4 v[18:21], v[22:23]
	v_mov_b32_e32 v22, s43
	v_add_co_u32_e32 v23, vcc, s42, v56
	v_addc_co_u32_e32 v22, vcc, v22, v57, vcc
	v_add_co_u32_e32 v25, vcc, v23, v35
	v_addc_co_u32_e32 v22, vcc, 0, v22, vcc
	v_cndmask_b32_e64 v23, v24, v22, s[82:83]
	v_cndmask_b32_e64 v22, v1, v25, s[82:83]
	v_add_u32_e32 v1, 0x1000, v136
	s_andn2_b64 vcc, exec, s[84:85]
	s_waitcnt vmcnt(0) lgkmcnt(0)
	ds_write_b128 v228, v[18:21]
	flat_load_dwordx4 v[18:21], v[22:23]
	s_waitcnt vmcnt(0) lgkmcnt(0)
	ds_write_b128 v230, v[18:21]
	s_waitcnt lgkmcnt(0)
	s_barrier
	ds_read2_b64 v[18:21], v136 offset1:4
	ds_read2_b64 v[26:29], v1 offset0:32 offset1:36
	ds_read2_b64 v[64:67], v30 offset0:64 offset1:68
	;; [unrolled: 1-line block ×3, first 2 shown]
	s_waitcnt lgkmcnt(3)
	v_mfma_f32_16x16x16f16 v[22:25], v[18:19], v[14:15], 0
	s_waitcnt lgkmcnt(2)
	v_mfma_f32_16x16x16f16 v[60:63], v[26:27], v[14:15], 0
	;; [unrolled: 2-line block ×4, first 2 shown]
	v_mfma_f32_16x16x16f16 v[18:21], v[20:21], v[16:17], v[22:25]
	v_mfma_f32_16x16x16f16 v[22:25], v[28:29], v[16:17], v[60:63]
	;; [unrolled: 1-line block ×3, first 2 shown]
	s_nop 5
	ds_read2_b64 v[60:63], v136 offset0:8 offset1:12
	ds_read2_b64 v[64:67], v1 offset0:40 offset1:44
	v_mfma_f32_16x16x16f16 v[14:17], v[84:85], v[16:17], v[86:89]
	ds_read2_b64 v[68:71], v30 offset0:72 offset1:76
	ds_read2_b64 v[82:85], v31 offset0:104 offset1:108
	s_waitcnt lgkmcnt(3)
	v_mfma_f32_16x16x16f16 v[18:21], v[60:61], v[10:11], v[18:21]
	s_waitcnt lgkmcnt(2)
	v_mfma_f32_16x16x16f16 v[22:25], v[64:65], v[10:11], v[22:25]
	;; [unrolled: 2-line block ×4, first 2 shown]
	v_mfma_f32_16x16x16f16 v[18:21], v[62:63], v[12:13], v[18:21]
	ds_read2_b64 v[60:63], v1 offset0:48 offset1:52
	v_mfma_f32_16x16x16f16 v[22:25], v[66:67], v[12:13], v[22:25]
	ds_read2_b64 v[64:67], v30 offset0:80 offset1:84
	;; [unrolled: 2-line block ×3, first 2 shown]
	v_mfma_f32_16x16x16f16 v[10:13], v[84:85], v[12:13], v[14:17]
	s_nop 6
	ds_read2_b64 v[14:17], v136 offset0:16 offset1:20
	s_waitcnt lgkmcnt(0)
	v_mfma_f32_16x16x16f16 v[18:21], v[14:15], v[6:7], v[18:21]
	v_mfma_f32_16x16x16f16 v[22:25], v[60:61], v[6:7], v[22:25]
	;; [unrolled: 1-line block ×6, first 2 shown]
	ds_read2_b64 v[60:63], v30 offset0:88 offset1:92
	v_mfma_f32_16x16x16f16 v[22:25], v[66:67], v[8:9], v[26:29]
	ds_read2_b64 v[64:67], v31 offset0:120 offset1:124
	v_mfma_f32_16x16x16f16 v[6:9], v[70:71], v[8:9], v[10:13]
	s_nop 4
	ds_read2_b64 v[26:29], v1 offset0:56 offset1:60
	s_nop 0
	ds_read2_b64 v[10:13], v136 offset0:24 offset1:28
	s_waitcnt lgkmcnt(0)
	v_mfma_f32_16x16x16f16 v[14:17], v[10:11], v[2:3], v[14:17]
	s_barrier
	v_mfma_f32_16x16x16f16 v[18:21], v[26:27], v[2:3], v[18:21]
	v_mfma_f32_16x16x16f16 v[22:25], v[60:61], v[2:3], v[22:25]
	;; [unrolled: 1-line block ×7, first 2 shown]
	s_cbranch_vccnz .LBB24_326
; %bb.325:                              ;   in Loop: Header=BB24_13 Depth=1
	ds_read_b32 v1, v138 offset:17408
	s_waitcnt lgkmcnt(0)
	s_nop 1
	v_cvt_f32_f16_sdwa v19, v1 dst_sel:DWORD dst_unused:UNUSED_PAD src0_sel:WORD_1
	v_cvt_f32_f16_e32 v18, v1
	ds_read_b32 v1, v163 offset:17408
	v_pk_fma_f32 v[14:15], v[40:41], v[18:19], v[14:15] op_sel_hi:[0,1,1]
	s_waitcnt lgkmcnt(0)
	v_cvt_f32_f16_sdwa v21, v1 dst_sel:DWORD dst_unused:UNUSED_PAD src0_sel:WORD_1
	v_cvt_f32_f16_e32 v20, v1
	v_add_u32_e32 v1, 0x4400, v154
	ds_read2_b32 v[18:19], v1 offset1:1
	v_add_u32_e32 v1, 0x4400, v158
	v_pk_fma_f32 v[16:17], v[40:41], v[20:21], v[16:17] op_sel_hi:[0,1,1]
	s_waitcnt lgkmcnt(0)
	v_cvt_f32_f16_e32 v20, v18
	v_cvt_f32_f16_sdwa v21, v18 dst_sel:DWORD dst_unused:UNUSED_PAD src0_sel:WORD_1
	v_cvt_f32_f16_e32 v18, v19
	v_cvt_f32_f16_sdwa v19, v19 dst_sel:DWORD dst_unused:UNUSED_PAD src0_sel:WORD_1
	v_pk_fma_f32 v[10:11], v[40:41], v[20:21], v[10:11] op_sel_hi:[0,1,1]
	v_pk_fma_f32 v[12:13], v[40:41], v[18:19], v[12:13] op_sel_hi:[0,1,1]
	ds_read2_b32 v[18:19], v1 offset1:1
	v_add_u32_e32 v1, 0x4400, v165
	s_waitcnt lgkmcnt(0)
	v_cvt_f32_f16_e32 v20, v18
	v_cvt_f32_f16_sdwa v21, v18 dst_sel:DWORD dst_unused:UNUSED_PAD src0_sel:WORD_1
	v_cvt_f32_f16_e32 v18, v19
	v_cvt_f32_f16_sdwa v19, v19 dst_sel:DWORD dst_unused:UNUSED_PAD src0_sel:WORD_1
	v_pk_fma_f32 v[6:7], v[40:41], v[20:21], v[6:7] op_sel_hi:[0,1,1]
	v_pk_fma_f32 v[8:9], v[40:41], v[18:19], v[8:9] op_sel_hi:[0,1,1]
	ds_read2_b32 v[18:19], v1 offset1:1
	s_waitcnt lgkmcnt(0)
	v_cvt_f32_f16_e32 v20, v18
	v_cvt_f32_f16_sdwa v21, v18 dst_sel:DWORD dst_unused:UNUSED_PAD src0_sel:WORD_1
	v_cvt_f32_f16_e32 v18, v19
	v_cvt_f32_f16_sdwa v19, v19 dst_sel:DWORD dst_unused:UNUSED_PAD src0_sel:WORD_1
	v_pk_fma_f32 v[2:3], v[40:41], v[20:21], v[2:3] op_sel_hi:[0,1,1]
	v_pk_fma_f32 v[4:5], v[40:41], v[18:19], v[4:5] op_sel_hi:[0,1,1]
.LBB24_326:                             ;   in Loop: Header=BB24_13 Depth=1
	s_nop 6
	v_add_f32_e32 v1, 0x40051340, v14
	v_max_f32_e32 v18, v41, v41
	v_cmp_gt_u32_e64 s[54:55], s63, v137
	v_max_f32_e32 v1, v18, v1
	v_cndmask_b32_e64 v1, v41, v1, s[54:55]
	v_add_f32_e32 v18, 0x40051340, v15
	v_max_f32_e32 v19, v1, v1
	v_cmp_gt_u32_e64 s[52:53], s63, v234
	v_max_f32_e32 v18, v19, v18
	v_cndmask_b32_e64 v1, v1, v18, s[52:53]
	;; [unrolled: 5-line block ×16, first 2 shown]
	v_and_b32_e32 v18, 64, v208
	v_add_u32_e32 v18, 64, v18
	v_xor_b32_e32 v19, 32, v208
	v_cmp_lt_i32_e32 vcc, v19, v18
	v_cndmask_b32_e32 v19, v208, v19, vcc
	v_lshlrev_b32_e32 v19, 2, v19
	ds_bpermute_b32 v20, v19, v1
	v_max_f32_e32 v1, v1, v1
	v_cndmask_b32_e64 v16, v16, v16, s[52:53]
	v_cndmask_b32_e64 v17, v17, v17, s[52:53]
	;; [unrolled: 1-line block ×3, first 2 shown]
	s_waitcnt lgkmcnt(0)
	v_max_f32_e32 v20, v20, v20
	v_max_f32_e32 v20, v1, v20
	v_xor_b32_e32 v1, 16, v208
	v_cmp_lt_i32_e32 vcc, v1, v18
	v_cndmask_b32_e32 v1, v208, v1, vcc
	v_lshlrev_b32_e32 v1, 2, v1
	ds_bpermute_b32 v18, v1, v20
	v_cndmask_b32_e64 v12, v12, v12, s[58:59]
	v_cndmask_b32_e64 v13, v13, v13, s[58:59]
	;; [unrolled: 1-line block ×4, first 2 shown]
	s_waitcnt lgkmcnt(0)
	v_max_f32_e32 v18, v18, v18
	v_max_f32_e32 v18, v20, v18
	v_sub_f32_e32 v14, v14, v18
	v_mul_f32_e32 v20, 0x3fb8aa3b, v14
	v_fma_f32 v21, v14, s74, -v20
	v_rndne_f32_e32 v22, v20
	v_fmac_f32_e32 v21, 0x32a5705f, v14
	v_sub_f32_e32 v20, v20, v22
	v_add_f32_e32 v20, v20, v21
	v_exp_f32_e32 v20, v20
	v_cvt_i32_f32_e32 v21, v22
	v_cmp_ngt_f32_e32 vcc, s75, v14
	v_sub_f32_e32 v15, v15, v18
	v_sub_f32_e32 v16, v16, v18
	v_ldexp_f32 v20, v20, v21
	v_cndmask_b32_e32 v20, 0, v20, vcc
	v_cmp_nlt_f32_e32 vcc, s61, v14
	v_cndmask_b32_e32 v14, v247, v20, vcc
	v_mul_f32_e32 v20, 0x3fb8aa3b, v15
	v_fma_f32 v21, v15, s74, -v20
	v_rndne_f32_e32 v22, v20
	v_fmac_f32_e32 v21, 0x32a5705f, v15
	v_sub_f32_e32 v20, v20, v22
	v_add_f32_e32 v20, v20, v21
	v_exp_f32_e32 v20, v20
	v_cvt_i32_f32_e32 v21, v22
	v_cmp_ngt_f32_e32 vcc, s75, v15
	v_cndmask_b32_e64 v14, 0, v14, s[54:55]
	v_sub_f32_e32 v10, v10, v18
	v_ldexp_f32 v20, v20, v21
	v_cndmask_b32_e32 v20, 0, v20, vcc
	v_cmp_nlt_f32_e32 vcc, s61, v15
	v_cndmask_b32_e32 v20, v247, v20, vcc
	v_mov_b32_e32 v15, s65
	v_add_f32_e32 v21, v20, v14
	v_cndmask_b32_e64 v37, v15, v20, s[52:53]
	v_mul_f32_e32 v20, 0x3fb8aa3b, v16
	v_cndmask_b32_e64 v15, v14, v21, s[52:53]
	v_fma_f32 v21, v16, s74, -v20
	v_rndne_f32_e32 v22, v20
	v_fmac_f32_e32 v21, 0x32a5705f, v16
	v_sub_f32_e32 v20, v20, v22
	v_add_f32_e32 v20, v20, v21
	v_exp_f32_e32 v20, v20
	v_cvt_i32_f32_e32 v21, v22
	v_cmp_ngt_f32_e32 vcc, s75, v16
	v_sub_f32_e32 v11, v11, v18
	v_sub_f32_e32 v6, v6, v18
	v_ldexp_f32 v20, v20, v21
	v_cndmask_b32_e32 v20, 0, v20, vcc
	v_cmp_nlt_f32_e32 vcc, s61, v16
	v_cndmask_b32_e32 v20, v247, v20, vcc
	v_add_f32_e32 v21, v15, v20
	v_mov_b32_e32 v16, s65
	v_cndmask_b32_e64 v39, v16, v20, s[50:51]
	v_cndmask_b32_e64 v16, v15, v21, s[50:51]
	v_sub_f32_e32 v15, v17, v18
	v_mul_f32_e32 v17, 0x3fb8aa3b, v15
	v_fma_f32 v20, v15, s74, -v17
	v_rndne_f32_e32 v21, v17
	v_fmac_f32_e32 v20, 0x32a5705f, v15
	v_sub_f32_e32 v17, v17, v21
	v_add_f32_e32 v17, v17, v20
	v_exp_f32_e32 v17, v17
	v_cvt_i32_f32_e32 v20, v21
	v_cmp_ngt_f32_e32 vcc, s75, v15
	v_sub_f32_e32 v7, v7, v18
	v_cndmask_b32_e64 v9, v9, v9, s[96:97]
	v_ldexp_f32 v17, v17, v20
	v_cndmask_b32_e32 v17, 0, v17, vcc
	v_cmp_nlt_f32_e32 vcc, s61, v15
	v_cndmask_b32_e32 v17, v247, v17, vcc
	v_mov_b32_e32 v15, s65
	v_add_f32_e32 v20, v16, v17
	v_cndmask_b32_e64 v15, v15, v17, s[48:49]
	v_mul_f32_e32 v17, 0x3fb8aa3b, v10
	v_cndmask_b32_e64 v16, v16, v20, s[48:49]
	v_fma_f32 v20, v10, s74, -v17
	v_rndne_f32_e32 v21, v17
	v_fmac_f32_e32 v20, 0x32a5705f, v10
	v_sub_f32_e32 v17, v17, v21
	v_add_f32_e32 v17, v17, v20
	v_exp_f32_e32 v17, v17
	v_cvt_i32_f32_e32 v20, v21
	v_cmp_ngt_f32_e32 vcc, s75, v10
	v_sub_f32_e32 v2, v2, v18
	v_cndmask_b32_e64 v3, v3, v3, s[88:89]
	v_ldexp_f32 v17, v17, v20
	v_cndmask_b32_e32 v17, 0, v17, vcc
	v_cmp_nlt_f32_e32 vcc, s61, v10
	v_cndmask_b32_e32 v17, v247, v17, vcc
	v_add_f32_e32 v20, v17, v16
	v_mov_b32_e32 v10, s65
	v_cndmask_b32_e64 v40, v10, v17, s[58:59]
	v_cndmask_b32_e64 v10, v16, v20, s[58:59]
	v_mul_f32_e32 v16, 0x3fb8aa3b, v11
	v_fma_f32 v17, v11, s74, -v16
	v_rndne_f32_e32 v20, v16
	v_fmac_f32_e32 v17, 0x32a5705f, v11
	v_sub_f32_e32 v16, v16, v20
	v_add_f32_e32 v16, v16, v17
	v_exp_f32_e32 v16, v16
	v_cvt_i32_f32_e32 v17, v20
	v_cmp_ngt_f32_e32 vcc, s75, v11
	v_sub_f32_e32 v3, v3, v18
	v_cndmask_b32_e64 v4, v4, v4, s[88:89]
	v_ldexp_f32 v16, v16, v17
	v_cndmask_b32_e32 v16, 0, v16, vcc
	v_cmp_nlt_f32_e32 vcc, s61, v11
	v_cndmask_b32_e32 v16, v247, v16, vcc
	v_add_f32_e32 v17, v16, v10
	v_mov_b32_e32 v11, s65
	v_cndmask_b32_e64 v59, v11, v16, s[46:47]
	v_cndmask_b32_e64 v11, v10, v17, s[46:47]
	v_sub_f32_e32 v10, v12, v18
	v_mul_f32_e32 v12, 0x3fb8aa3b, v10
	v_fma_f32 v16, v10, s74, -v12
	v_rndne_f32_e32 v17, v12
	v_fmac_f32_e32 v16, 0x32a5705f, v10
	v_sub_f32_e32 v12, v12, v17
	v_add_f32_e32 v12, v12, v16
	v_exp_f32_e32 v12, v12
	v_cvt_i32_f32_e32 v16, v17
	v_cmp_ngt_f32_e32 vcc, s75, v10
	v_cndmask_b32_e64 v5, v5, v5, s[88:89]
	s_mov_b32 s46, 0xc1a00000
	v_ldexp_f32 v12, v12, v16
	v_cndmask_b32_e32 v12, 0, v12, vcc
	v_cmp_nlt_f32_e32 vcc, s61, v10
	v_cndmask_b32_e32 v12, v247, v12, vcc
	v_add_f32_e32 v16, v12, v11
	v_mov_b32_e32 v10, s65
	v_cndmask_b32_e64 v10, v10, v12, s[42:43]
	v_cndmask_b32_e64 v12, v11, v16, s[42:43]
	v_sub_f32_e32 v11, v13, v18
	v_mul_f32_e32 v13, 0x3fb8aa3b, v11
	v_fma_f32 v16, v11, s74, -v13
	v_rndne_f32_e32 v17, v13
	v_fmac_f32_e32 v16, 0x32a5705f, v11
	v_sub_f32_e32 v13, v13, v17
	v_add_f32_e32 v13, v13, v16
	v_exp_f32_e32 v13, v13
	v_cvt_i32_f32_e32 v16, v17
	v_cmp_ngt_f32_e32 vcc, s75, v11
	buffer_store_dword v209, off, s[0:3], 0
	buffer_store_dword v209, off, s[0:3], 0 offset:4
	buffer_store_dword v209, off, s[0:3], 0 offset:8
	;; [unrolled: 1-line block ×3, first 2 shown]
	v_ldexp_f32 v13, v13, v16
	v_cndmask_b32_e32 v13, 0, v13, vcc
	v_cmp_nlt_f32_e32 vcc, s61, v11
	v_cndmask_b32_e32 v13, v247, v13, vcc
	v_mov_b32_e32 v11, s65
	v_add_f32_e32 v16, v13, v12
	v_cndmask_b32_e64 v11, v11, v13, s[98:99]
	v_mul_f32_e32 v13, 0x3fb8aa3b, v6
	v_cndmask_b32_e64 v12, v12, v16, s[98:99]
	v_fma_f32 v16, v6, s74, -v13
	v_rndne_f32_e32 v17, v13
	v_fmac_f32_e32 v16, 0x32a5705f, v6
	v_sub_f32_e32 v13, v13, v17
	v_add_f32_e32 v13, v13, v16
	v_exp_f32_e32 v13, v13
	v_cvt_i32_f32_e32 v16, v17
	v_cmp_ngt_f32_e32 vcc, s75, v6
	v_ldexp_f32 v13, v13, v16
	v_cndmask_b32_e32 v13, 0, v13, vcc
	v_cmp_nlt_f32_e32 vcc, s61, v6
	v_cndmask_b32_e32 v13, v247, v13, vcc
	v_add_f32_e32 v16, v13, v12
	v_mov_b32_e32 v6, s65
	v_cndmask_b32_e64 v13, v6, v13, s[96:97]
	v_cndmask_b32_e64 v6, v12, v16, s[96:97]
	v_mul_f32_e32 v12, 0x3fb8aa3b, v7
	v_fma_f32 v16, v7, s74, -v12
	v_rndne_f32_e32 v17, v12
	v_fmac_f32_e32 v16, 0x32a5705f, v7
	v_sub_f32_e32 v12, v12, v17
	v_add_f32_e32 v12, v12, v16
	v_exp_f32_e32 v12, v12
	v_cvt_i32_f32_e32 v16, v17
	v_cmp_ngt_f32_e32 vcc, s75, v7
	v_readlane_b32 s96, v254, 14
	v_readlane_b32 s97, v254, 15
	v_ldexp_f32 v12, v12, v16
	v_cndmask_b32_e32 v12, 0, v12, vcc
	v_cmp_nlt_f32_e32 vcc, s61, v7
	v_cndmask_b32_e32 v12, v247, v12, vcc
	v_add_f32_e32 v16, v12, v6
	v_mov_b32_e32 v7, s65
	v_cndmask_b32_e64 v12, v7, v12, s[94:95]
	v_cndmask_b32_e64 v7, v6, v16, s[94:95]
	v_sub_f32_e32 v6, v8, v18
	v_mul_f32_e32 v8, 0x3fb8aa3b, v6
	v_fma_f32 v16, v6, s74, -v8
	v_rndne_f32_e32 v17, v8
	v_fmac_f32_e32 v16, 0x32a5705f, v6
	v_sub_f32_e32 v8, v8, v17
	v_add_f32_e32 v8, v8, v16
	v_exp_f32_e32 v8, v8
	v_cvt_i32_f32_e32 v16, v17
	v_cmp_ngt_f32_e32 vcc, s75, v6
	s_mul_i32 s42, s64, s97
	s_mul_hi_u32 s43, s64, s96
	v_ldexp_f32 v8, v8, v16
	v_cndmask_b32_e32 v8, 0, v8, vcc
	v_cmp_nlt_f32_e32 vcc, s61, v6
	v_cndmask_b32_e32 v8, v247, v8, vcc
	v_add_f32_e32 v16, v8, v7
	v_mov_b32_e32 v6, s65
	v_cndmask_b32_e64 v60, v6, v8, s[92:93]
	v_cndmask_b32_e64 v6, v7, v16, s[92:93]
	v_sub_f32_e32 v7, v9, v18
	v_mul_f32_e32 v8, 0x3fb8aa3b, v7
	v_fma_f32 v9, v7, s74, -v8
	v_rndne_f32_e32 v16, v8
	v_fmac_f32_e32 v9, 0x32a5705f, v7
	v_sub_f32_e32 v8, v8, v16
	v_add_f32_e32 v8, v8, v9
	v_exp_f32_e32 v8, v8
	v_cvt_i32_f32_e32 v9, v16
	v_cmp_ngt_f32_e32 vcc, s75, v7
	s_add_i32 s43, s43, s42
	s_mul_i32 s42, s64, s96
	v_ldexp_f32 v8, v8, v9
	v_cndmask_b32_e32 v8, 0, v8, vcc
	v_cmp_nlt_f32_e32 vcc, s61, v7
	v_cndmask_b32_e32 v8, v247, v8, vcc
	v_mov_b32_e32 v7, s65
	v_add_f32_e32 v9, v8, v6
	v_cndmask_b32_e64 v61, v7, v8, s[90:91]
	v_mul_f32_e32 v7, 0x3fb8aa3b, v2
	v_cndmask_b32_e64 v6, v6, v9, s[90:91]
	v_fma_f32 v8, v2, s74, -v7
	v_rndne_f32_e32 v9, v7
	v_fmac_f32_e32 v8, 0x32a5705f, v2
	v_sub_f32_e32 v7, v7, v9
	v_add_f32_e32 v7, v7, v8
	v_exp_f32_e32 v7, v7
	v_cvt_i32_f32_e32 v8, v9
	v_cmp_ngt_f32_e32 vcc, s75, v2
	s_lshl_b64 s[42:43], s[42:43], 2
	v_ldexp_f32 v7, v7, v8
	v_cndmask_b32_e32 v7, 0, v7, vcc
	v_cmp_nlt_f32_e32 vcc, s61, v2
	v_cndmask_b32_e32 v7, v247, v7, vcc
	v_add_f32_e32 v8, v7, v6
	v_mov_b32_e32 v2, s65
	v_cndmask_b32_e64 v62, v2, v7, s[88:89]
	v_cndmask_b32_e64 v2, v6, v8, s[88:89]
	v_mul_f32_e32 v6, 0x3fb8aa3b, v3
	v_fma_f32 v7, v3, s74, -v6
	v_rndne_f32_e32 v8, v6
	v_fmac_f32_e32 v7, 0x32a5705f, v3
	v_sub_f32_e32 v6, v6, v8
	v_add_f32_e32 v6, v6, v7
	v_exp_f32_e32 v6, v6
	v_cvt_i32_f32_e32 v7, v8
	v_cmp_ngt_f32_e32 vcc, s75, v3
	v_ldexp_f32 v6, v6, v7
	v_cndmask_b32_e32 v6, 0, v6, vcc
	v_cmp_nlt_f32_e32 vcc, s61, v3
	v_cndmask_b32_e32 v6, v247, v6, vcc
	v_add_f32_e32 v7, v6, v2
	v_mov_b32_e32 v3, s65
	v_cndmask_b32_e64 v63, v3, v6, s[86:87]
	v_cndmask_b32_e64 v3, v2, v7, s[86:87]
	v_sub_f32_e32 v2, v4, v18
	v_mul_f32_e32 v4, 0x3fb8aa3b, v2
	v_fma_f32 v6, v2, s74, -v4
	v_rndne_f32_e32 v7, v4
	v_fmac_f32_e32 v6, 0x32a5705f, v2
	v_sub_f32_e32 v4, v4, v7
	v_add_f32_e32 v4, v4, v6
	v_exp_f32_e32 v4, v4
	v_cvt_i32_f32_e32 v6, v7
	v_cmp_ngt_f32_e32 vcc, s75, v2
	v_ldexp_f32 v4, v4, v6
	v_cndmask_b32_e32 v4, 0, v4, vcc
	v_cmp_nlt_f32_e32 vcc, s61, v2
	v_cndmask_b32_e32 v4, v247, v4, vcc
	v_add_f32_e32 v6, v4, v3
	v_mov_b32_e32 v2, s65
	v_cndmask_b32_e64 v64, v2, v4, s[84:85]
	v_cndmask_b32_e64 v2, v3, v6, s[84:85]
	v_sub_f32_e32 v3, v5, v18
	v_mul_f32_e32 v4, 0x3fb8aa3b, v3
	v_fma_f32 v5, v3, s74, -v4
	v_rndne_f32_e32 v6, v4
	v_fmac_f32_e32 v5, 0x32a5705f, v3
	v_sub_f32_e32 v4, v4, v6
	v_add_f32_e32 v4, v4, v5
	v_exp_f32_e32 v4, v4
	v_cvt_i32_f32_e32 v5, v6
	v_cmp_ngt_f32_e32 vcc, s75, v3
	v_ldexp_f32 v4, v4, v5
	v_cndmask_b32_e32 v4, 0, v4, vcc
	v_cmp_nlt_f32_e32 vcc, s61, v3
	v_cndmask_b32_e32 v4, v247, v4, vcc
	v_add_f32_e32 v5, v4, v2
	v_mov_b32_e32 v3, s65
	v_cndmask_b32_e64 v26, v2, v5, s[44:45]
	v_sub_f32_e32 v2, v41, v18
	v_cndmask_b32_e64 v3, v3, v4, s[44:45]
	v_mul_f32_e32 v4, 0x3fb8aa3b, v2
	v_fma_f32 v5, v2, s74, -v4
	v_rndne_f32_e32 v6, v4
	v_fmac_f32_e32 v5, 0x32a5705f, v2
	v_sub_f32_e32 v4, v4, v6
	v_add_f32_e32 v4, v4, v5
	v_exp_f32_e32 v4, v4
	v_cvt_i32_f32_e32 v5, v6
	v_cmp_ngt_f32_e32 vcc, s75, v2
	v_cvt_f16_f32_e32 v3, v3
	v_readlane_b32 s44, v254, 24
	v_ldexp_f32 v4, v4, v5
	v_cndmask_b32_e32 v4, 0, v4, vcc
	v_cmp_nlt_f32_e32 vcc, s61, v2
	v_cndmask_b32_e32 v4, v247, v4, vcc
	v_cmp_le_f32_e32 vcc, s46, v2
	v_cndmask_b32_e32 v2, 0, v4, vcc
	v_fmac_f32_e32 v26, v32, v2
	v_cvt_f16_f32_e32 v2, v2
	v_cvt_f16_f32_e32 v4, v37
	;; [unrolled: 1-line block ×3, first 2 shown]
	s_add_u32 s42, s44, s42
	v_pk_mul_f16 v33, v2, v245 op_sel_hi:[0,1]
	v_pk_mul_f16 v32, v2, v0 op_sel_hi:[0,1]
	;; [unrolled: 1-line block ×16, first 2 shown]
	v_cvt_f16_f32_e32 v2, v14
	v_readlane_b32 s44, v254, 26
	s_addc_u32 s43, s44, s43
	s_mov_b64 s[44:45], src_private_base
	v_pack_b32_f16 v8, v2, v4
	v_cvt_f16_f32_e32 v2, v39
	v_cvt_f16_f32_e32 v4, v15
	v_mov_b32_e32 v37, s45
	v_mov_b32_e32 v39, s66
	v_pack_b32_f16 v9, v2, v4
	v_cvt_f16_f32_e32 v2, v40
	v_cvt_f16_f32_e32 v4, v59
	v_pack_b32_f16 v6, v2, v4
	v_cvt_f16_f32_e32 v2, v10
	v_cvt_f16_f32_e32 v4, v11
	;; [unrolled: 1-line block ×3, first 2 shown]
	v_mov_b32_e32 v11, s43
	v_pack_b32_f16 v7, v2, v4
	v_cvt_f16_f32_e32 v2, v13
	v_cvt_f16_f32_e32 v4, v12
	v_pack_b32_f16 v4, v2, v4
	v_cvt_f16_f32_e32 v2, v60
	v_pack_b32_f16 v5, v2, v5
	;; [unrolled: 2-line block ×4, first 2 shown]
	v_add_co_u32_e32 v10, vcc, s42, v42
	v_addc_co_u32_e32 v11, vcc, v11, v43, vcc
	v_add_co_u32_e32 v10, vcc, v10, v35
	v_addc_co_u32_e32 v11, vcc, 0, v11, vcc
	v_cndmask_b32_e64 v41, v37, v11, s[76:77]
	v_cndmask_b32_e64 v40, v39, v10, s[76:77]
	flat_load_dwordx4 v[60:63], v[40:41]
	v_add_co_u32_e32 v10, vcc, s42, v44
	v_mov_b32_e32 v11, s43
	v_addc_co_u32_e32 v11, vcc, v11, v45, vcc
	v_add_co_u32_e32 v10, vcc, v10, v35
	v_addc_co_u32_e32 v11, vcc, 0, v11, vcc
	v_cndmask_b32_e64 v15, v37, v11, s[78:79]
	v_cndmask_b32_e64 v14, v39, v10, s[78:79]
	v_add_co_u32_e32 v10, vcc, s42, v46
	v_mov_b32_e32 v11, s43
	v_addc_co_u32_e32 v11, vcc, v11, v47, vcc
	v_add_co_u32_e32 v10, vcc, v10, v35
	v_addc_co_u32_e32 v11, vcc, 0, v11, vcc
	v_cndmask_b32_e64 v13, v37, v11, s[80:81]
	v_cndmask_b32_e64 v12, v39, v10, s[80:81]
	;; [unrolled: 7-line block ×3, first 2 shown]
	v_readlane_b32 s42, v254, 27
	v_readlane_b32 s43, v254, 28
	s_cmp_lg_u64 s[42:43], 0
	s_waitcnt vmcnt(0) lgkmcnt(0)
	ds_write_b128 v135, v[60:63]
	flat_load_dwordx4 v[60:63], v[14:15]
	s_waitcnt vmcnt(0) lgkmcnt(0)
	ds_write_b128 v226, v[60:63]
	flat_load_dwordx4 v[12:15], v[12:13]
	;; [unrolled: 3-line block ×3, first 2 shown]
	s_waitcnt vmcnt(0) lgkmcnt(0)
	ds_write_b128 v230, v[10:13]
	s_waitcnt lgkmcnt(0)
	s_barrier
	ds_read_u16 v14, v141 offset:544
	v_cvt_f32_f16_e32 v12, v32
	v_cvt_f32_f16_sdwa v13, v32 dst_sel:DWORD dst_unused:UNUSED_PAD src0_sel:WORD_1
	ds_read_u16 v15, v142
	ds_read_u16 v32, v142 offset:32
	v_cvt_f32_f16_e32 v10, v33
	v_cvt_f32_f16_sdwa v11, v33 dst_sel:DWORD dst_unused:UNUSED_PAD src0_sel:WORD_1
	s_waitcnt lgkmcnt(1)
	v_perm_b32 v15, v15, v14, s62
	ds_read_u16 v14, v167
	ds_read_u16 v33, v167 offset:32
	ds_read_u16 v35, v141 offset:272
	ds_read_u16 v37, v141 offset:304
	s_waitcnt lgkmcnt(1)
	v_perm_b32 v14, v35, v14, s62
	s_nop 1
	v_mfma_f32_16x16x16f16 v[10:13], v[14:15], v[8:9], v[10:13]
	ds_read_u16 v14, v167 offset:4352
	ds_read_u16 v35, v141 offset:4624
	;; [unrolled: 1-line block ×4, first 2 shown]
	s_waitcnt lgkmcnt(2)
	v_perm_b32 v14, v35, v14, s62
	s_waitcnt lgkmcnt(0)
	v_perm_b32 v15, v39, v15, s62
	s_nop 2
	v_cvt_f16_f32_e32 v10, v10
	v_cvt_f16_f32_e32 v11, v11
	;; [unrolled: 1-line block ×4, first 2 shown]
	v_cvt_f32_f16_e32 v10, v10
	v_cvt_f32_f16_e32 v11, v11
	;; [unrolled: 1-line block ×4, first 2 shown]
	s_nop 1
	v_mfma_f32_16x16x16f16 v[10:13], v[14:15], v[6:7], v[10:13]
	ds_read_u16 v14, v167 offset:8704
	ds_read_u16 v35, v141 offset:8976
	;; [unrolled: 1-line block ×4, first 2 shown]
	s_waitcnt lgkmcnt(2)
	v_perm_b32 v14, v35, v14, s62
	s_waitcnt lgkmcnt(0)
	v_perm_b32 v15, v39, v15, s62
	s_nop 2
	v_cvt_f16_f32_e32 v10, v10
	v_cvt_f16_f32_e32 v11, v11
	;; [unrolled: 1-line block ×4, first 2 shown]
	v_cvt_f32_f16_e32 v10, v10
	v_cvt_f32_f16_e32 v11, v11
	;; [unrolled: 1-line block ×4, first 2 shown]
	s_nop 1
	v_mfma_f32_16x16x16f16 v[10:13], v[14:15], v[4:5], v[10:13]
	ds_read_u16 v14, v167 offset:13056
	ds_read_u16 v35, v141 offset:13328
	;; [unrolled: 1-line block ×4, first 2 shown]
	s_waitcnt lgkmcnt(2)
	v_perm_b32 v14, v35, v14, s62
	ds_read_u16 v35, v170 offset:544
	s_waitcnt lgkmcnt(1)
	v_perm_b32 v15, v39, v15, s62
	s_nop 1
	v_cvt_f16_f32_e32 v10, v10
	v_cvt_f16_f32_e32 v11, v11
	;; [unrolled: 1-line block ×4, first 2 shown]
	v_cvt_f32_f16_e32 v10, v10
	v_cvt_f32_f16_e32 v11, v11
	;; [unrolled: 1-line block ×4, first 2 shown]
	s_nop 1
	v_mfma_f32_16x16x16f16 v[10:13], v[14:15], v[2:3], v[10:13]
	v_cvt_f32_f16_e32 v14, v30
	v_cvt_f32_f16_sdwa v15, v30 dst_sel:DWORD dst_unused:UNUSED_PAD src0_sel:WORD_1
	v_perm_b32 v30, v37, v33, s62
	s_nop 7
	v_cvt_f16_f32_e32 v10, v10
	v_cvt_f16_f32_e32 v11, v11
	v_cvt_f16_f32_e32 v12, v12
	v_cvt_f16_f32_e32 v13, v13
	v_pack_b32_f16 v10, v10, v11
	v_pack_b32_f16 v11, v12, v13
	v_cvt_f32_f16_e32 v12, v31
	v_cvt_f32_f16_sdwa v13, v31 dst_sel:DWORD dst_unused:UNUSED_PAD src0_sel:WORD_1
	s_waitcnt lgkmcnt(0)
	v_perm_b32 v31, v32, v35, s62
	s_nop 1
	v_mfma_f32_16x16x16f16 v[12:15], v[30:31], v[8:9], v[12:15]
	ds_read_u16 v30, v167 offset:4384
	ds_read_u16 v32, v141 offset:4656
	;; [unrolled: 1-line block ×4, first 2 shown]
	s_waitcnt lgkmcnt(2)
	v_perm_b32 v30, v32, v30, s62
	s_waitcnt lgkmcnt(0)
	v_perm_b32 v31, v33, v31, s62
	s_nop 2
	v_cvt_f16_f32_e32 v12, v12
	v_cvt_f16_f32_e32 v13, v13
	;; [unrolled: 1-line block ×4, first 2 shown]
	v_cvt_f32_f16_e32 v12, v12
	v_cvt_f32_f16_e32 v13, v13
	;; [unrolled: 1-line block ×4, first 2 shown]
	s_nop 1
	v_mfma_f32_16x16x16f16 v[12:15], v[30:31], v[6:7], v[12:15]
	ds_read_u16 v30, v167 offset:8736
	ds_read_u16 v32, v141 offset:9008
	ds_read_u16 v31, v147 offset:544
	ds_read_u16 v33, v142 offset:8736
	s_waitcnt lgkmcnt(2)
	v_perm_b32 v30, v32, v30, s62
	s_waitcnt lgkmcnt(0)
	v_perm_b32 v31, v33, v31, s62
	s_nop 2
	v_cvt_f16_f32_e32 v12, v12
	v_cvt_f16_f32_e32 v13, v13
	;; [unrolled: 1-line block ×4, first 2 shown]
	v_cvt_f32_f16_e32 v12, v12
	v_cvt_f32_f16_e32 v13, v13
	;; [unrolled: 1-line block ×4, first 2 shown]
	s_nop 1
	v_mfma_f32_16x16x16f16 v[12:15], v[30:31], v[4:5], v[12:15]
	ds_read_u16 v30, v167 offset:13088
	ds_read_u16 v32, v141 offset:13360
	;; [unrolled: 1-line block ×4, first 2 shown]
	s_waitcnt lgkmcnt(2)
	v_perm_b32 v30, v32, v30, s62
	v_cvt_f32_f16_e32 v32, v28
	s_waitcnt lgkmcnt(0)
	v_perm_b32 v31, v33, v31, s62
	v_cvt_f32_f16_sdwa v33, v28 dst_sel:DWORD dst_unused:UNUSED_PAD src0_sel:WORD_1
	s_nop 0
	v_cvt_f16_f32_e32 v12, v12
	v_cvt_f16_f32_e32 v13, v13
	;; [unrolled: 1-line block ×4, first 2 shown]
	v_cvt_f32_f16_e32 v12, v12
	v_cvt_f32_f16_e32 v13, v13
	;; [unrolled: 1-line block ×4, first 2 shown]
	s_nop 1
	v_mfma_f32_16x16x16f16 v[12:15], v[30:31], v[2:3], v[12:15]
	v_cvt_f32_f16_e32 v30, v29
	v_cvt_f32_f16_sdwa v31, v29 dst_sel:DWORD dst_unused:UNUSED_PAD src0_sel:WORD_1
	s_nop 7
	s_nop 0
	v_cvt_f16_f32_e32 v12, v12
	v_cvt_f16_f32_e32 v13, v13
	;; [unrolled: 1-line block ×4, first 2 shown]
	v_pack_b32_f16 v12, v12, v13
	v_pack_b32_f16 v13, v14, v15
	ds_read_u16 v14, v167 offset:64
	ds_read_u16 v35, v141 offset:336
	;; [unrolled: 1-line block ×4, first 2 shown]
	s_waitcnt lgkmcnt(2)
	v_perm_b32 v14, v35, v14, s62
	s_waitcnt lgkmcnt(0)
	v_perm_b32 v15, v37, v15, s62
	s_nop 1
	v_mfma_f32_16x16x16f16 v[28:31], v[14:15], v[8:9], v[30:33]
	s_nop 6
	ds_read_u16 v32, v167 offset:4416
	ds_read_u16 v33, v141 offset:4688
	;; [unrolled: 1-line block ×4, first 2 shown]
	v_cvt_f16_f32_e32 v14, v28
	v_cvt_f16_f32_e32 v15, v29
	v_cvt_f16_f32_e32 v30, v30
	v_cvt_f16_f32_e32 v31, v31
	v_cvt_f32_f16_e32 v28, v14
	v_cvt_f32_f16_e32 v29, v15
	s_waitcnt lgkmcnt(0)
	v_perm_b32 v15, v37, v35, s62
	v_perm_b32 v14, v33, v32, s62
	v_cvt_f32_f16_e32 v30, v30
	v_cvt_f32_f16_e32 v31, v31
	ds_read_u16 v32, v167 offset:8768
	ds_read_u16 v33, v141 offset:9040
	ds_read_u16 v35, v150 offset:544
	ds_read_u16 v37, v142 offset:8768
	v_mfma_f32_16x16x16f16 v[28:31], v[14:15], v[6:7], v[28:31]
	s_nop 7
	s_nop 2
	v_cvt_f16_f32_e32 v14, v28
	v_cvt_f16_f32_e32 v15, v29
	v_cvt_f16_f32_e32 v30, v30
	v_cvt_f16_f32_e32 v31, v31
	v_cvt_f32_f16_e32 v28, v14
	v_cvt_f32_f16_e32 v29, v15
	s_waitcnt lgkmcnt(0)
	v_perm_b32 v15, v37, v35, s62
	v_perm_b32 v14, v33, v32, s62
	v_cvt_f32_f16_e32 v30, v30
	v_cvt_f32_f16_e32 v31, v31
	ds_read_u16 v32, v167 offset:13120
	ds_read_u16 v33, v141 offset:13392
	ds_read_u16 v35, v151 offset:544
	ds_read_u16 v37, v142 offset:13120
	v_mfma_f32_16x16x16f16 v[28:31], v[14:15], v[4:5], v[28:31]
	s_nop 7
	s_nop 2
	;; [unrolled: 18-line block ×3, first 2 shown]
	v_cvt_f16_f32_e32 v14, v28
	v_cvt_f16_f32_e32 v15, v29
	;; [unrolled: 1-line block ×4, first 2 shown]
	v_cvt_f32_f16_e32 v30, v16
	v_pack_b32_f16 v14, v14, v15
	v_cvt_f32_f16_sdwa v31, v16 dst_sel:DWORD dst_unused:UNUSED_PAD src0_sel:WORD_1
	v_pack_b32_f16 v15, v28, v29
	v_cvt_f32_f16_e32 v28, v17
	v_cvt_f32_f16_sdwa v29, v17 dst_sel:DWORD dst_unused:UNUSED_PAD src0_sel:WORD_1
	s_waitcnt lgkmcnt(0)
	v_perm_b32 v17, v37, v35, s62
	v_perm_b32 v16, v33, v32, s62
	ds_read_u16 v32, v167 offset:4448
	ds_read_u16 v33, v141 offset:4720
	ds_read_u16 v35, v153 offset:544
	ds_read_u16 v37, v142 offset:4448
	v_mfma_f32_16x16x16f16 v[28:31], v[16:17], v[8:9], v[28:31]
	s_nop 7
	s_nop 2
	v_cvt_f16_f32_e32 v16, v28
	v_cvt_f16_f32_e32 v17, v29
	v_cvt_f16_f32_e32 v30, v30
	v_cvt_f16_f32_e32 v31, v31
	v_cvt_f32_f16_e32 v28, v16
	v_cvt_f32_f16_e32 v29, v17
	s_waitcnt lgkmcnt(0)
	v_perm_b32 v17, v37, v35, s62
	v_perm_b32 v16, v33, v32, s62
	v_cvt_f32_f16_e32 v30, v30
	v_cvt_f32_f16_e32 v31, v31
	ds_read_u16 v32, v167 offset:8800
	ds_read_u16 v33, v141 offset:9072
	ds_read_u16 v35, v157 offset:544
	ds_read_u16 v37, v142 offset:8800
	v_mfma_f32_16x16x16f16 v[28:31], v[16:17], v[6:7], v[28:31]
	s_nop 7
	s_nop 2
	v_cvt_f16_f32_e32 v16, v28
	v_cvt_f16_f32_e32 v17, v29
	v_cvt_f16_f32_e32 v30, v30
	v_cvt_f16_f32_e32 v31, v31
	v_cvt_f32_f16_e32 v28, v16
	v_cvt_f32_f16_e32 v29, v17
	s_waitcnt lgkmcnt(0)
	v_perm_b32 v17, v37, v35, s62
	v_perm_b32 v16, v33, v32, s62
	v_cvt_f32_f16_e32 v30, v30
	v_cvt_f32_f16_e32 v31, v31
	ds_read_u16 v32, v167 offset:13152
	ds_read_u16 v33, v141 offset:13424
	ds_read_u16 v35, v159 offset:544
	ds_read_u16 v37, v142 offset:13152
	v_mfma_f32_16x16x16f16 v[28:31], v[16:17], v[4:5], v[28:31]
	s_nop 7
	s_nop 2
	v_cvt_f16_f32_e32 v16, v28
	v_cvt_f16_f32_e32 v17, v29
	v_cvt_f16_f32_e32 v30, v30
	v_cvt_f16_f32_e32 v31, v31
	v_cvt_f32_f16_e32 v28, v16
	v_cvt_f32_f16_e32 v29, v17
	s_waitcnt lgkmcnt(0)
	v_perm_b32 v17, v37, v35, s62
	v_perm_b32 v16, v33, v32, s62
	v_cvt_f32_f16_e32 v30, v30
	v_cvt_f32_f16_e32 v31, v31
	ds_read_u16 v32, v167 offset:128
	ds_read_u16 v33, v141 offset:400
	;; [unrolled: 1-line block ×4, first 2 shown]
	v_mfma_f32_16x16x16f16 v[28:31], v[16:17], v[2:3], v[28:31]
	s_nop 7
	s_nop 2
	v_cvt_f16_f32_e32 v16, v28
	v_cvt_f16_f32_e32 v17, v29
	;; [unrolled: 1-line block ×4, first 2 shown]
	v_cvt_f32_f16_e32 v30, v20
	v_pack_b32_f16 v16, v16, v17
	v_cvt_f32_f16_sdwa v31, v20 dst_sel:DWORD dst_unused:UNUSED_PAD src0_sel:WORD_1
	v_pack_b32_f16 v17, v28, v29
	v_cvt_f32_f16_e32 v28, v21
	v_cvt_f32_f16_sdwa v29, v21 dst_sel:DWORD dst_unused:UNUSED_PAD src0_sel:WORD_1
	s_waitcnt lgkmcnt(0)
	v_perm_b32 v21, v37, v35, s62
	v_perm_b32 v20, v33, v32, s62
	ds_read_u16 v32, v167 offset:4480
	ds_read_u16 v33, v141 offset:4752
	ds_read_u16 v35, v161 offset:544
	ds_read_u16 v37, v142 offset:4480
	v_mfma_f32_16x16x16f16 v[28:31], v[20:21], v[8:9], v[28:31]
	s_nop 7
	s_nop 2
	v_cvt_f16_f32_e32 v20, v28
	v_cvt_f16_f32_e32 v21, v29
	v_cvt_f16_f32_e32 v30, v30
	v_cvt_f16_f32_e32 v31, v31
	v_cvt_f32_f16_e32 v28, v20
	v_cvt_f32_f16_e32 v29, v21
	s_waitcnt lgkmcnt(0)
	v_perm_b32 v21, v37, v35, s62
	v_perm_b32 v20, v33, v32, s62
	v_cvt_f32_f16_e32 v30, v30
	v_cvt_f32_f16_e32 v31, v31
	ds_read_u16 v32, v167 offset:8832
	ds_read_u16 v33, v141 offset:9104
	ds_read_u16 v35, v162 offset:544
	ds_read_u16 v37, v142 offset:8832
	v_mfma_f32_16x16x16f16 v[28:31], v[20:21], v[6:7], v[28:31]
	s_nop 7
	s_nop 2
	v_cvt_f16_f32_e32 v20, v28
	v_cvt_f16_f32_e32 v21, v29
	v_cvt_f16_f32_e32 v30, v30
	v_cvt_f16_f32_e32 v31, v31
	v_cvt_f32_f16_e32 v28, v20
	v_cvt_f32_f16_e32 v29, v21
	s_waitcnt lgkmcnt(0)
	v_perm_b32 v21, v37, v35, s62
	v_perm_b32 v20, v33, v32, s62
	v_cvt_f32_f16_e32 v30, v30
	v_cvt_f32_f16_e32 v31, v31
	;; [unrolled: 18-line block ×3, first 2 shown]
	ds_read_u16 v32, v167 offset:160
	ds_read_u16 v33, v141 offset:432
	;; [unrolled: 1-line block ×4, first 2 shown]
	v_mfma_f32_16x16x16f16 v[28:31], v[20:21], v[2:3], v[28:31]
	s_nop 7
	s_nop 2
	v_cvt_f16_f32_e32 v20, v28
	v_cvt_f16_f32_e32 v21, v29
	;; [unrolled: 1-line block ×4, first 2 shown]
	v_cvt_f32_f16_e32 v30, v22
	v_pack_b32_f16 v20, v20, v21
	v_cvt_f32_f16_sdwa v31, v22 dst_sel:DWORD dst_unused:UNUSED_PAD src0_sel:WORD_1
	v_pack_b32_f16 v21, v28, v29
	v_cvt_f32_f16_e32 v28, v23
	v_cvt_f32_f16_sdwa v29, v23 dst_sel:DWORD dst_unused:UNUSED_PAD src0_sel:WORD_1
	s_waitcnt lgkmcnt(0)
	v_perm_b32 v23, v37, v35, s62
	v_perm_b32 v22, v33, v32, s62
	ds_read_u16 v32, v167 offset:4512
	ds_read_u16 v33, v141 offset:4784
	ds_read_u16 v35, v169 offset:544
	ds_read_u16 v37, v142 offset:4512
	v_mfma_f32_16x16x16f16 v[28:31], v[22:23], v[8:9], v[28:31]
	s_nop 7
	s_nop 2
	v_cvt_f16_f32_e32 v22, v28
	v_cvt_f16_f32_e32 v23, v29
	v_cvt_f16_f32_e32 v30, v30
	v_cvt_f16_f32_e32 v31, v31
	v_cvt_f32_f16_e32 v28, v22
	v_cvt_f32_f16_e32 v29, v23
	s_waitcnt lgkmcnt(0)
	v_perm_b32 v23, v37, v35, s62
	v_perm_b32 v22, v33, v32, s62
	v_cvt_f32_f16_e32 v30, v30
	v_cvt_f32_f16_e32 v31, v31
	ds_read_u16 v32, v167 offset:8864
	ds_read_u16 v33, v141 offset:9136
	ds_read_u16 v35, v172 offset:544
	ds_read_u16 v37, v142 offset:8864
	v_mfma_f32_16x16x16f16 v[28:31], v[22:23], v[6:7], v[28:31]
	s_nop 7
	s_nop 2
	v_cvt_f16_f32_e32 v22, v28
	v_cvt_f16_f32_e32 v23, v29
	v_cvt_f16_f32_e32 v30, v30
	v_cvt_f16_f32_e32 v31, v31
	v_cvt_f32_f16_e32 v28, v22
	v_cvt_f32_f16_e32 v29, v23
	s_waitcnt lgkmcnt(0)
	v_perm_b32 v23, v37, v35, s62
	v_perm_b32 v22, v33, v32, s62
	v_cvt_f32_f16_e32 v30, v30
	v_cvt_f32_f16_e32 v31, v31
	ds_read_u16 v32, v167 offset:13216
	ds_read_u16 v33, v141 offset:13488
	ds_read_u16 v35, v173 offset:544
	ds_read_u16 v37, v142 offset:13216
	v_mfma_f32_16x16x16f16 v[28:31], v[22:23], v[4:5], v[28:31]
	s_nop 7
	s_nop 2
	v_cvt_f16_f32_e32 v22, v28
	v_cvt_f16_f32_e32 v23, v29
	v_cvt_f16_f32_e32 v30, v30
	v_cvt_f16_f32_e32 v31, v31
	v_cvt_f32_f16_e32 v28, v22
	v_cvt_f32_f16_e32 v29, v23
	s_waitcnt lgkmcnt(0)
	v_perm_b32 v23, v37, v35, s62
	v_perm_b32 v22, v33, v32, s62
	v_cvt_f32_f16_e32 v30, v30
	v_cvt_f32_f16_e32 v31, v31
	ds_read_u16 v32, v167 offset:192
	ds_read_u16 v33, v141 offset:464
	;; [unrolled: 1-line block ×4, first 2 shown]
	v_mfma_f32_16x16x16f16 v[28:31], v[22:23], v[2:3], v[28:31]
	s_nop 7
	s_nop 2
	v_cvt_f16_f32_e32 v22, v28
	v_cvt_f16_f32_e32 v23, v29
	;; [unrolled: 1-line block ×4, first 2 shown]
	v_cvt_f32_f16_e32 v30, v24
	v_pack_b32_f16 v22, v22, v23
	v_cvt_f32_f16_sdwa v31, v24 dst_sel:DWORD dst_unused:UNUSED_PAD src0_sel:WORD_1
	v_pack_b32_f16 v23, v28, v29
	v_cvt_f32_f16_e32 v28, v25
	v_cvt_f32_f16_sdwa v29, v25 dst_sel:DWORD dst_unused:UNUSED_PAD src0_sel:WORD_1
	s_waitcnt lgkmcnt(0)
	v_perm_b32 v25, v37, v35, s62
	v_perm_b32 v24, v33, v32, s62
	ds_read_u16 v32, v167 offset:4544
	ds_read_u16 v33, v141 offset:4816
	ds_read_u16 v35, v175 offset:544
	ds_read_u16 v37, v142 offset:4544
	v_mfma_f32_16x16x16f16 v[28:31], v[24:25], v[8:9], v[28:31]
	s_nop 7
	s_nop 2
	v_cvt_f16_f32_e32 v24, v28
	v_cvt_f16_f32_e32 v25, v29
	v_cvt_f16_f32_e32 v30, v30
	v_cvt_f16_f32_e32 v31, v31
	v_cvt_f32_f16_e32 v28, v24
	v_cvt_f32_f16_e32 v29, v25
	s_waitcnt lgkmcnt(0)
	v_perm_b32 v25, v37, v35, s62
	v_perm_b32 v24, v33, v32, s62
	v_cvt_f32_f16_e32 v30, v30
	v_cvt_f32_f16_e32 v31, v31
	ds_read_u16 v32, v167 offset:8896
	ds_read_u16 v33, v141 offset:9168
	ds_read_u16 v35, v176 offset:544
	ds_read_u16 v37, v142 offset:8896
	v_mfma_f32_16x16x16f16 v[28:31], v[24:25], v[6:7], v[28:31]
	s_nop 7
	s_nop 2
	v_cvt_f16_f32_e32 v24, v28
	v_cvt_f16_f32_e32 v25, v29
	v_cvt_f16_f32_e32 v30, v30
	v_cvt_f16_f32_e32 v31, v31
	v_cvt_f32_f16_e32 v28, v24
	v_cvt_f32_f16_e32 v29, v25
	s_waitcnt lgkmcnt(0)
	v_perm_b32 v25, v37, v35, s62
	v_perm_b32 v24, v33, v32, s62
	v_cvt_f32_f16_e32 v30, v30
	v_cvt_f32_f16_e32 v31, v31
	;; [unrolled: 18-line block ×3, first 2 shown]
	ds_read_u16 v32, v167 offset:224
	ds_read_u16 v35, v141 offset:496
	;; [unrolled: 1-line block ×4, first 2 shown]
	v_mfma_f32_16x16x16f16 v[28:31], v[24:25], v[2:3], v[28:31]
	s_waitcnt lgkmcnt(2)
	v_perm_b32 v32, v35, v32, s62
	s_waitcnt lgkmcnt(0)
	v_perm_b32 v33, v37, v33, s62
	s_nop 6
	v_cvt_f16_f32_e32 v24, v28
	v_cvt_f16_f32_e32 v25, v29
	;; [unrolled: 1-line block ×4, first 2 shown]
	v_cvt_f32_f16_e32 v30, v0
	v_pack_b32_f16 v24, v24, v25
	v_cvt_f32_f16_sdwa v31, v0 dst_sel:DWORD dst_unused:UNUSED_PAD src0_sel:WORD_1
	v_pack_b32_f16 v25, v28, v29
	v_cvt_f32_f16_e32 v28, v27
	v_cvt_f32_f16_sdwa v29, v27 dst_sel:DWORD dst_unused:UNUSED_PAD src0_sel:WORD_1
	s_nop 1
	v_mfma_f32_16x16x16f16 v[28:31], v[32:33], v[8:9], v[28:31]
	ds_read_u16 v32, v167 offset:4576
	ds_read_u16 v33, v141 offset:4848
	;; [unrolled: 1-line block ×4, first 2 shown]
	s_nop 6
	v_cvt_f16_f32_e32 v8, v29
	v_cvt_f16_f32_e32 v9, v30
	;; [unrolled: 1-line block ×4, first 2 shown]
	v_cvt_f32_f16_e32 v29, v8
	v_cvt_f32_f16_e32 v30, v9
	s_waitcnt lgkmcnt(0)
	v_perm_b32 v9, v37, v35, s62
	v_perm_b32 v8, v33, v32, s62
	v_cvt_f32_f16_e32 v28, v0
	v_cvt_f32_f16_e32 v31, v27
	s_nop 1
	v_mfma_f32_16x16x16f16 v[6:9], v[8:9], v[6:7], v[28:31]
	ds_read_u16 v27, v167 offset:8928
	s_nop 5
	ds_read_u16 v28, v141 offset:9200
	ds_read_u16 v29, v180 offset:544
	;; [unrolled: 1-line block ×3, first 2 shown]
	s_waitcnt lgkmcnt(2)
	v_perm_b32 v28, v28, v27, s62
	s_waitcnt lgkmcnt(0)
	v_perm_b32 v29, v30, v29, s62
	v_cvt_f16_f32_e32 v0, v6
	v_cvt_f16_f32_e32 v7, v7
	;; [unrolled: 1-line block ×4, first 2 shown]
	v_cvt_f32_f16_e32 v6, v0
	v_cvt_f32_f16_e32 v7, v7
	;; [unrolled: 1-line block ×4, first 2 shown]
	s_nop 1
	v_mfma_f32_16x16x16f16 v[4:7], v[28:29], v[4:5], v[6:9]
	ds_read_u16 v0, v167 offset:13280
	s_nop 5
	ds_read_u16 v8, v141 offset:13552
	ds_read_u16 v9, v181 offset:544
	;; [unrolled: 1-line block ×3, first 2 shown]
	s_waitcnt lgkmcnt(0)
	s_barrier
	v_perm_b32 v8, v8, v0, s62
	v_perm_b32 v9, v27, v9, s62
	v_cvt_f16_f32_e32 v4, v4
	v_cvt_f16_f32_e32 v5, v5
	;; [unrolled: 1-line block ×4, first 2 shown]
	v_cvt_f32_f16_e32 v4, v4
	v_cvt_f32_f16_e32 v5, v5
	;; [unrolled: 1-line block ×4, first 2 shown]
	s_nop 1
	v_mfma_f32_16x16x16f16 v[2:5], v[8:9], v[2:3], v[4:7]
	s_nop 7
	s_nop 2
	v_cvt_f16_f32_e32 v0, v2
	v_cvt_f16_f32_e32 v2, v3
	;; [unrolled: 1-line block ×4, first 2 shown]
	v_pack_b32_f16 v2, v0, v2
	ds_bpermute_b32 v0, v19, v26
	v_pack_b32_f16 v3, v3, v4
	s_waitcnt lgkmcnt(0)
	v_add_f32_e32 v0, v26, v0
	ds_bpermute_b32 v1, v1, v0
	s_waitcnt lgkmcnt(0)
	v_add_f32_e32 v19, v0, v1
	s_cbranch_scc0 .LBB24_328
; %bb.327:                              ;   in Loop: Header=BB24_13 Depth=1
	global_load_dword v0, v209, s[42:43]
	v_max_f32_e32 v1, v18, v18
	s_mov_b64 s[42:43], 0
	s_waitcnt vmcnt(0)
	v_max_f32_e32 v4, v0, v0
	v_max_f32_e32 v4, v1, v4
	v_sub_f32_e32 v1, v18, v4
	v_sub_f32_e32 v0, v0, v4
	v_mul_f32_e32 v5, 0x3fb8aa3b, v1
	v_mul_f32_e32 v6, 0x3fb8aa3b, v0
	v_fma_f32 v7, v1, s74, -v5
	v_rndne_f32_e32 v8, v5
	v_fma_f32 v9, v0, s74, -v6
	v_rndne_f32_e32 v26, v6
	v_fmac_f32_e32 v7, 0x32a5705f, v1
	v_sub_f32_e32 v5, v5, v8
	v_fmac_f32_e32 v9, 0x32a5705f, v0
	v_sub_f32_e32 v6, v6, v26
	v_add_f32_e32 v5, v5, v7
	v_cvt_i32_f32_e32 v8, v8
	v_add_f32_e32 v6, v6, v9
	v_exp_f32_e32 v5, v5
	v_cvt_i32_f32_e32 v26, v26
	v_exp_f32_e32 v6, v6
	v_cmp_ngt_f32_e32 vcc, s75, v1
	v_ldexp_f32 v5, v5, v8
	v_cndmask_b32_e32 v5, 0, v5, vcc
	v_ldexp_f32 v6, v6, v26
	v_cmp_ngt_f32_e32 vcc, s75, v0
	v_cndmask_b32_e32 v6, 0, v6, vcc
	v_cmp_nlt_f32_e32 vcc, s61, v1
	v_cndmask_b32_e32 v5, v247, v5, vcc
	v_cmp_le_f32_e32 vcc, s46, v1
	v_cndmask_b32_e32 v1, 0, v5, vcc
	v_cvt_f16_f32_e32 v35, v1
	v_cmp_nlt_f32_e32 vcc, s61, v0
	v_cndmask_b32_e32 v5, v247, v6, vcc
	v_fmac_f32_e32 v5, v19, v1
	v_pk_mul_f16 v6, v35, v10 op_sel_hi:[0,1]
	v_pk_mul_f16 v7, v35, v11 op_sel_hi:[0,1]
	v_pk_mul_f16 v8, v35, v12 op_sel_hi:[0,1]
	v_pk_mul_f16 v9, v35, v13 op_sel_hi:[0,1]
	v_pk_mul_f16 v26, v35, v14 op_sel_hi:[0,1]
	v_pk_mul_f16 v27, v35, v15 op_sel_hi:[0,1]
	v_pk_mul_f16 v28, v35, v16 op_sel_hi:[0,1]
	v_pk_mul_f16 v29, v35, v17 op_sel_hi:[0,1]
	v_pk_mul_f16 v30, v35, v20 op_sel_hi:[0,1]
	v_pk_mul_f16 v31, v35, v21 op_sel_hi:[0,1]
	v_pk_mul_f16 v32, v35, v22 op_sel_hi:[0,1]
	v_pk_mul_f16 v33, v35, v23 op_sel_hi:[0,1]
	v_pk_mul_f16 v60, v35, v24 op_sel_hi:[0,1]
	v_pk_mul_f16 v61, v35, v25 op_sel_hi:[0,1]
	v_pk_mul_f16 v62, v35, v2 op_sel_hi:[0,1]
	v_pk_mul_f16 v63, v35, v3 op_sel_hi:[0,1]
	s_branch .LBB24_329
.LBB24_328:                             ;   in Loop: Header=BB24_13 Depth=1
	s_mov_b64 s[42:43], -1
                                        ; implicit-def: $vgpr4_vgpr5
                                        ; implicit-def: $vgpr6_vgpr7
                                        ; implicit-def: $vgpr8_vgpr9
                                        ; implicit-def: $vgpr26_vgpr27
                                        ; implicit-def: $vgpr28_vgpr29
                                        ; implicit-def: $vgpr30_vgpr31
                                        ; implicit-def: $vgpr32_vgpr33
                                        ; implicit-def: $vgpr60_vgpr61
                                        ; implicit-def: $vgpr62_vgpr63
.LBB24_329:                             ;   in Loop: Header=BB24_13 Depth=1
	v_readlane_b32 s63, v254, 18
	v_readlane_b32 s94, v254, 35
	;; [unrolled: 1-line block ×3, first 2 shown]
	s_mov_b32 s97, 0xc1a00000
	s_andn2_b64 vcc, exec, s[42:43]
	v_readlane_b32 s98, v254, 16
	v_readlane_b32 s95, v254, 36
	;; [unrolled: 1-line block ×3, first 2 shown]
	s_cbranch_vccnz .LBB24_331
; %bb.330:                              ;   in Loop: Header=BB24_13 Depth=1
	v_pk_mov_b32 v[62:63], v[2:3], v[2:3] op_sel:[0,1]
	v_pk_mov_b32 v[60:61], v[24:25], v[24:25] op_sel:[0,1]
	;; [unrolled: 1-line block ×9, first 2 shown]
.LBB24_331:                             ;   in Loop: Header=BB24_13 Depth=1
	s_mov_b64 s[42:43], exec
	v_readlane_b32 s44, v254, 10
	v_readlane_b32 s45, v254, 11
	s_and_b64 s[44:45], s[42:43], s[44:45]
	v_readlane_b32 s99, v255, 6
	s_mov_b64 exec, s[44:45]
	s_cbranch_execz .LBB24_333
; %bb.332:                              ;   in Loop: Header=BB24_13 Depth=1
	buffer_load_dword v0, off, s[0:3], 0 offset:96 ; 4-byte Folded Reload
	s_waitcnt vmcnt(0)
	ds_write2_b32 v0, v4, v5 offset0:64 offset1:65
.LBB24_333:                             ;   in Loop: Header=BB24_13 Depth=1
	s_or_b64 exec, exec, s[42:43]
	v_mov_b32_e32 v0, 50
	s_waitcnt lgkmcnt(0)
	s_barrier
	ds_write2_b32 v132, v6, v7 offset1:1
	ds_write2_b32 v132, v8, v9 offset0:8 offset1:9
	ds_write2_b32 v132, v26, v27 offset0:16 offset1:17
	;; [unrolled: 1-line block ×7, first 2 shown]
	s_waitcnt lgkmcnt(0)
	s_barrier
	s_mov_b64 s[42:43], exec
	v_readlane_b32 s44, v254, 38
	v_readlane_b32 s45, v254, 39
	s_and_b64 s[44:45], s[42:43], s[44:45]
	s_mov_b64 exec, s[44:45]
	s_cbranch_execz .LBB24_335
; %bb.334:                              ;   in Loop: Header=BB24_13 Depth=1
	buffer_load_dword v0, off, s[0:3], 0 offset:20 ; 4-byte Folded Reload
	v_readlane_b32 s44, v254, 0
	s_waitcnt vmcnt(0)
	ds_read_b32 v4, v0 offset:260
	ds_read_b32 v2, v183
	v_mad_u64_u32 v[0:1], s[44:45], s44, v126, v[34:35]
	v_ashrrev_i32_e32 v1, 31, v0
	v_lshlrev_b64 v[0:1], 3, v[0:1]
	v_readlane_b32 s44, v254, 20
	v_add_co_u32_e32 v0, vcc, s99, v0
	v_mov_b32_e32 v3, s44
	v_addc_co_u32_e32 v1, vcc, v3, v1, vcc
	s_waitcnt lgkmcnt(0)
	v_cvt_f32_f16_sdwa v3, v2 dst_sel:DWORD dst_unused:UNUSED_PAD src0_sel:WORD_1
	v_cvt_f32_f16_e32 v2, v2
	v_pk_add_f32 v[2:3], v[2:3], 0 op_sel_hi:[1,0]
	v_div_scale_f32 v5, s[44:45], v4, v4, v3
	v_rcp_f32_e32 v6, v5
	v_fma_f32 v7, -v5, v6, 1.0
	v_fmac_f32_e32 v6, v7, v6
	v_div_scale_f32 v7, vcc, v3, v4, v3
	v_mul_f32_e32 v8, v7, v6
	v_fma_f32 v9, -v5, v8, v7
	v_fmac_f32_e32 v8, v9, v6
	v_fma_f32 v5, -v5, v8, v7
	v_div_fmas_f32 v5, v5, v6, v8
	v_div_fixup_f32 v3, v5, v4, v3
	v_div_scale_f32 v5, s[44:45], v4, v4, v2
	v_rcp_f32_e32 v6, v5
	v_fma_f32 v7, -v5, v6, 1.0
	v_fmac_f32_e32 v6, v7, v6
	v_div_scale_f32 v7, vcc, v2, v4, v2
	v_mul_f32_e32 v8, v7, v6
	v_fma_f32 v9, -v5, v8, v7
	v_fmac_f32_e32 v8, v9, v6
	v_fma_f32 v5, -v5, v8, v7
	v_div_fmas_f32 v5, v5, v6, v8
	v_div_fixup_f32 v2, v5, v4, v2
	global_store_dwordx2 v[0:1], v[2:3], off
	v_mov_b32_e32 v0, 0
.LBB24_335:                             ;   in Loop: Header=BB24_13 Depth=1
	s_or_b64 exec, exec, s[42:43]
	v_cmp_gt_i32_e32 vcc, 50, v0
	s_mov_b64 s[44:45], -1
	s_and_saveexec_b64 s[42:43], vcc
; %bb.336:                              ;   in Loop: Header=BB24_13 Depth=1
	v_cmp_eq_u32_e32 vcc, 0, v0
	s_orn2_b64 s[44:45], vcc, exec
; %bb.337:                              ;   in Loop: Header=BB24_13 Depth=1
	s_or_b64 exec, exec, s[42:43]
                                        ; implicit-def: $vgpr2_vgpr3
	s_and_saveexec_b64 s[42:43], s[44:45]
	s_cbranch_execz .LBB24_425
; %bb.338:                              ;   in Loop: Header=BB24_13 Depth=1
	v_mov_b32_e32 v0, 50
	s_mov_b64 s[44:45], exec
	v_readlane_b32 s46, v254, 40
	v_readlane_b32 s47, v254, 41
	s_and_b64 s[46:47], s[44:45], s[46:47]
	s_mov_b64 exec, s[46:47]
	s_cbranch_execz .LBB24_340
; %bb.339:                              ;   in Loop: Header=BB24_13 Depth=1
	buffer_load_dword v0, off, s[0:3], 0 offset:20 ; 4-byte Folded Reload
	v_readlane_b32 s46, v254, 0
	s_waitcnt vmcnt(0)
	ds_read_b32 v4, v0 offset:1348
	ds_read_b32 v2, v242
	v_mad_u64_u32 v[0:1], s[46:47], s46, v184, v[34:35]
	v_ashrrev_i32_e32 v1, 31, v0
	v_lshlrev_b64 v[0:1], 3, v[0:1]
	v_readlane_b32 s46, v254, 20
	v_add_co_u32_e32 v0, vcc, s99, v0
	v_mov_b32_e32 v3, s46
	v_addc_co_u32_e32 v1, vcc, v3, v1, vcc
	s_waitcnt lgkmcnt(0)
	v_cvt_f32_f16_sdwa v3, v2 dst_sel:DWORD dst_unused:UNUSED_PAD src0_sel:WORD_1
	v_cvt_f32_f16_e32 v2, v2
	v_pk_add_f32 v[2:3], v[2:3], 0 op_sel_hi:[1,0]
	v_div_scale_f32 v5, s[46:47], v4, v4, v3
	v_rcp_f32_e32 v6, v5
	v_fma_f32 v7, -v5, v6, 1.0
	v_fmac_f32_e32 v6, v7, v6
	v_div_scale_f32 v7, vcc, v3, v4, v3
	v_mul_f32_e32 v8, v7, v6
	v_fma_f32 v9, -v5, v8, v7
	v_fmac_f32_e32 v8, v9, v6
	v_fma_f32 v5, -v5, v8, v7
	v_div_fmas_f32 v5, v5, v6, v8
	v_div_fixup_f32 v3, v5, v4, v3
	v_div_scale_f32 v5, s[46:47], v4, v4, v2
	v_rcp_f32_e32 v6, v5
	v_fma_f32 v7, -v5, v6, 1.0
	v_fmac_f32_e32 v6, v7, v6
	v_div_scale_f32 v7, vcc, v2, v4, v2
	v_mul_f32_e32 v8, v7, v6
	v_fma_f32 v9, -v5, v8, v7
	v_fmac_f32_e32 v8, v9, v6
	v_fma_f32 v5, -v5, v8, v7
	v_div_fmas_f32 v5, v5, v6, v8
	v_div_fixup_f32 v2, v5, v4, v2
	global_store_dwordx2 v[0:1], v[2:3], off
	v_mov_b32_e32 v0, 0
.LBB24_340:                             ;   in Loop: Header=BB24_13 Depth=1
	s_or_b64 exec, exec, s[44:45]
	v_cmp_gt_i32_e32 vcc, 50, v0
	s_mov_b64 s[48:49], -1
	s_and_saveexec_b64 s[44:45], vcc
; %bb.341:                              ;   in Loop: Header=BB24_13 Depth=1
	v_cmp_eq_u32_e32 vcc, 0, v0
	s_orn2_b64 s[48:49], vcc, exec
; %bb.342:                              ;   in Loop: Header=BB24_13 Depth=1
	s_or_b64 exec, exec, s[44:45]
	s_mov_b64 s[46:47], s[8:9]
                                        ; implicit-def: $vgpr2_vgpr3
	s_and_saveexec_b64 s[44:45], s[48:49]
	s_cbranch_execz .LBB24_424
; %bb.343:                              ;   in Loop: Header=BB24_13 Depth=1
	v_mov_b32_e32 v0, 50
	s_mov_b64 s[46:47], exec
	v_readlane_b32 s48, v254, 42
	v_readlane_b32 s49, v254, 43
	s_and_b64 s[48:49], s[46:47], s[48:49]
	s_mov_b64 exec, s[48:49]
	s_cbranch_execz .LBB24_345
; %bb.344:                              ;   in Loop: Header=BB24_13 Depth=1
	buffer_load_dword v0, off, s[0:3], 0 offset:20 ; 4-byte Folded Reload
	v_readlane_b32 s48, v254, 0
	s_waitcnt vmcnt(0)
	ds_read_b32 v4, v0 offset:2436
	ds_read_b32 v2, v243
	v_mad_u64_u32 v[0:1], s[48:49], s48, v188, v[34:35]
	v_ashrrev_i32_e32 v1, 31, v0
	v_lshlrev_b64 v[0:1], 3, v[0:1]
	v_readlane_b32 s48, v254, 20
	v_add_co_u32_e32 v0, vcc, s99, v0
	v_mov_b32_e32 v3, s48
	v_addc_co_u32_e32 v1, vcc, v3, v1, vcc
	s_waitcnt lgkmcnt(0)
	v_cvt_f32_f16_sdwa v3, v2 dst_sel:DWORD dst_unused:UNUSED_PAD src0_sel:WORD_1
	v_cvt_f32_f16_e32 v2, v2
	v_pk_add_f32 v[2:3], v[2:3], 0 op_sel_hi:[1,0]
	v_div_scale_f32 v5, s[48:49], v4, v4, v3
	v_rcp_f32_e32 v6, v5
	v_fma_f32 v7, -v5, v6, 1.0
	v_fmac_f32_e32 v6, v7, v6
	v_div_scale_f32 v7, vcc, v3, v4, v3
	v_mul_f32_e32 v8, v7, v6
	v_fma_f32 v9, -v5, v8, v7
	v_fmac_f32_e32 v8, v9, v6
	v_fma_f32 v5, -v5, v8, v7
	v_div_fmas_f32 v5, v5, v6, v8
	v_div_fixup_f32 v3, v5, v4, v3
	v_div_scale_f32 v5, s[48:49], v4, v4, v2
	v_rcp_f32_e32 v6, v5
	v_fma_f32 v7, -v5, v6, 1.0
	v_fmac_f32_e32 v6, v7, v6
	v_div_scale_f32 v7, vcc, v2, v4, v2
	v_mul_f32_e32 v8, v7, v6
	v_fma_f32 v9, -v5, v8, v7
	v_fmac_f32_e32 v8, v9, v6
	v_fma_f32 v5, -v5, v8, v7
	v_div_fmas_f32 v5, v5, v6, v8
	v_div_fixup_f32 v2, v5, v4, v2
	global_store_dwordx2 v[0:1], v[2:3], off
	v_mov_b32_e32 v0, 0
.LBB24_345:                             ;   in Loop: Header=BB24_13 Depth=1
	s_or_b64 exec, exec, s[46:47]
	v_cmp_gt_i32_e32 vcc, 50, v0
	s_mov_b64 s[50:51], -1
	s_and_saveexec_b64 s[46:47], vcc
; %bb.346:                              ;   in Loop: Header=BB24_13 Depth=1
	v_cmp_eq_u32_e32 vcc, 0, v0
	s_orn2_b64 s[50:51], vcc, exec
; %bb.347:                              ;   in Loop: Header=BB24_13 Depth=1
	s_or_b64 exec, exec, s[46:47]
	s_mov_b64 s[48:49], s[8:9]
                                        ; implicit-def: $vgpr2_vgpr3
	s_and_saveexec_b64 s[46:47], s[50:51]
	s_cbranch_execz .LBB24_423
; %bb.348:                              ;   in Loop: Header=BB24_13 Depth=1
	v_mov_b32_e32 v0, 50
	s_mov_b64 s[48:49], exec
	v_readlane_b32 s50, v254, 44
	v_readlane_b32 s51, v254, 45
	s_and_b64 s[50:51], s[48:49], s[50:51]
	s_mov_b64 exec, s[50:51]
	s_cbranch_execz .LBB24_350
; %bb.349:                              ;   in Loop: Header=BB24_13 Depth=1
	buffer_load_dword v0, off, s[0:3], 0 offset:20 ; 4-byte Folded Reload
	v_readlane_b32 s50, v254, 0
	s_waitcnt vmcnt(0)
	ds_read_b32 v4, v0 offset:3524
	ds_read_b32 v2, v244
	v_mad_u64_u32 v[0:1], s[50:51], s50, v185, v[34:35]
	v_ashrrev_i32_e32 v1, 31, v0
	v_lshlrev_b64 v[0:1], 3, v[0:1]
	v_readlane_b32 s50, v254, 20
	v_add_co_u32_e32 v0, vcc, s99, v0
	v_mov_b32_e32 v3, s50
	v_addc_co_u32_e32 v1, vcc, v3, v1, vcc
	s_waitcnt lgkmcnt(0)
	v_cvt_f32_f16_sdwa v3, v2 dst_sel:DWORD dst_unused:UNUSED_PAD src0_sel:WORD_1
	v_cvt_f32_f16_e32 v2, v2
	v_pk_add_f32 v[2:3], v[2:3], 0 op_sel_hi:[1,0]
	v_div_scale_f32 v5, s[50:51], v4, v4, v3
	v_rcp_f32_e32 v6, v5
	v_fma_f32 v7, -v5, v6, 1.0
	v_fmac_f32_e32 v6, v7, v6
	v_div_scale_f32 v7, vcc, v3, v4, v3
	v_mul_f32_e32 v8, v7, v6
	v_fma_f32 v9, -v5, v8, v7
	v_fmac_f32_e32 v8, v9, v6
	v_fma_f32 v5, -v5, v8, v7
	v_div_fmas_f32 v5, v5, v6, v8
	v_div_fixup_f32 v3, v5, v4, v3
	v_div_scale_f32 v5, s[50:51], v4, v4, v2
	v_rcp_f32_e32 v6, v5
	v_fma_f32 v7, -v5, v6, 1.0
	v_fmac_f32_e32 v6, v7, v6
	v_div_scale_f32 v7, vcc, v2, v4, v2
	v_mul_f32_e32 v8, v7, v6
	v_fma_f32 v9, -v5, v8, v7
	v_fmac_f32_e32 v8, v9, v6
	v_fma_f32 v5, -v5, v8, v7
	v_div_fmas_f32 v5, v5, v6, v8
	v_div_fixup_f32 v2, v5, v4, v2
	global_store_dwordx2 v[0:1], v[2:3], off
	v_mov_b32_e32 v0, 0
.LBB24_350:                             ;   in Loop: Header=BB24_13 Depth=1
	s_or_b64 exec, exec, s[48:49]
	v_cmp_gt_i32_e32 vcc, 50, v0
	s_mov_b64 s[52:53], -1
	s_and_saveexec_b64 s[48:49], vcc
; %bb.351:                              ;   in Loop: Header=BB24_13 Depth=1
	v_cmp_eq_u32_e32 vcc, 0, v0
	s_orn2_b64 s[52:53], vcc, exec
; %bb.352:                              ;   in Loop: Header=BB24_13 Depth=1
	s_or_b64 exec, exec, s[48:49]
	s_mov_b64 s[50:51], s[8:9]
                                        ; implicit-def: $vgpr2_vgpr3
	s_and_saveexec_b64 s[48:49], s[52:53]
	s_cbranch_execz .LBB24_422
; %bb.353:                              ;   in Loop: Header=BB24_13 Depth=1
	v_mov_b32_e32 v0, 50
	s_mov_b64 s[50:51], exec
	v_readlane_b32 s52, v254, 46
	v_readlane_b32 s53, v254, 47
	s_and_b64 s[52:53], s[50:51], s[52:53]
	s_mov_b64 exec, s[52:53]
	s_cbranch_execz .LBB24_355
; %bb.354:                              ;   in Loop: Header=BB24_13 Depth=1
	buffer_load_dword v0, off, s[0:3], 0 offset:108 ; 4-byte Folded Reload
	v_readlane_b32 s52, v254, 0
	s_waitcnt vmcnt(0)
	ds_read_b32 v4, v0 offset:260
	buffer_load_dword v0, off, s[0:3], 0 offset:104 ; 4-byte Folded Reload
	s_waitcnt vmcnt(0)
	ds_read_b32 v2, v0
	v_mad_u64_u32 v[0:1], s[52:53], s52, v189, v[34:35]
	v_ashrrev_i32_e32 v1, 31, v0
	v_lshlrev_b64 v[0:1], 3, v[0:1]
	v_readlane_b32 s52, v254, 20
	v_add_co_u32_e32 v0, vcc, s99, v0
	v_mov_b32_e32 v3, s52
	v_addc_co_u32_e32 v1, vcc, v3, v1, vcc
	s_waitcnt lgkmcnt(0)
	v_cvt_f32_f16_sdwa v3, v2 dst_sel:DWORD dst_unused:UNUSED_PAD src0_sel:WORD_1
	v_cvt_f32_f16_e32 v2, v2
	v_pk_add_f32 v[2:3], v[2:3], 0 op_sel_hi:[1,0]
	v_div_scale_f32 v5, s[52:53], v4, v4, v3
	v_rcp_f32_e32 v6, v5
	v_fma_f32 v7, -v5, v6, 1.0
	v_fmac_f32_e32 v6, v7, v6
	v_div_scale_f32 v7, vcc, v3, v4, v3
	v_mul_f32_e32 v8, v7, v6
	v_fma_f32 v9, -v5, v8, v7
	v_fmac_f32_e32 v8, v9, v6
	v_fma_f32 v5, -v5, v8, v7
	v_div_fmas_f32 v5, v5, v6, v8
	v_div_fixup_f32 v3, v5, v4, v3
	v_div_scale_f32 v5, s[52:53], v4, v4, v2
	v_rcp_f32_e32 v6, v5
	v_fma_f32 v7, -v5, v6, 1.0
	v_fmac_f32_e32 v6, v7, v6
	v_div_scale_f32 v7, vcc, v2, v4, v2
	v_mul_f32_e32 v8, v7, v6
	v_fma_f32 v9, -v5, v8, v7
	v_fmac_f32_e32 v8, v9, v6
	v_fma_f32 v5, -v5, v8, v7
	v_div_fmas_f32 v5, v5, v6, v8
	v_div_fixup_f32 v2, v5, v4, v2
	global_store_dwordx2 v[0:1], v[2:3], off
	v_mov_b32_e32 v0, 0
.LBB24_355:                             ;   in Loop: Header=BB24_13 Depth=1
	s_or_b64 exec, exec, s[50:51]
	v_cmp_gt_i32_e32 vcc, 50, v0
	s_mov_b64 s[54:55], -1
	s_and_saveexec_b64 s[50:51], vcc
; %bb.356:                              ;   in Loop: Header=BB24_13 Depth=1
	v_cmp_eq_u32_e32 vcc, 0, v0
	s_orn2_b64 s[54:55], vcc, exec
; %bb.357:                              ;   in Loop: Header=BB24_13 Depth=1
	s_or_b64 exec, exec, s[50:51]
	s_mov_b64 s[52:53], s[8:9]
                                        ; implicit-def: $vgpr2_vgpr3
	s_and_saveexec_b64 s[50:51], s[54:55]
	s_cbranch_execz .LBB24_421
; %bb.358:                              ;   in Loop: Header=BB24_13 Depth=1
	v_mov_b32_e32 v0, 50
	s_mov_b64 s[52:53], exec
	v_readlane_b32 s54, v254, 48
	v_readlane_b32 s55, v254, 49
	s_and_b64 s[54:55], s[52:53], s[54:55]
	s_mov_b64 exec, s[54:55]
	s_cbranch_execz .LBB24_360
; %bb.359:                              ;   in Loop: Header=BB24_13 Depth=1
	buffer_load_dword v0, off, s[0:3], 0 offset:20 ; 4-byte Folded Reload
	v_readlane_b32 s54, v254, 0
	s_waitcnt vmcnt(0)
	ds_read_b32 v4, v0 offset:5700
	ds_read_b32 v2, v244 offset:2176
	v_mad_u64_u32 v[0:1], s[54:55], s54, v186, v[34:35]
	v_ashrrev_i32_e32 v1, 31, v0
	v_lshlrev_b64 v[0:1], 3, v[0:1]
	v_readlane_b32 s54, v254, 20
	v_add_co_u32_e32 v0, vcc, s99, v0
	v_mov_b32_e32 v3, s54
	v_addc_co_u32_e32 v1, vcc, v3, v1, vcc
	s_waitcnt lgkmcnt(0)
	v_cvt_f32_f16_sdwa v3, v2 dst_sel:DWORD dst_unused:UNUSED_PAD src0_sel:WORD_1
	v_cvt_f32_f16_e32 v2, v2
	v_pk_add_f32 v[2:3], v[2:3], 0 op_sel_hi:[1,0]
	v_div_scale_f32 v5, s[54:55], v4, v4, v3
	v_rcp_f32_e32 v6, v5
	v_fma_f32 v7, -v5, v6, 1.0
	v_fmac_f32_e32 v6, v7, v6
	v_div_scale_f32 v7, vcc, v3, v4, v3
	v_mul_f32_e32 v8, v7, v6
	v_fma_f32 v9, -v5, v8, v7
	v_fmac_f32_e32 v8, v9, v6
	v_fma_f32 v5, -v5, v8, v7
	v_div_fmas_f32 v5, v5, v6, v8
	v_div_fixup_f32 v3, v5, v4, v3
	v_div_scale_f32 v5, s[54:55], v4, v4, v2
	v_rcp_f32_e32 v6, v5
	v_fma_f32 v7, -v5, v6, 1.0
	v_fmac_f32_e32 v6, v7, v6
	v_div_scale_f32 v7, vcc, v2, v4, v2
	v_mul_f32_e32 v8, v7, v6
	v_fma_f32 v9, -v5, v8, v7
	v_fmac_f32_e32 v8, v9, v6
	v_fma_f32 v5, -v5, v8, v7
	v_div_fmas_f32 v5, v5, v6, v8
	v_div_fixup_f32 v2, v5, v4, v2
	global_store_dwordx2 v[0:1], v[2:3], off
	v_mov_b32_e32 v0, 0
.LBB24_360:                             ;   in Loop: Header=BB24_13 Depth=1
	s_or_b64 exec, exec, s[52:53]
	v_cmp_gt_i32_e32 vcc, 50, v0
	s_mov_b64 s[58:59], -1
	s_and_saveexec_b64 s[52:53], vcc
; %bb.361:                              ;   in Loop: Header=BB24_13 Depth=1
	v_cmp_eq_u32_e32 vcc, 0, v0
	s_orn2_b64 s[58:59], vcc, exec
; %bb.362:                              ;   in Loop: Header=BB24_13 Depth=1
	s_or_b64 exec, exec, s[52:53]
	s_mov_b64 s[54:55], s[8:9]
                                        ; implicit-def: $vgpr2_vgpr3
	s_and_saveexec_b64 s[52:53], s[58:59]
	s_cbranch_execz .LBB24_420
; %bb.363:                              ;   in Loop: Header=BB24_13 Depth=1
	v_mov_b32_e32 v0, 50
	s_mov_b64 s[54:55], exec
	v_readlane_b32 s58, v254, 50
	v_readlane_b32 s59, v254, 51
	s_and_b64 s[58:59], s[54:55], s[58:59]
	s_mov_b64 exec, s[58:59]
	s_cbranch_execz .LBB24_365
; %bb.364:                              ;   in Loop: Header=BB24_13 Depth=1
	buffer_load_dword v0, off, s[0:3], 0 offset:20 ; 4-byte Folded Reload
	v_readlane_b32 s58, v254, 0
	s_waitcnt vmcnt(0)
	ds_read_b32 v4, v0 offset:6788
	ds_read_b32 v2, v244 offset:3264
	v_mad_u64_u32 v[0:1], s[58:59], s58, v190, v[34:35]
	v_ashrrev_i32_e32 v1, 31, v0
	v_lshlrev_b64 v[0:1], 3, v[0:1]
	v_readlane_b32 s58, v254, 20
	v_add_co_u32_e32 v0, vcc, s99, v0
	v_mov_b32_e32 v3, s58
	v_addc_co_u32_e32 v1, vcc, v3, v1, vcc
	s_waitcnt lgkmcnt(0)
	v_cvt_f32_f16_sdwa v3, v2 dst_sel:DWORD dst_unused:UNUSED_PAD src0_sel:WORD_1
	v_cvt_f32_f16_e32 v2, v2
	v_pk_add_f32 v[2:3], v[2:3], 0 op_sel_hi:[1,0]
	v_div_scale_f32 v5, s[58:59], v4, v4, v3
	v_rcp_f32_e32 v6, v5
	v_fma_f32 v7, -v5, v6, 1.0
	v_fmac_f32_e32 v6, v7, v6
	v_div_scale_f32 v7, vcc, v3, v4, v3
	v_mul_f32_e32 v8, v7, v6
	v_fma_f32 v9, -v5, v8, v7
	v_fmac_f32_e32 v8, v9, v6
	v_fma_f32 v5, -v5, v8, v7
	v_div_fmas_f32 v5, v5, v6, v8
	v_div_fixup_f32 v3, v5, v4, v3
	v_div_scale_f32 v5, s[58:59], v4, v4, v2
	v_rcp_f32_e32 v6, v5
	v_fma_f32 v7, -v5, v6, 1.0
	v_fmac_f32_e32 v6, v7, v6
	v_div_scale_f32 v7, vcc, v2, v4, v2
	v_mul_f32_e32 v8, v7, v6
	v_fma_f32 v9, -v5, v8, v7
	v_fmac_f32_e32 v8, v9, v6
	v_fma_f32 v5, -v5, v8, v7
	v_div_fmas_f32 v5, v5, v6, v8
	v_div_fixup_f32 v2, v5, v4, v2
	global_store_dwordx2 v[0:1], v[2:3], off
	v_mov_b32_e32 v0, 0
.LBB24_365:                             ;   in Loop: Header=BB24_13 Depth=1
	;; [unrolled: 63-line block ×3, first 2 shown]
	s_or_b64 exec, exec, s[58:59]
	v_cmp_gt_i32_e32 vcc, 50, v0
	s_mov_b64 s[78:79], -1
	s_and_saveexec_b64 s[58:59], vcc
; %bb.371:                              ;   in Loop: Header=BB24_13 Depth=1
	v_cmp_eq_u32_e32 vcc, 0, v0
	s_orn2_b64 s[78:79], vcc, exec
; %bb.372:                              ;   in Loop: Header=BB24_13 Depth=1
	s_or_b64 exec, exec, s[58:59]
	s_mov_b64 s[76:77], s[8:9]
                                        ; implicit-def: $vgpr2_vgpr3
	s_and_saveexec_b64 s[58:59], s[78:79]
	s_cbranch_execz .LBB24_418
; %bb.373:                              ;   in Loop: Header=BB24_13 Depth=1
	v_mov_b32_e32 v0, 50
	s_mov_b64 s[76:77], exec
	v_readlane_b32 s78, v254, 54
	v_readlane_b32 s79, v254, 55
	s_and_b64 s[78:79], s[76:77], s[78:79]
	s_mov_b64 exec, s[78:79]
	s_cbranch_execz .LBB24_375
; %bb.374:                              ;   in Loop: Header=BB24_13 Depth=1
	buffer_load_dword v0, off, s[0:3], 0 offset:116 ; 4-byte Folded Reload
	v_readlane_b32 s78, v254, 0
	s_waitcnt vmcnt(0)
	ds_read_b32 v4, v0 offset:260
	buffer_load_dword v0, off, s[0:3], 0 offset:112 ; 4-byte Folded Reload
	s_waitcnt vmcnt(0)
	ds_read_b32 v2, v0
	v_mad_u64_u32 v[0:1], s[78:79], s78, v251, v[34:35]
	v_ashrrev_i32_e32 v1, 31, v0
	v_lshlrev_b64 v[0:1], 3, v[0:1]
	v_readlane_b32 s78, v254, 20
	v_add_co_u32_e32 v0, vcc, s99, v0
	v_mov_b32_e32 v3, s78
	v_addc_co_u32_e32 v1, vcc, v3, v1, vcc
	s_waitcnt lgkmcnt(0)
	v_cvt_f32_f16_sdwa v3, v2 dst_sel:DWORD dst_unused:UNUSED_PAD src0_sel:WORD_1
	v_cvt_f32_f16_e32 v2, v2
	v_pk_add_f32 v[2:3], v[2:3], 0 op_sel_hi:[1,0]
	v_div_scale_f32 v5, s[78:79], v4, v4, v3
	v_rcp_f32_e32 v6, v5
	v_fma_f32 v7, -v5, v6, 1.0
	v_fmac_f32_e32 v6, v7, v6
	v_div_scale_f32 v7, vcc, v3, v4, v3
	v_mul_f32_e32 v8, v7, v6
	v_fma_f32 v9, -v5, v8, v7
	v_fmac_f32_e32 v8, v9, v6
	v_fma_f32 v5, -v5, v8, v7
	v_div_fmas_f32 v5, v5, v6, v8
	v_div_fixup_f32 v3, v5, v4, v3
	v_div_scale_f32 v5, s[78:79], v4, v4, v2
	v_rcp_f32_e32 v6, v5
	v_fma_f32 v7, -v5, v6, 1.0
	v_fmac_f32_e32 v6, v7, v6
	v_div_scale_f32 v7, vcc, v2, v4, v2
	v_mul_f32_e32 v8, v7, v6
	v_fma_f32 v9, -v5, v8, v7
	v_fmac_f32_e32 v8, v9, v6
	v_fma_f32 v5, -v5, v8, v7
	v_div_fmas_f32 v5, v5, v6, v8
	v_div_fixup_f32 v2, v5, v4, v2
	global_store_dwordx2 v[0:1], v[2:3], off
	v_mov_b32_e32 v0, 0
.LBB24_375:                             ;   in Loop: Header=BB24_13 Depth=1
	s_or_b64 exec, exec, s[76:77]
	v_cmp_gt_i32_e32 vcc, 50, v0
	s_mov_b64 s[80:81], -1
	s_and_saveexec_b64 s[76:77], vcc
; %bb.376:                              ;   in Loop: Header=BB24_13 Depth=1
	v_cmp_eq_u32_e32 vcc, 0, v0
	s_orn2_b64 s[80:81], vcc, exec
; %bb.377:                              ;   in Loop: Header=BB24_13 Depth=1
	s_or_b64 exec, exec, s[76:77]
	s_mov_b64 s[78:79], s[8:9]
                                        ; implicit-def: $vgpr2_vgpr3
	s_and_saveexec_b64 s[76:77], s[80:81]
	s_cbranch_execz .LBB24_417
; %bb.378:                              ;   in Loop: Header=BB24_13 Depth=1
	v_mov_b32_e32 v0, 50
	s_mov_b64 s[78:79], exec
	v_readlane_b32 s80, v254, 56
	v_readlane_b32 s81, v254, 57
	s_and_b64 s[80:81], s[78:79], s[80:81]
	s_mov_b64 exec, s[80:81]
	s_cbranch_execz .LBB24_380
; %bb.379:                              ;   in Loop: Header=BB24_13 Depth=1
	buffer_load_dword v0, off, s[0:3], 0 offset:20 ; 4-byte Folded Reload
	v_readlane_b32 s80, v254, 0
	s_waitcnt vmcnt(0)
	ds_read_b32 v4, v0 offset:10052
	ds_read_b32 v2, v244 offset:6528
	v_mad_u64_u32 v[0:1], s[80:81], s80, v250, v[34:35]
	v_ashrrev_i32_e32 v1, 31, v0
	v_lshlrev_b64 v[0:1], 3, v[0:1]
	v_readlane_b32 s80, v254, 20
	v_add_co_u32_e32 v0, vcc, s99, v0
	v_mov_b32_e32 v3, s80
	v_addc_co_u32_e32 v1, vcc, v3, v1, vcc
	s_waitcnt lgkmcnt(0)
	v_cvt_f32_f16_sdwa v3, v2 dst_sel:DWORD dst_unused:UNUSED_PAD src0_sel:WORD_1
	v_cvt_f32_f16_e32 v2, v2
	v_pk_add_f32 v[2:3], v[2:3], 0 op_sel_hi:[1,0]
	v_div_scale_f32 v5, s[80:81], v4, v4, v3
	v_rcp_f32_e32 v6, v5
	v_fma_f32 v7, -v5, v6, 1.0
	v_fmac_f32_e32 v6, v7, v6
	v_div_scale_f32 v7, vcc, v3, v4, v3
	v_mul_f32_e32 v8, v7, v6
	v_fma_f32 v9, -v5, v8, v7
	v_fmac_f32_e32 v8, v9, v6
	v_fma_f32 v5, -v5, v8, v7
	v_div_fmas_f32 v5, v5, v6, v8
	v_div_fixup_f32 v3, v5, v4, v3
	v_div_scale_f32 v5, s[80:81], v4, v4, v2
	v_rcp_f32_e32 v6, v5
	v_fma_f32 v7, -v5, v6, 1.0
	v_fmac_f32_e32 v6, v7, v6
	v_div_scale_f32 v7, vcc, v2, v4, v2
	v_mul_f32_e32 v8, v7, v6
	v_fma_f32 v9, -v5, v8, v7
	v_fmac_f32_e32 v8, v9, v6
	v_fma_f32 v5, -v5, v8, v7
	v_div_fmas_f32 v5, v5, v6, v8
	v_div_fixup_f32 v2, v5, v4, v2
	global_store_dwordx2 v[0:1], v[2:3], off
	v_mov_b32_e32 v0, 0
.LBB24_380:                             ;   in Loop: Header=BB24_13 Depth=1
	s_or_b64 exec, exec, s[78:79]
	v_cmp_gt_i32_e32 vcc, 50, v0
	s_mov_b64 s[82:83], -1
	s_and_saveexec_b64 s[78:79], vcc
; %bb.381:                              ;   in Loop: Header=BB24_13 Depth=1
	v_cmp_eq_u32_e32 vcc, 0, v0
	s_orn2_b64 s[82:83], vcc, exec
; %bb.382:                              ;   in Loop: Header=BB24_13 Depth=1
	s_or_b64 exec, exec, s[78:79]
	s_mov_b64 s[80:81], s[8:9]
                                        ; implicit-def: $vgpr2_vgpr3
	s_and_saveexec_b64 s[78:79], s[82:83]
	s_cbranch_execz .LBB24_416
; %bb.383:                              ;   in Loop: Header=BB24_13 Depth=1
	v_mov_b32_e32 v0, 50
	s_mov_b64 s[80:81], exec
	v_readlane_b32 s82, v254, 58
	v_readlane_b32 s83, v254, 59
	s_and_b64 s[82:83], s[80:81], s[82:83]
	s_mov_b64 exec, s[82:83]
	s_cbranch_execz .LBB24_385
; %bb.384:                              ;   in Loop: Header=BB24_13 Depth=1
	buffer_load_dword v0, off, s[0:3], 0 offset:20 ; 4-byte Folded Reload
	v_readlane_b32 s82, v254, 0
	s_waitcnt vmcnt(0)
	ds_read_b32 v4, v0 offset:11140
	ds_read_b32 v2, v244 offset:7616
	v_mad_u64_u32 v[0:1], s[82:83], s82, v81, v[34:35]
	v_ashrrev_i32_e32 v1, 31, v0
	v_lshlrev_b64 v[0:1], 3, v[0:1]
	v_readlane_b32 s82, v254, 20
	v_add_co_u32_e32 v0, vcc, s99, v0
	v_mov_b32_e32 v3, s82
	v_addc_co_u32_e32 v1, vcc, v3, v1, vcc
	s_waitcnt lgkmcnt(0)
	v_cvt_f32_f16_sdwa v3, v2 dst_sel:DWORD dst_unused:UNUSED_PAD src0_sel:WORD_1
	v_cvt_f32_f16_e32 v2, v2
	v_pk_add_f32 v[2:3], v[2:3], 0 op_sel_hi:[1,0]
	v_div_scale_f32 v5, s[82:83], v4, v4, v3
	v_rcp_f32_e32 v6, v5
	v_fma_f32 v7, -v5, v6, 1.0
	v_fmac_f32_e32 v6, v7, v6
	v_div_scale_f32 v7, vcc, v3, v4, v3
	v_mul_f32_e32 v8, v7, v6
	v_fma_f32 v9, -v5, v8, v7
	v_fmac_f32_e32 v8, v9, v6
	v_fma_f32 v5, -v5, v8, v7
	v_div_fmas_f32 v5, v5, v6, v8
	v_div_fixup_f32 v3, v5, v4, v3
	v_div_scale_f32 v5, s[82:83], v4, v4, v2
	v_rcp_f32_e32 v6, v5
	v_fma_f32 v7, -v5, v6, 1.0
	v_fmac_f32_e32 v6, v7, v6
	v_div_scale_f32 v7, vcc, v2, v4, v2
	v_mul_f32_e32 v8, v7, v6
	v_fma_f32 v9, -v5, v8, v7
	v_fmac_f32_e32 v8, v9, v6
	v_fma_f32 v5, -v5, v8, v7
	v_div_fmas_f32 v5, v5, v6, v8
	v_div_fixup_f32 v2, v5, v4, v2
	global_store_dwordx2 v[0:1], v[2:3], off
	v_mov_b32_e32 v0, 0
.LBB24_385:                             ;   in Loop: Header=BB24_13 Depth=1
	;; [unrolled: 63-line block ×3, first 2 shown]
	s_or_b64 exec, exec, s[82:83]
	v_cmp_gt_i32_e32 vcc, 50, v0
	s_mov_b64 s[86:87], -1
	s_and_saveexec_b64 s[82:83], vcc
; %bb.391:                              ;   in Loop: Header=BB24_13 Depth=1
	v_cmp_eq_u32_e32 vcc, 0, v0
	s_orn2_b64 s[86:87], vcc, exec
; %bb.392:                              ;   in Loop: Header=BB24_13 Depth=1
	s_or_b64 exec, exec, s[82:83]
	s_mov_b64 s[84:85], s[8:9]
                                        ; implicit-def: $vgpr2_vgpr3
	s_and_saveexec_b64 s[82:83], s[86:87]
	s_cbranch_execz .LBB24_414
; %bb.393:                              ;   in Loop: Header=BB24_13 Depth=1
	v_mov_b32_e32 v0, 50
	s_mov_b64 s[84:85], exec
	v_readlane_b32 s86, v254, 62
	v_readlane_b32 s87, v254, 63
	s_and_b64 s[86:87], s[84:85], s[86:87]
	s_mov_b64 exec, s[86:87]
	s_cbranch_execz .LBB24_395
; %bb.394:                              ;   in Loop: Header=BB24_13 Depth=1
	buffer_load_dword v0, off, s[0:3], 0 offset:124 ; 4-byte Folded Reload
	v_readlane_b32 s86, v254, 0
	s_waitcnt vmcnt(0)
	ds_read_b32 v4, v0 offset:260
	buffer_load_dword v0, off, s[0:3], 0 offset:120 ; 4-byte Folded Reload
	s_waitcnt vmcnt(0)
	ds_read_b32 v2, v0
	v_mad_u64_u32 v[0:1], s[86:87], s86, v77, v[34:35]
	v_ashrrev_i32_e32 v1, 31, v0
	v_lshlrev_b64 v[0:1], 3, v[0:1]
	v_readlane_b32 s86, v254, 20
	v_add_co_u32_e32 v0, vcc, s99, v0
	v_mov_b32_e32 v3, s86
	v_addc_co_u32_e32 v1, vcc, v3, v1, vcc
	s_waitcnt lgkmcnt(0)
	v_cvt_f32_f16_sdwa v3, v2 dst_sel:DWORD dst_unused:UNUSED_PAD src0_sel:WORD_1
	v_cvt_f32_f16_e32 v2, v2
	v_pk_add_f32 v[2:3], v[2:3], 0 op_sel_hi:[1,0]
	v_div_scale_f32 v5, s[86:87], v4, v4, v3
	v_rcp_f32_e32 v6, v5
	v_fma_f32 v7, -v5, v6, 1.0
	v_fmac_f32_e32 v6, v7, v6
	v_div_scale_f32 v7, vcc, v3, v4, v3
	v_mul_f32_e32 v8, v7, v6
	v_fma_f32 v9, -v5, v8, v7
	v_fmac_f32_e32 v8, v9, v6
	v_fma_f32 v5, -v5, v8, v7
	v_div_fmas_f32 v5, v5, v6, v8
	v_div_fixup_f32 v3, v5, v4, v3
	v_div_scale_f32 v5, s[86:87], v4, v4, v2
	v_rcp_f32_e32 v6, v5
	v_fma_f32 v7, -v5, v6, 1.0
	v_fmac_f32_e32 v6, v7, v6
	v_div_scale_f32 v7, vcc, v2, v4, v2
	v_mul_f32_e32 v8, v7, v6
	v_fma_f32 v9, -v5, v8, v7
	v_fmac_f32_e32 v8, v9, v6
	v_fma_f32 v5, -v5, v8, v7
	v_div_fmas_f32 v5, v5, v6, v8
	v_div_fixup_f32 v2, v5, v4, v2
	global_store_dwordx2 v[0:1], v[2:3], off
	v_mov_b32_e32 v0, 0
.LBB24_395:                             ;   in Loop: Header=BB24_13 Depth=1
	s_or_b64 exec, exec, s[84:85]
	v_cmp_gt_i32_e32 vcc, 50, v0
	s_mov_b64 s[88:89], -1
	s_and_saveexec_b64 s[84:85], vcc
; %bb.396:                              ;   in Loop: Header=BB24_13 Depth=1
	v_cmp_eq_u32_e32 vcc, 0, v0
	s_orn2_b64 s[88:89], vcc, exec
; %bb.397:                              ;   in Loop: Header=BB24_13 Depth=1
	s_or_b64 exec, exec, s[84:85]
	s_mov_b64 s[86:87], s[8:9]
                                        ; implicit-def: $vgpr2_vgpr3
	s_and_saveexec_b64 s[84:85], s[88:89]
	s_cbranch_execz .LBB24_413
; %bb.398:                              ;   in Loop: Header=BB24_13 Depth=1
	v_mov_b32_e32 v0, 50
	s_mov_b64 s[86:87], exec
	v_readlane_b32 s88, v255, 0
	v_readlane_b32 s89, v255, 1
	s_and_b64 s[88:89], s[86:87], s[88:89]
	s_mov_b64 exec, s[88:89]
	s_cbranch_execz .LBB24_400
; %bb.399:                              ;   in Loop: Header=BB24_13 Depth=1
	buffer_load_dword v0, off, s[0:3], 0 offset:20 ; 4-byte Folded Reload
	v_readlane_b32 s88, v254, 0
	s_waitcnt vmcnt(0)
	ds_read_b32 v4, v0 offset:14404
	ds_read_b32 v2, v244 offset:10880
	v_mad_u64_u32 v[0:1], s[88:89], s88, v75, v[34:35]
	v_ashrrev_i32_e32 v1, 31, v0
	v_lshlrev_b64 v[0:1], 3, v[0:1]
	v_readlane_b32 s88, v254, 20
	v_add_co_u32_e32 v0, vcc, s99, v0
	v_mov_b32_e32 v3, s88
	v_addc_co_u32_e32 v1, vcc, v3, v1, vcc
	s_waitcnt lgkmcnt(0)
	v_cvt_f32_f16_sdwa v3, v2 dst_sel:DWORD dst_unused:UNUSED_PAD src0_sel:WORD_1
	v_cvt_f32_f16_e32 v2, v2
	v_pk_add_f32 v[2:3], v[2:3], 0 op_sel_hi:[1,0]
	v_div_scale_f32 v5, s[88:89], v4, v4, v3
	v_rcp_f32_e32 v6, v5
	v_fma_f32 v7, -v5, v6, 1.0
	v_fmac_f32_e32 v6, v7, v6
	v_div_scale_f32 v7, vcc, v3, v4, v3
	v_mul_f32_e32 v8, v7, v6
	v_fma_f32 v9, -v5, v8, v7
	v_fmac_f32_e32 v8, v9, v6
	v_fma_f32 v5, -v5, v8, v7
	v_div_fmas_f32 v5, v5, v6, v8
	v_div_fixup_f32 v3, v5, v4, v3
	v_div_scale_f32 v5, s[88:89], v4, v4, v2
	v_rcp_f32_e32 v6, v5
	v_fma_f32 v7, -v5, v6, 1.0
	v_fmac_f32_e32 v6, v7, v6
	v_div_scale_f32 v7, vcc, v2, v4, v2
	v_mul_f32_e32 v8, v7, v6
	v_fma_f32 v9, -v5, v8, v7
	v_fmac_f32_e32 v8, v9, v6
	v_fma_f32 v5, -v5, v8, v7
	v_div_fmas_f32 v5, v5, v6, v8
	v_div_fixup_f32 v2, v5, v4, v2
	global_store_dwordx2 v[0:1], v[2:3], off
	v_mov_b32_e32 v0, 0
.LBB24_400:                             ;   in Loop: Header=BB24_13 Depth=1
	s_or_b64 exec, exec, s[86:87]
	v_cmp_gt_i32_e32 vcc, 50, v0
	s_mov_b64 s[90:91], -1
	s_and_saveexec_b64 s[86:87], vcc
; %bb.401:                              ;   in Loop: Header=BB24_13 Depth=1
	v_cmp_eq_u32_e32 vcc, 0, v0
	s_orn2_b64 s[90:91], vcc, exec
; %bb.402:                              ;   in Loop: Header=BB24_13 Depth=1
	s_or_b64 exec, exec, s[86:87]
	s_mov_b64 s[88:89], s[8:9]
                                        ; implicit-def: $vgpr2_vgpr3
	s_and_saveexec_b64 s[86:87], s[90:91]
	s_cbranch_execz .LBB24_412
; %bb.403:                              ;   in Loop: Header=BB24_13 Depth=1
	v_mov_b32_e32 v0, 50
	s_mov_b64 s[88:89], exec
	v_readlane_b32 s90, v255, 2
	v_readlane_b32 s91, v255, 3
	s_and_b64 s[90:91], s[88:89], s[90:91]
	s_mov_b64 exec, s[90:91]
	s_cbranch_execz .LBB24_405
; %bb.404:                              ;   in Loop: Header=BB24_13 Depth=1
	buffer_load_dword v0, off, s[0:3], 0 offset:20 ; 4-byte Folded Reload
	v_readlane_b32 s90, v254, 0
	s_waitcnt vmcnt(0)
	ds_read_b32 v4, v0 offset:15492
	ds_read_b32 v2, v244 offset:11968
	v_mad_u64_u32 v[0:1], s[90:91], s90, v73, v[34:35]
	v_ashrrev_i32_e32 v1, 31, v0
	v_lshlrev_b64 v[0:1], 3, v[0:1]
	v_readlane_b32 s90, v254, 20
	v_add_co_u32_e32 v0, vcc, s99, v0
	v_mov_b32_e32 v3, s90
	v_addc_co_u32_e32 v1, vcc, v3, v1, vcc
	s_waitcnt lgkmcnt(0)
	v_cvt_f32_f16_sdwa v3, v2 dst_sel:DWORD dst_unused:UNUSED_PAD src0_sel:WORD_1
	v_cvt_f32_f16_e32 v2, v2
	v_pk_add_f32 v[2:3], v[2:3], 0 op_sel_hi:[1,0]
	v_div_scale_f32 v5, s[90:91], v4, v4, v3
	v_rcp_f32_e32 v6, v5
	v_fma_f32 v7, -v5, v6, 1.0
	v_fmac_f32_e32 v6, v7, v6
	v_div_scale_f32 v7, vcc, v3, v4, v3
	v_mul_f32_e32 v8, v7, v6
	v_fma_f32 v9, -v5, v8, v7
	v_fmac_f32_e32 v8, v9, v6
	v_fma_f32 v5, -v5, v8, v7
	v_div_fmas_f32 v5, v5, v6, v8
	v_div_fixup_f32 v3, v5, v4, v3
	v_div_scale_f32 v5, s[90:91], v4, v4, v2
	v_rcp_f32_e32 v6, v5
	v_fma_f32 v7, -v5, v6, 1.0
	v_fmac_f32_e32 v6, v7, v6
	v_div_scale_f32 v7, vcc, v2, v4, v2
	v_mul_f32_e32 v8, v7, v6
	v_fma_f32 v9, -v5, v8, v7
	v_fmac_f32_e32 v8, v9, v6
	v_fma_f32 v5, -v5, v8, v7
	v_div_fmas_f32 v5, v5, v6, v8
	v_div_fixup_f32 v2, v5, v4, v2
	global_store_dwordx2 v[0:1], v[2:3], off
	v_mov_b32_e32 v0, 0
.LBB24_405:                             ;   in Loop: Header=BB24_13 Depth=1
	s_or_b64 exec, exec, s[88:89]
	v_cmp_gt_i32_e32 vcc, 50, v0
	s_mov_b64 s[92:93], -1
	s_and_saveexec_b64 s[88:89], vcc
; %bb.406:                              ;   in Loop: Header=BB24_13 Depth=1
	v_cmp_eq_u32_e32 vcc, 0, v0
	s_orn2_b64 s[92:93], vcc, exec
; %bb.407:                              ;   in Loop: Header=BB24_13 Depth=1
	s_or_b64 exec, exec, s[88:89]
	s_mov_b64 s[90:91], s[8:9]
                                        ; implicit-def: $vgpr2_vgpr3
	s_and_saveexec_b64 s[88:89], s[92:93]
	s_cbranch_execz .LBB24_411
; %bb.408:                              ;   in Loop: Header=BB24_13 Depth=1
	s_mov_b64 s[92:93], s[8:9]
                                        ; implicit-def: $vgpr2_vgpr3
	s_mov_b64 s[90:91], exec
	v_readlane_b32 s94, v255, 4
	v_readlane_b32 s95, v255, 5
	s_and_b64 s[94:95], s[90:91], s[94:95]
	s_mov_b64 exec, s[94:95]
	s_cbranch_execz .LBB24_410
; %bb.409:                              ;   in Loop: Header=BB24_13 Depth=1
	buffer_load_dword v0, off, s[0:3], 0 offset:20 ; 4-byte Folded Reload
	s_waitcnt vmcnt(0)
	ds_read_b32 v2, v0 offset:16580
	ds_read_b32 v0, v244 offset:13056
	s_waitcnt lgkmcnt(0)
	v_cvt_f32_f16_sdwa v1, v0 dst_sel:DWORD dst_unused:UNUSED_PAD src0_sel:WORD_1
	v_cvt_f32_f16_e32 v0, v0
	v_pk_add_f32 v[0:1], v[0:1], 0 op_sel_hi:[1,0]
	v_div_scale_f32 v3, s[92:93], v2, v2, v1
	v_rcp_f32_e32 v4, v3
	v_fma_f32 v5, -v3, v4, 1.0
	v_fmac_f32_e32 v4, v5, v4
	v_div_scale_f32 v5, vcc, v1, v2, v1
	v_mul_f32_e32 v6, v5, v4
	v_fma_f32 v7, -v3, v6, v5
	v_fmac_f32_e32 v6, v7, v4
	v_fma_f32 v3, -v3, v6, v5
	v_div_fmas_f32 v3, v3, v4, v6
	v_div_fixup_f32 v3, v3, v2, v1
	v_div_scale_f32 v1, s[92:93], v2, v2, v0
	v_rcp_f32_e32 v4, v1
	s_or_b64 s[92:93], s[8:9], exec
	v_fma_f32 v5, -v1, v4, 1.0
	v_fmac_f32_e32 v4, v5, v4
	v_div_scale_f32 v5, vcc, v0, v2, v0
	v_mul_f32_e32 v6, v5, v4
	v_fma_f32 v7, -v1, v6, v5
	v_fmac_f32_e32 v6, v7, v4
	v_fma_f32 v1, -v1, v6, v5
	v_div_fmas_f32 v1, v1, v4, v6
	v_div_fixup_f32 v2, v1, v2, v0
.LBB24_410:                             ;   in Loop: Header=BB24_13 Depth=1
	s_or_b64 exec, exec, s[90:91]
	s_andn2_b64 s[90:91], s[8:9], exec
	s_and_b64 s[92:93], s[92:93], exec
	s_or_b64 s[90:91], s[90:91], s[92:93]
	v_readlane_b32 s94, v254, 35
	v_readlane_b32 s95, v254, 36
.LBB24_411:                             ;   in Loop: Header=BB24_13 Depth=1
	s_or_b64 exec, exec, s[88:89]
	s_andn2_b64 s[88:89], s[8:9], exec
	s_and_b64 s[90:91], s[90:91], exec
	s_or_b64 s[88:89], s[88:89], s[90:91]
.LBB24_412:                             ;   in Loop: Header=BB24_13 Depth=1
	s_or_b64 exec, exec, s[86:87]
	s_andn2_b64 s[86:87], s[8:9], exec
	s_and_b64 s[88:89], s[88:89], exec
	s_or_b64 s[86:87], s[86:87], s[88:89]
.LBB24_413:                             ;   in Loop: Header=BB24_13 Depth=1
	s_or_b64 exec, exec, s[84:85]
	s_andn2_b64 s[84:85], s[8:9], exec
	s_and_b64 s[86:87], s[86:87], exec
	s_or_b64 s[84:85], s[84:85], s[86:87]
.LBB24_414:                             ;   in Loop: Header=BB24_13 Depth=1
	s_or_b64 exec, exec, s[82:83]
	s_andn2_b64 s[82:83], s[8:9], exec
	s_and_b64 s[84:85], s[84:85], exec
	s_or_b64 s[82:83], s[82:83], s[84:85]
.LBB24_415:                             ;   in Loop: Header=BB24_13 Depth=1
	s_or_b64 exec, exec, s[80:81]
	s_andn2_b64 s[80:81], s[8:9], exec
	s_and_b64 s[82:83], s[82:83], exec
	s_or_b64 s[80:81], s[80:81], s[82:83]
.LBB24_416:                             ;   in Loop: Header=BB24_13 Depth=1
	s_or_b64 exec, exec, s[78:79]
	s_andn2_b64 s[78:79], s[8:9], exec
	s_and_b64 s[80:81], s[80:81], exec
	s_or_b64 s[78:79], s[78:79], s[80:81]
.LBB24_417:                             ;   in Loop: Header=BB24_13 Depth=1
	s_or_b64 exec, exec, s[76:77]
	s_andn2_b64 s[76:77], s[8:9], exec
	s_and_b64 s[78:79], s[78:79], exec
	s_or_b64 s[76:77], s[76:77], s[78:79]
.LBB24_418:                             ;   in Loop: Header=BB24_13 Depth=1
	s_or_b64 exec, exec, s[58:59]
	s_andn2_b64 s[58:59], s[8:9], exec
	s_and_b64 s[76:77], s[76:77], exec
	s_or_b64 s[58:59], s[58:59], s[76:77]
.LBB24_419:                             ;   in Loop: Header=BB24_13 Depth=1
	s_or_b64 exec, exec, s[54:55]
	s_andn2_b64 s[54:55], s[8:9], exec
	s_and_b64 s[58:59], s[58:59], exec
	s_or_b64 s[54:55], s[54:55], s[58:59]
.LBB24_420:                             ;   in Loop: Header=BB24_13 Depth=1
	s_or_b64 exec, exec, s[52:53]
	s_andn2_b64 s[52:53], s[8:9], exec
	s_and_b64 s[54:55], s[54:55], exec
	s_or_b64 s[52:53], s[52:53], s[54:55]
.LBB24_421:                             ;   in Loop: Header=BB24_13 Depth=1
	s_or_b64 exec, exec, s[50:51]
	s_andn2_b64 s[50:51], s[8:9], exec
	s_and_b64 s[52:53], s[52:53], exec
	s_or_b64 s[50:51], s[50:51], s[52:53]
.LBB24_422:                             ;   in Loop: Header=BB24_13 Depth=1
	s_or_b64 exec, exec, s[48:49]
	s_andn2_b64 s[48:49], s[8:9], exec
	s_and_b64 s[50:51], s[50:51], exec
	s_or_b64 s[48:49], s[48:49], s[50:51]
.LBB24_423:                             ;   in Loop: Header=BB24_13 Depth=1
	s_or_b64 exec, exec, s[46:47]
	s_andn2_b64 s[46:47], s[8:9], exec
	s_and_b64 s[48:49], s[48:49], exec
	s_or_b64 s[46:47], s[46:47], s[48:49]
.LBB24_424:                             ;   in Loop: Header=BB24_13 Depth=1
	s_or_b64 exec, exec, s[44:45]
	s_andn2_b64 s[8:9], s[8:9], exec
	s_and_b64 s[44:45], s[46:47], exec
	s_or_b64 s[8:9], s[8:9], s[44:45]
.LBB24_425:                             ;   in Loop: Header=BB24_13 Depth=1
	s_or_b64 exec, exec, s[42:43]
	s_and_saveexec_b64 s[42:43], s[8:9]
	s_cbranch_execz .LBB24_12
.LBB24_426:                             ;   in Loop: Header=BB24_13 Depth=1
	v_readlane_b32 s8, v254, 0
	v_mad_u64_u32 v[0:1], s[8:9], s8, v249, v[34:35]
	v_ashrrev_i32_e32 v1, 31, v0
	v_lshlrev_b64 v[0:1], 3, v[0:1]
	v_readlane_b32 s8, v254, 20
	v_mov_b32_e32 v4, s8
	v_add_co_u32_e32 v0, vcc, s99, v0
	v_addc_co_u32_e32 v1, vcc, v4, v1, vcc
	global_store_dwordx2 v[0:1], v[2:3], off
	s_branch .LBB24_12
.LBB24_427:
	s_andn2_b64 vcc, exec, s[8:9]
	s_cbranch_vccnz .LBB24_560
; %bb.428:
	v_readlane_b32 s11, v253, 7
	s_abs_i32 s4, s11
	v_cvt_f32_u32_e32 v0, s4
	s_sub_i32 s7, 0, s4
	s_abs_i32 s6, s94
	s_xor_b32 s5, s94, s11
	v_rcp_iflag_f32_e32 v0, v0
	s_ashr_i32 s5, s5, 31
	v_readlane_b32 s12, v253, 6
	v_readlane_b32 s13, v253, 3
	v_mul_f32_e32 v0, 0x4f7ffffe, v0
	v_cvt_u32_f32_e32 v0, v0
	v_readlane_b32 s16, v253, 31
	v_readlane_b32 s22, v253, 37
	;; [unrolled: 1-line block ×3, first 2 shown]
	v_readfirstlane_b32 s8, v0
	s_mul_i32 s7, s7, s8
	s_mul_hi_u32 s7, s8, s7
	s_add_i32 s8, s8, s7
	s_mul_hi_u32 s7, s6, s8
	s_mul_i32 s8, s7, s4
	s_sub_i32 s6, s6, s8
	s_add_i32 s9, s7, 1
	s_sub_i32 s8, s6, s4
	s_cmp_ge_u32 s6, s4
	s_cselect_b32 s7, s9, s7
	s_cselect_b32 s6, s8, s6
	s_add_i32 s8, s7, 1
	s_cmp_ge_u32 s6, s4
	s_cselect_b32 s4, s8, s7
	s_abs_i32 s6, s12
	v_cvt_f32_u32_e32 v0, s6
	s_xor_b32 s4, s4, s5
	s_sub_i32 s7, 0, s6
	s_sub_i32 s10, s4, s5
	v_rcp_iflag_f32_e32 v0, v0
	s_mul_i32 s4, s10, s11
	s_sub_i32 s4, s94, s4
	s_abs_i32 s8, s4
	v_mul_f32_e32 v0, 0x4f7ffffe, v0
	v_cvt_u32_f32_e32 v0, v0
	s_xor_b32 s5, s4, s12
	s_ashr_i32 s5, s5, 31
	s_mov_b64 s[46:47], 0
	v_readfirstlane_b32 s9, v0
	s_mul_i32 s7, s7, s9
	s_mul_hi_u32 s7, s9, s7
	s_add_i32 s9, s9, s7
	s_mul_hi_u32 s7, s8, s9
	s_mul_i32 s9, s7, s6
	s_sub_i32 s8, s8, s9
	s_add_i32 s11, s7, 1
	s_sub_i32 s9, s8, s6
	s_cmp_ge_u32 s8, s6
	s_cselect_b32 s7, s11, s7
	s_cselect_b32 s8, s9, s8
	s_add_i32 s9, s7, 1
	s_cmp_ge_u32 s8, s6
	s_cselect_b32 s6, s9, s7
	s_abs_i32 s7, s13
	v_cvt_f32_u32_e32 v0, s7
	s_xor_b32 s6, s6, s5
	s_sub_i32 s8, 0, s7
	s_sub_i32 s11, s6, s5
	v_rcp_iflag_f32_e32 v0, v0
	s_mul_i32 s5, s11, s12
	s_sub_i32 s5, s4, s5
	s_abs_i32 s6, s5
	v_mul_f32_e32 v0, 0x4f7ffffe, v0
	v_cvt_u32_f32_e32 v0, v0
	s_xor_b32 s4, s5, s13
	s_ashr_i32 s4, s4, 31
	v_readlane_b32 s17, v253, 32
	v_readfirstlane_b32 s9, v0
	s_mul_i32 s8, s8, s9
	s_mul_hi_u32 s8, s9, s8
	s_add_i32 s9, s9, s8
	s_mul_hi_u32 s8, s6, s9
	s_mul_i32 s9, s8, s7
	s_sub_i32 s6, s6, s9
	s_add_i32 s12, s8, 1
	s_sub_i32 s9, s6, s7
	s_cmp_ge_u32 s6, s7
	s_cselect_b32 s8, s12, s8
	s_cselect_b32 s6, s9, s6
	s_add_i32 s9, s8, 1
	s_cmp_ge_u32 s6, s7
	s_cselect_b32 s6, s9, s8
	s_xor_b32 s6, s6, s4
	s_sub_i32 s4, s6, s4
	s_mul_i32 s6, s4, s13
	s_sub_i32 s5, s5, s6
	s_abs_i32 s14, s5
	s_ashr_i32 s12, s10, 31
	s_mul_hi_u32 s13, s14, s64
	s_cmp_eq_u64 s[22:23], 0
	v_readlane_b32 s18, v253, 33
	v_readlane_b32 s19, v253, 34
	;; [unrolled: 1-line block ×12, first 2 shown]
	s_cbranch_scc1 .LBB24_430
; %bb.429:
	v_readlane_b32 s6, v253, 51
	s_abs_i32 s6, s6
	v_cvt_f32_u32_e32 v0, s6
	s_sub_i32 s8, 0, s6
	v_readlane_b32 s7, v253, 52
	s_abs_i32 s7, s10
	v_rcp_iflag_f32_e32 v0, v0
	v_readlane_b32 s16, v253, 21
	v_readlane_b32 s17, v253, 22
	v_mul_f32_e32 v0, 0x4f7ffffe, v0
	v_cvt_u32_f32_e32 v0, v0
	v_readfirstlane_b32 s9, v0
	s_mul_i32 s8, s8, s9
	s_mul_hi_u32 s8, s9, s8
	s_add_i32 s9, s9, s8
	s_mul_hi_u32 s8, s7, s9
	s_mul_i32 s8, s8, s6
	s_sub_i32 s7, s7, s8
	s_sub_i32 s8, s7, s6
	s_cmp_ge_u32 s7, s6
	s_cselect_b32 s7, s8, s7
	s_sub_i32 s8, s7, s6
	s_cmp_ge_u32 s7, s6
	s_cselect_b32 s6, s8, s7
	s_xor_b32 s6, s6, s12
	s_sub_i32 s6, s6, s12
	s_ashr_i32 s7, s6, 31
	s_mul_i32 s8, s6, s17
	s_mul_hi_u32 s9, s6, s16
	s_add_i32 s8, s9, s8
	s_mul_i32 s7, s7, s16
	s_add_i32 s8, s8, s7
	s_mul_i32 s6, s6, s16
	s_add_u32 s46, s22, s6
	s_addc_u32 s47, s23, s8
.LBB24_430:
	s_ashr_i32 s16, s5, 31
	v_readlane_b32 s5, v253, 2
	s_mul_i32 s15, s11, s5
	s_add_i32 s15, s15, s4
	v_readlane_b32 s4, v253, 47
	v_readlane_b32 s5, v253, 48
	s_mov_b32 s17, s5
	v_cmp_le_f32_e64 s[4:5], s17, 0
	v_readlane_b32 s6, v253, 49
	v_readlane_b32 s7, v253, 50
	s_and_b64 vcc, exec, s[4:5]
	v_mov_b32_e32 v36, 1.0
	s_cbranch_vccnz .LBB24_432
; %bb.431:
	v_readlane_b32 s5, v253, 18
	s_sub_i32 s4, s15, s5
	s_lshl_b32 s4, s4, 1
	s_mov_b64 s[18:19], s[6:7]
	s_add_i32 s6, s15, 1
	s_or_b32 s7, s4, 1
	s_cmp_lt_u32 s15, s5
	s_cselect_b64 vcc, -1, 0
	s_and_b64 s[4:5], vcc, exec
	v_mov_b32_e32 v0, s19
	v_mov_b32_e32 v1, s18
	s_cselect_b32 s4, s6, s7
	v_cndmask_b32_e32 v16, v0, v1, vcc
	v_cvt_f32_i32_e32 v0, s4
	v_cmp_neq_f32_e32 vcc, 1.0, v16
	s_mov_b32 s4, 0x3f2aaaab
	s_movk_i32 s6, 0x204
	v_cndmask_b32_e32 v17, 1.0, v0, vcc
	v_cmp_eq_f32_e32 vcc, 0, v17
	v_cndmask_b32_e64 v18, |v16|, 1.0, vcc
	v_frexp_mant_f32_e32 v0, v18
	v_cmp_gt_f32_e64 s[4:5], s4, v0
	v_cndmask_b32_e64 v1, 1.0, 2.0, s[4:5]
	v_mul_f32_e32 v0, v0, v1
	v_add_f32_e32 v3, 1.0, v0
	v_rcp_f32_e32 v8, v3
	v_add_f32_e32 v1, -1.0, v3
	v_sub_f32_e32 v5, v0, v1
	v_add_f32_e32 v1, -1.0, v0
	v_mul_f32_e32 v9, v1, v8
	v_mul_f32_e32 v2, v3, v9
	v_fma_f32 v4, v9, v3, -v2
	v_fmac_f32_e32 v4, v9, v5
	v_add_f32_e32 v0, v2, v4
	v_sub_f32_e32 v3, v1, v0
	v_pk_add_f32 v[6:7], v[0:1], v[2:3] neg_lo:[0,1] neg_hi:[0,1]
	v_mov_b32_e32 v5, v0
	v_pk_add_f32 v[0:1], v[6:7], v[4:5] neg_lo:[0,1] neg_hi:[0,1]
	v_add_f32_e32 v0, v0, v1
	v_add_f32_e32 v0, v3, v0
	v_mul_f32_e32 v1, v8, v0
	v_add_f32_e32 v0, v9, v1
	v_sub_f32_e32 v2, v0, v9
	v_sub_f32_e32 v10, v1, v2
	v_mul_f32_e32 v1, v0, v0
	v_fma_f32 v3, v0, v0, -v1
	v_add_f32_e32 v2, v10, v10
	v_fmac_f32_e32 v3, v0, v2
	v_add_f32_e32 v2, v1, v3
	v_mov_b32_e32 v4, 0x3e91f4c4
	v_fmac_f32_e32 v4, 0x3e76c4e1, v2
	v_mov_b32_e32 v5, 0x3ecccdef
	v_fmac_f32_e32 v5, v2, v4
	v_sub_f32_e32 v1, v2, v1
	v_sub_f32_e32 v11, v3, v1
	v_mul_f32_e32 v1, v2, v5
	v_fma_f32 v3, v2, v5, -v1
	v_fmac_f32_e32 v3, v11, v5
	v_add_f32_e32 v4, v1, v3
	v_add_f32_e32 v5, 0x3f2aaaaa, v4
	v_sub_f32_e32 v1, v4, v1
	v_sub_f32_e32 v1, v3, v1
	v_add_f32_e32 v3, 0xbf2aaaaa, v5
	v_add_f32_e32 v1, 0x31739010, v1
	v_sub_f32_e32 v3, v4, v3
	v_pk_mul_f32 v[6:7], v[0:1], v[2:3]
	v_fma_f32 v4, v2, v0, -v6
	v_pk_add_f32 v[8:9], v[0:1], v[2:3]
	v_fmac_f32_e32 v4, v2, v10
	v_mov_b32_e32 v7, v9
	v_fmac_f32_e32 v4, v11, v0
	v_pk_add_f32 v[2:3], v[6:7], v[4:5]
	v_sub_f32_e32 v1, v2, v6
	v_sub_f32_e32 v1, v4, v1
	;; [unrolled: 1-line block ×3, first 2 shown]
	v_add_f32_e32 v7, v9, v4
	v_mov_b32_e32 v4, v3
	v_pk_mul_f32 v[4:5], v[2:3], v[4:5]
	v_cvt_f64_f32_e32 v[8:9], v18
	v_frexp_exp_i32_f64_e32 v5, v[8:9]
	v_subbrev_co_u32_e64 v5, s[4:5], 0, v5, s[4:5]
	v_cvt_f32_i32_e32 v5, v5
	v_fma_f32 v6, v2, v3, -v4
	v_fmac_f32_e32 v6, v2, v7
	s_mov_b32 s4, 0x3f317218
	v_mul_f32_e32 v2, 0x3f317218, v5
	v_fmac_f32_e32 v6, v1, v3
	v_fma_f32 v8, v5, s4, -v2
	v_fmac_f32_e32 v8, 0xb102e308, v5
	v_ldexp_f32 v9, v0, 1
	v_add_f32_e32 v3, v4, v6
	v_pk_add_f32 v[0:1], v[2:3], v[8:9]
	v_ldexp_f32 v12, v10, 1
	v_mov_b32_e32 v10, v3
	v_mov_b32_e32 v11, v1
	;; [unrolled: 1-line block ×3, first 2 shown]
	v_pk_add_f32 v[4:5], v[10:11], v[4:5] neg_lo:[0,1] neg_hi:[0,1]
	v_mov_b32_e32 v7, v3
	v_pk_add_f32 v[4:5], v[6:7], v[4:5] neg_lo:[0,1] neg_hi:[0,1]
	v_add_f32_e32 v3, v12, v4
	v_add_f32_e32 v3, v3, v5
	v_pk_add_f32 v[4:5], v[0:1], v[2:3] neg_lo:[0,1] neg_hi:[0,1]
	v_pk_add_f32 v[6:7], v[0:1], v[2:3]
	v_mov_b32_e32 v10, v4
	v_mov_b32_e32 v11, v7
	v_mov_b32_e32 v9, v0
	v_pk_add_f32 v[10:11], v[8:9], v[10:11]
	v_mov_b32_e32 v2, v11
	v_pk_add_f32 v[12:13], v[2:3], v[0:1] neg_lo:[0,1] neg_hi:[0,1]
	v_mov_b32_e32 v13, v12
	v_mov_b32_e32 v10, v7
	;; [unrolled: 1-line block ×4, first 2 shown]
	v_pk_add_f32 v[4:5], v[8:9], v[4:5] neg_lo:[0,1] neg_hi:[0,1]
	v_pk_add_f32 v[14:15], v[6:7], v[12:13] neg_lo:[0,1] neg_hi:[0,1]
	v_pk_add_f32 v[0:1], v[10:11], v[0:1] neg_lo:[0,1] neg_hi:[0,1]
	v_mov_b32_e32 v8, v3
	v_pk_add_f32 v[0:1], v[8:9], v[0:1] neg_lo:[0,1] neg_hi:[0,1]
	v_mov_b32_e32 v14, v4
	v_pk_add_f32 v[6:7], v[14:15], v[0:1]
	v_mov_b32_e32 v8, v7
	v_pk_add_f32 v[8:9], v[6:7], v[8:9]
	v_pk_add_f32 v[2:3], v[2:3], v[8:9]
	v_mov_b32_e32 v5, v11
	v_mov_b32_e32 v7, v2
	v_pk_add_f32 v[10:11], v[6:7], v[4:5] neg_lo:[0,1] neg_hi:[0,1]
	v_mov_b32_e32 v1, v8
	v_sub_f32_e32 v3, v6, v10
	v_pk_add_f32 v[0:1], v[0:1], v[10:11] neg_lo:[0,1] neg_hi:[0,1]
	v_sub_f32_e32 v3, v4, v3
	v_add_f32_e32 v0, v0, v3
	v_add_f32_e32 v0, v0, v1
	;; [unrolled: 1-line block ×3, first 2 shown]
	v_sub_f32_e32 v2, v1, v2
	v_sub_f32_e32 v0, v0, v2
	v_mul_f32_e32 v2, v17, v1
	v_fma_f32 v1, v17, v1, -v2
	v_fmac_f32_e32 v1, v17, v0
	v_add_f32_e32 v0, v2, v1
	v_cmp_class_f32_e64 s[4:5], v2, s6
	v_sub_f32_e32 v3, v0, v2
	v_cndmask_b32_e64 v0, v0, v2, s[4:5]
	s_mov_b32 s8, 0x42b17218
	v_mov_b32_e32 v2, 0x37000000
	v_cmp_eq_f32_e64 s[4:5], s8, v0
	v_cndmask_b32_e64 v2, 0, v2, s[4:5]
	v_sub_f32_e32 v1, v1, v3
	v_sub_f32_e32 v3, v0, v2
	s_mov_b32 s4, 0x3fb8aa3b
	v_mul_f32_e32 v4, 0x3fb8aa3b, v3
	v_fma_f32 v5, v3, s4, -v4
	v_rndne_f32_e32 v6, v4
	v_fmac_f32_e32 v5, 0x32a5705f, v3
	v_sub_f32_e32 v4, v4, v6
	v_add_f32_e32 v4, v4, v5
	v_exp_f32_e32 v4, v4
	v_cvt_i32_f32_e32 v5, v6
	s_mov_b32 s7, 0x7f800000
	v_cmp_neq_f32_e64 s[4:5], |v0|, s7
	v_cndmask_b32_e64 v0, 0, v1, s[4:5]
	s_mov_b32 s4, 0xc2ce8ed0
	v_ldexp_f32 v1, v4, v5
	v_cmp_ngt_f32_e64 s[4:5], s4, v3
	v_add_f32_e32 v0, v2, v0
	v_cndmask_b32_e64 v1, 0, v1, s[4:5]
	v_mov_b32_e32 v2, 0x7f800000
	v_cmp_nlt_f32_e64 s[4:5], s8, v3
	v_cndmask_b32_e64 v1, v2, v1, s[4:5]
	v_fma_f32 v0, v1, v0, v1
	v_cmp_class_f32_e64 s[4:5], v1, s6
	v_trunc_f32_e32 v3, v17
	v_cndmask_b32_e64 v0, v0, v1, s[4:5]
	v_cndmask_b32_e64 v1, v16, 1.0, vcc
	v_cmp_eq_f32_e32 vcc, v3, v17
	v_mul_f32_e32 v3, 0.5, v17
	v_trunc_f32_e32 v5, v3
	v_cmp_neq_f32_e64 s[4:5], v5, v3
	s_and_b64 s[4:5], vcc, s[4:5]
	v_cndmask_b32_e64 v3, 1.0, v1, s[4:5]
	s_brev_b32 s17, -2
	v_mov_b32_e32 v4, 0x7fc00000
	v_bfi_b32 v0, s17, v0, v3
	v_cndmask_b32_e32 v3, v4, v0, vcc
	v_cmp_gt_f32_e32 vcc, 0, v1
	v_cndmask_b32_e32 v0, v0, v3, vcc
	v_cmp_eq_f32_e32 vcc, s7, v18
	v_cmp_eq_f32_e64 s[6:7], 0, v1
	v_cmp_gt_f32_e64 s[8:9], 0, v17
	s_xor_b64 s[8:9], s[8:9], s[6:7]
	v_cndmask_b32_e64 v2, v2, 0, s[8:9]
	v_cndmask_b32_e64 v3, 0, v1, s[4:5]
	v_bfi_b32 v2, s17, v2, v3
	s_or_b64 vcc, vcc, s[6:7]
	v_cndmask_b32_e32 v0, v0, v2, vcc
	v_cmp_o_f32_e32 vcc, v1, v1
	v_cndmask_b32_e32 v36, v4, v0, vcc
.LBB24_432:
	s_mul_i32 s5, s13, s63
	v_readlane_b32 s4, v253, 29
	s_sub_i32 s5, s14, s5
	s_xor_b32 s4, s16, s4
	s_add_i32 s6, s13, 1
	s_sub_i32 s7, s5, s63
	s_cmp_ge_u32 s5, s63
	s_cselect_b32 s6, s6, s13
	s_cselect_b32 s5, s7, s5
	s_add_i32 s7, s6, 1
	s_cmp_ge_u32 s5, s63
	s_cselect_b32 s5, s7, s6
	s_xor_b32 s5, s5, s4
	v_readlane_b32 s16, v253, 31
	s_sub_i32 s4, s5, s4
	v_readlane_b32 s26, v253, 41
	v_readlane_b32 s27, v253, 42
	v_readlane_b32 s8, v253, 30
	v_readlane_b32 s17, v253, 32
	s_cmp_eq_u64 s[26:27], 0
	v_mov_b32_e32 v16, s8
	v_readlane_b32 s18, v253, 33
	v_readlane_b32 s19, v253, 34
	;; [unrolled: 1-line block ×12, first 2 shown]
	s_cbranch_scc1 .LBB24_434
; %bb.433:
	v_readlane_b32 s5, v253, 0
	s_mul_i32 s5, s10, s5
	s_add_i32 s6, s4, s5
	s_ashr_i32 s7, s6, 31
	s_lshl_b64 s[6:7], s[6:7], 2
	s_add_u32 s6, s26, s6
	s_addc_u32 s7, s27, s7
	v_mov_b32_e32 v0, 0
	global_load_dword v0, v0, s[6:7]
	s_waitcnt vmcnt(0)
	v_ashrrev_i32_e32 v1, 31, v0
	v_lshrrev_b32_e32 v1, 26, v1
	v_add_u32_e32 v0, v0, v1
	v_ashrrev_i32_e32 v0, 6, v0
	v_min_i32_e32 v16, s8, v0
.LBB24_434:
	buffer_load_dword v0, off, s[0:3], 0 offset:100 ; 4-byte Folded Reload
	v_readlane_b32 s8, v253, 10
	v_readlane_b32 s9, v253, 11
	s_mul_i32 s5, s10, s9
	s_ashr_i32 s6, s5, 31
	s_add_u32 s5, s16, s5
	s_mul_i32 s15, s15, s8
	s_addc_u32 s7, s17, s6
	s_ashr_i32 s8, s15, 31
	s_add_u32 s6, s5, s15
	s_addc_u32 s7, s7, s8
	s_lshl_b32 s8, s4, 6
	v_add_u32_e32 v107, s8, v130
	v_cmp_le_i32_e32 vcc, s60, v107
	s_waitcnt vmcnt(0)
	v_and_b32_e32 v34, 0x3ff, v0
	s_and_saveexec_b64 s[4:5], vcc
	s_xor_b64 s[4:5], exec, s[4:5]
	s_cbranch_execz .LBB24_436
; %bb.435:
	s_movk_i32 s9, 0x44
	v_mad_u32_u24 v0, v130, s9, v34
	v_lshl_add_u32 v0, v0, 2, 0
	v_mov_b32_e32 v1, 0
	ds_write_b32 v0, v1
.LBB24_436:
	s_andn2_saveexec_b64 s[4:5], s[4:5]
	s_cbranch_execz .LBB24_438
; %bb.437:
	v_mad_u64_u32 v[0:1], s[14:15], v107, s67, v[34:35]
	v_ashrrev_i32_e32 v1, 31, v0
	v_lshlrev_b64 v[0:1], 3, v[0:1]
	v_mov_b32_e32 v2, s7
	v_add_co_u32_e32 v0, vcc, s6, v0
	v_addc_co_u32_e32 v1, vcc, v2, v1, vcc
	global_load_dwordx2 v[0:1], v[0:1], off
	s_movk_i32 s9, 0x44
	v_mad_u32_u24 v2, v130, s9, v34
	s_waitcnt vmcnt(0)
	v_cvt_f16_f32_e32 v0, v0
	v_cvt_f16_f32_e32 v1, v1
	v_pack_b32_f16 v0, v0, v1
	v_pk_mul_f16 v0, v131, v0
	v_lshl_add_u32 v1, v2, 2, 0
	ds_write_b32 v1, v0
.LBB24_438:
	s_or_b64 exec, exec, s[4:5]
	v_add_u32_e32 v108, s8, v129
	v_cmp_le_i32_e32 vcc, s60, v108
	s_and_saveexec_b64 s[4:5], vcc
	s_xor_b64 s[4:5], exec, s[4:5]
	s_cbranch_execz .LBB24_440
; %bb.439:
	s_movk_i32 s9, 0x44
	v_mad_u32_u24 v0, v129, s9, v34
	v_lshl_add_u32 v0, v0, 2, 0
	v_mov_b32_e32 v1, 0
	ds_write_b32 v0, v1
.LBB24_440:
	s_andn2_saveexec_b64 s[4:5], s[4:5]
	s_cbranch_execz .LBB24_442
; %bb.441:
	v_mad_u64_u32 v[0:1], s[14:15], v108, s67, v[34:35]
	v_ashrrev_i32_e32 v1, 31, v0
	v_lshlrev_b64 v[0:1], 3, v[0:1]
	v_mov_b32_e32 v2, s7
	v_add_co_u32_e32 v0, vcc, s6, v0
	v_addc_co_u32_e32 v1, vcc, v2, v1, vcc
	global_load_dwordx2 v[0:1], v[0:1], off
	s_movk_i32 s9, 0x44
	v_mad_u32_u24 v2, v129, s9, v34
	s_waitcnt vmcnt(0)
	v_cvt_f16_f32_e32 v0, v0
	v_cvt_f16_f32_e32 v1, v1
	v_pack_b32_f16 v0, v0, v1
	v_pk_mul_f16 v0, v131, v0
	v_lshl_add_u32 v1, v2, 2, 0
	ds_write_b32 v1, v0
.LBB24_442:
	s_or_b64 exec, exec, s[4:5]
	v_add_u32_e32 v109, s8, v128
	v_cmp_le_i32_e32 vcc, s60, v109
	;; [unrolled: 33-line block ×15, first 2 shown]
	s_and_saveexec_b64 s[4:5], vcc
	s_xor_b64 s[4:5], exec, s[4:5]
	s_cbranch_execz .LBB24_496
; %bb.495:
	s_movk_i32 s8, 0x44
	v_mad_u32_u24 v0, v204, s8, v34
	v_lshl_add_u32 v0, v0, 2, 0
	v_mov_b32_e32 v1, 0
	ds_write_b32 v0, v1
                                        ; implicit-def: $vgpr131
.LBB24_496:
	s_andn2_saveexec_b64 s[4:5], s[4:5]
	s_cbranch_execz .LBB24_498
; %bb.497:
	v_mad_u64_u32 v[0:1], s[8:9], v144, s67, v[34:35]
	v_ashrrev_i32_e32 v1, 31, v0
	v_lshlrev_b64 v[0:1], 3, v[0:1]
	v_mov_b32_e32 v2, s7
	v_add_co_u32_e32 v0, vcc, s6, v0
	v_addc_co_u32_e32 v1, vcc, v2, v1, vcc
	global_load_dwordx2 v[0:1], v[0:1], off
	s_movk_i32 s6, 0x44
	v_mad_u32_u24 v2, v204, s6, v34
	s_waitcnt vmcnt(0)
	v_cvt_f16_f32_e32 v0, v0
	v_cvt_f16_f32_e32 v1, v1
	v_pack_b32_f16 v0, v0, v1
	v_pk_mul_f16 v0, v131, v0
	v_lshl_add_u32 v1, v2, 2, 0
	ds_write_b32 v1, v0
.LBB24_498:
	s_or_b64 exec, exec, s[4:5]
	v_readlane_b32 s6, v253, 19
	v_readlane_b32 s7, v253, 20
	s_mul_i32 s4, s10, s7
	s_mul_hi_u32 s5, s10, s6
	v_readlane_b32 s16, v253, 31
	s_add_i32 s4, s5, s4
	s_mul_i32 s5, s12, s6
	v_readlane_b32 s17, v253, 32
	v_readlane_b32 s20, v253, 35
	;; [unrolled: 1-line block ×3, first 2 shown]
	s_add_i32 s4, s4, s5
	s_mul_i32 s5, s10, s6
	s_mov_b64 s[16:17], s[20:21]
	v_readlane_b32 s18, v253, 33
	v_readlane_b32 s19, v253, 34
	s_add_u32 s5, s16, s5
	s_mov_b64 s[14:15], s[18:19]
	s_addc_u32 s4, s17, s4
	v_readlane_b32 s16, v253, 25
	v_readlane_b32 s19, v253, 28
	s_mul_i32 s6, s11, s19
	s_ashr_i32 s7, s6, 31
	v_readlane_b32 s17, v253, 26
	s_add_u32 s33, s5, s6
	s_addc_u32 s55, s4, s7
	s_mul_i32 s4, s10, s17
	s_mul_hi_u32 s5, s10, s16
	s_add_i32 s4, s5, s4
	s_mul_i32 s12, s12, s16
	v_readlane_b32 s6, v253, 23
	s_add_i32 s4, s4, s12
	s_mul_i32 s10, s10, s16
	v_readlane_b32 s7, v253, 24
	s_add_u32 s5, s14, s10
	s_mul_i32 s11, s11, s7
	s_addc_u32 s4, s15, s4
	s_ashr_i32 s6, s11, 31
	s_add_u32 s56, s5, s11
	v_lshrrev_b32_e32 v17, 3, v34
	s_addc_u32 s57, s4, s6
	s_movk_i32 s4, 0x1100
	v_and_b32_e32 v35, 15, v34
	v_and_b32_e32 v94, 0x7e, v17
	v_mad_u32_u24 v18, v130, s4, 0
	v_mul_u32_u24_e32 v141, 0x110, v35
	v_lshlrev_b32_e32 v142, 2, v94
	v_add3_u32 v0, v18, v141, v142
	s_waitcnt lgkmcnt(0)
	s_barrier
	ds_read2_b64 v[12:15], v0 offset1:4
	ds_read2_b64 v[8:11], v0 offset0:8 offset1:12
	ds_read2_b64 v[4:7], v0 offset0:16 offset1:20
	;; [unrolled: 1-line block ×3, first 2 shown]
	v_add_u32_e32 v153, -1, v16
	v_cmp_ge_i32_e32 vcc, s54, v153
	s_mov_b32 s58, 0
	s_and_b64 vcc, exec, vcc
	v_mov_b32_e32 v149, 0
	v_lshlrev_b32_e32 v152, 1, v34
	v_mbcnt_lo_u32_b32 v104, -1, 0
	v_lshrrev_b32_e32 v148, 4, v34
	v_lshlrev_b32_e32 v147, 2, v34
	v_lshrrev_b32_e32 v105, 2, v34
	v_lshl_or_b32 v131, v130, 4, v35
	v_lshl_or_b32 v126, v17, 2, 4
	v_lshlrev_b32_e32 v95, 1, v35
	v_readlane_b32 s22, v253, 37
	v_readlane_b32 s23, v253, 38
	;; [unrolled: 1-line block ×11, first 2 shown]
	s_waitcnt lgkmcnt(0)
	s_barrier
	s_cbranch_vccnz .LBB24_514
; %bb.499:
	v_readlane_b32 s10, v253, 13
	v_mul_hi_u32 v32, s10, v133
	v_readlane_b32 s11, v253, 14
	v_add_u32_e32 v32, v133, v32
	v_lshrrev_b32_e32 v32, s11, v32
	v_mul_lo_u32 v32, v32, s60
	v_sub_u32_e32 v32, v133, v32
	v_mad_i64_i32 v[54:55], s[8:9], v32, s98, 0
	v_mul_hi_u32 v32, s10, v134
	v_add_u32_e32 v32, v134, v32
	v_lshrrev_b32_e32 v32, s11, v32
	v_mul_lo_u32 v32, v32, s60
	v_sub_u32_e32 v32, v134, v32
	v_mad_i64_i32 v[56:57], s[8:9], v32, s98, 0
	v_mul_hi_u32 v32, s10, v135
	;; [unrolled: 6-line block ×7, first 2 shown]
	v_add_u32_e32 v32, v144, v32
	v_lshrrev_b32_e32 v32, s11, v32
	v_mul_lo_u32 v32, v32, s60
	v_sub_u32_e32 v32, v144, v32
	v_mad_i64_i32 v[68:69], s[8:9], v32, s98, 0
	v_mbcnt_hi_u32_b32 v32, -1, v104
	v_mov_b32_e32 v16, s47
	v_add_co_u32_e32 v155, vcc, s46, v152
	v_and_b32_e32 v33, 64, v32
	v_addc_co_u32_e32 v156, vcc, 0, v16, vcc
	v_mul_i32_i24_e32 v19, 0xffffef90, v130
	v_add_u32_e32 v33, 64, v33
	v_xor_b32_e32 v37, 32, v32
	v_mul_hi_u32 v16, s10, v107
	v_add3_u32 v157, v18, v19, v152
	v_mul_hi_u32 v18, s10, v108
	v_mul_hi_u32 v20, s10, v109
	;; [unrolled: 1-line block ×7, first 2 shown]
	v_cmp_lt_i32_e32 vcc, v37, v33
	v_add_u32_e32 v16, v107, v16
	v_add_u32_e32 v18, v108, v18
	;; [unrolled: 1-line block ×8, first 2 shown]
	v_cndmask_b32_e32 v37, v32, v37, vcc
	v_lshrrev_b32_e32 v16, s11, v16
	v_lshrrev_b32_e32 v18, s11, v18
	;; [unrolled: 1-line block ×8, first 2 shown]
	v_lshlrev_b32_e32 v173, 2, v37
	v_xor_b32_e32 v37, 16, v32
	v_mul_lo_u32 v16, v16, s60
	v_mul_lo_u32 v18, v18, s60
	;; [unrolled: 1-line block ×8, first 2 shown]
	v_cmp_lt_i32_e32 vcc, v37, v33
	v_sub_u32_e32 v16, v107, v16
	v_sub_u32_e32 v18, v108, v18
	;; [unrolled: 1-line block ×8, first 2 shown]
	v_cndmask_b32_e32 v32, v32, v37, vcc
	s_cmp_lg_u64 s[46:47], 0
	v_mad_i64_i32 v[16:17], s[8:9], v16, s98, 0
	v_mad_i64_i32 v[18:19], s[8:9], v18, s98, 0
	;; [unrolled: 1-line block ×8, first 2 shown]
	v_lshlrev_b32_e32 v174, 2, v32
	v_lshl_add_u32 v32, v130, 2, v148
	s_cselect_b64 s[48:49], -1, 0
	v_mul_lo_u32 v70, s72, v32
	s_lshl_b32 s8, s72, 4
	v_add_u32_e32 v74, s8, v70
	v_and_b32_e32 v72, 60, v147
	v_add_u32_e32 v76, s8, v74
	v_mul_u32_u24_e32 v33, 0x110, v32
	v_lshlrev_b32_e32 v37, 2, v72
	v_add_u32_e32 v78, s8, v76
	s_movk_i32 s8, 0x90
	v_add3_u32 v175, 0, v33, v37
	v_mad_u32_u24 v37, v131, s8, 0
	s_movk_i32 s8, 0x100
	v_cmp_gt_u32_e64 s[16:17], s8, v34
	s_movk_i32 s8, 0xc0
	v_cmp_gt_u32_e64 s[18:19], s8, v34
	s_movk_i32 s8, 0x80
	v_and_b32_e32 v33, 0xfc, v105
	v_cmp_gt_u32_e64 s[26:27], s8, v34
	v_mul_lo_u32 v80, s96, v32
	s_lshl_b32 s8, s96, 4
	v_cmp_gt_u32_e64 s[44:45], 64, v32
	v_cmp_gt_u32_e64 s[10:11], 48, v32
	;; [unrolled: 1-line block ×4, first 2 shown]
	v_add_u32_e32 v82, s8, v80
	v_mul_u32_u24_e32 v32, 0x88, v33
	v_add_u32_e32 v84, s8, v82
	v_or_b32_e32 v32, v32, v35
	v_add_u32_e32 v88, s8, v84
	v_lshlrev_b32_e32 v32, 1, v32
	s_add_i32 s8, 0, 0x1100
	v_add_u32_e32 v185, s8, v32
	s_add_i32 s8, 0, 0x2200
	v_add_u32_e32 v186, s8, v32
	;; [unrolled: 2-line block ×26, first 2 shown]
	s_add_i32 s8, 0, 0x11e0
	v_lshl_add_u32 v180, v33, 1, v37
	v_or_b32_e32 v38, 3, v105
	v_add_u32_e32 v213, s8, v32
	s_add_i32 s8, 0, 0x22e0
	s_mov_b64 s[50:51], src_private_base
	v_ashrrev_i32_e32 v71, 31, v70
	v_ashrrev_i32_e32 v75, 31, v74
	;; [unrolled: 1-line block ×4, first 2 shown]
	v_add_u32_e32 v181, v37, v126
	v_add_u32_e32 v37, 32, v180
	;; [unrolled: 1-line block ×4, first 2 shown]
	v_cmp_gt_u32_e64 s[20:21], 47, v33
	v_cmp_gt_u32_e64 s[22:23], 46, v33
	;; [unrolled: 1-line block ×9, first 2 shown]
	v_ashrrev_i32_e32 v81, 31, v80
	v_ashrrev_i32_e32 v83, 31, v82
	;; [unrolled: 1-line block ×4, first 2 shown]
	v_mul_u32_u24_e32 v33, 0x110, v33
	v_mul_u32_u24_e32 v38, 0x110, v38
	v_add_u32_e32 v214, s8, v32
	s_add_i32 s8, 0, 0x33e0
	v_cmp_gt_u32_e64 s[4:5], 64, v34
	v_cmp_lt_u32_e64 s[6:7], 63, v34
	v_mov_b32_e32 v154, 0
	v_add_u32_e32 v158, 0x240, v157
	v_add_u32_e32 v159, 0x480, v157
	;; [unrolled: 1-line block ×15, first 2 shown]
	s_mov_b32 s50, 0
	v_add_u32_e32 v176, 0x1100, v175
	v_add_u32_e32 v177, 0x2200, v175
	;; [unrolled: 1-line block ×3, first 2 shown]
	v_add3_u32 v179, 0, v141, v142
	v_add_u32_e32 v182, 0, v32
	v_add3_u32 v183, 0, v33, v95
	v_add3_u32 v184, 0, v38, v95
	;; [unrolled: 1-line block ×4, first 2 shown]
	v_add_u32_e32 v215, s8, v32
	v_mov_b32_e32 v32, v36
	v_mov_b32_e32 v33, v36
	s_lshl_b32 s52, s54, 6
	v_mov_b32_e32 v86, 0xfeffffff
	v_lshlrev_b64 v[38:39], 1, v[16:17]
	v_lshlrev_b64 v[40:41], 1, v[18:19]
	v_lshlrev_b64 v[42:43], 1, v[20:21]
	v_lshlrev_b64 v[44:45], 1, v[22:23]
	v_lshlrev_b64 v[46:47], 1, v[24:25]
	v_lshlrev_b64 v[48:49], 1, v[26:27]
	v_lshlrev_b64 v[50:51], 1, v[28:29]
	v_lshlrev_b64 v[52:53], 1, v[30:31]
	v_lshlrev_b64 v[54:55], 1, v[54:55]
	v_lshlrev_b64 v[56:57], 1, v[56:57]
	v_lshlrev_b64 v[58:59], 1, v[58:59]
	v_lshlrev_b64 v[60:61], 1, v[60:61]
	v_lshlrev_b64 v[62:63], 1, v[62:63]
	v_lshlrev_b64 v[64:65], 1, v[64:65]
	v_lshlrev_b64 v[66:67], 1, v[66:67]
	v_lshlrev_b64 v[68:69], 1, v[68:69]
	v_lshlrev_b64 v[70:71], 2, v[70:71]
	v_lshlrev_b32_e32 v217, 2, v72
	v_lshlrev_b64 v[72:73], 2, v[74:75]
	v_lshlrev_b64 v[74:75], 2, v[76:77]
	;; [unrolled: 1-line block ×3, first 2 shown]
	v_add_u32_e32 v218, 0x4400, v37
	v_add_u32_e32 v219, 0x4400, v87
	;; [unrolled: 1-line block ×3, first 2 shown]
	s_mov_b32 s59, 0x3fb8aa3b
	s_mov_b32 s61, 0xc2ce8ed0
	s_mov_b32 s62, 0x42b17218
	s_mov_b32 s63, 0xc1a00000
	v_lshlrev_b64 v[78:79], 2, v[80:81]
	v_lshlrev_b64 v[80:81], 2, v[82:83]
	;; [unrolled: 1-line block ×4, first 2 shown]
	s_mov_b32 s64, 0x5040100
	v_mov_b32_e32 v221, 0x7f800000
	v_mov_b32_e32 v222, 0
	;; [unrolled: 1-line block ×18, first 2 shown]
.LBB24_500:                             ; =>This Inner Loop Header: Depth=1
	v_cndmask_b32_e64 v16, 0, 1, s[48:49]
	v_cmp_ne_u32_e64 s[42:43], 1, v16
	s_andn2_b64 vcc, exec, s[48:49]
	s_ashr_i32 s53, s52, 31
	s_cbranch_vccnz .LBB24_510
; %bb.501:                              ;   in Loop: Header=BB24_500 Depth=1
                                        ; implicit-def: $sgpr65
	s_and_saveexec_b64 s[8:9], s[6:7]
	s_xor_b64 s[8:9], exec, s[8:9]
	s_cbranch_execz .LBB24_503
; %bb.502:                              ;   in Loop: Header=BB24_500 Depth=1
	ds_write_b16 v157, v154 offset:17408
	ds_write_b16 v158, v154 offset:17408
	;; [unrolled: 1-line block ×4, first 2 shown]
	s_mov_b32 s65, 0
.LBB24_503:                             ;   in Loop: Header=BB24_500 Depth=1
	s_or_saveexec_b64 s[8:9], s[8:9]
	s_lshl_b64 s[66:67], s[52:53], 1
	v_mov_b32_e32 v17, s67
	v_add_co_u32_e32 v16, vcc, s66, v155
	v_addc_co_u32_e32 v17, vcc, v156, v17, vcc
	v_mov_b32_e32 v18, s65
	v_mov_b32_e32 v19, s65
	;; [unrolled: 1-line block ×4, first 2 shown]
	s_xor_b64 exec, exec, s[8:9]
	s_cbranch_execz .LBB24_505
; %bb.504:                              ;   in Loop: Header=BB24_500 Depth=1
	v_add_co_u32_e32 v18, vcc, v16, v38
	v_addc_co_u32_e32 v19, vcc, v17, v39, vcc
	v_add_co_u32_e32 v20, vcc, v16, v40
	v_addc_co_u32_e32 v21, vcc, v17, v41, vcc
	;; [unrolled: 2-line block ×3, first 2 shown]
	flat_load_ushort v28, v[18:19]
	flat_load_ushort v29, v[20:21]
	flat_load_ushort v30, v[22:23]
	v_add_co_u32_e32 v18, vcc, v16, v44
	v_addc_co_u32_e32 v19, vcc, v17, v45, vcc
	v_add_co_u32_e32 v20, vcc, v16, v46
	v_addc_co_u32_e32 v21, vcc, v17, v47, vcc
	;; [unrolled: 2-line block ×4, first 2 shown]
	v_add_co_u32_e32 v26, vcc, v16, v52
	flat_load_ushort v31, v[18:19]
	v_addc_co_u32_e32 v27, vcc, v17, v53, vcc
	s_waitcnt vmcnt(0) lgkmcnt(0)
	ds_write_b16 v157, v28 offset:17408
	ds_write_b16 v158, v29 offset:17408
	;; [unrolled: 1-line block ×3, first 2 shown]
	flat_load_ushort v18, v[20:21]
	flat_load_ushort v19, v[22:23]
	s_nop 0
	flat_load_ushort v20, v[24:25]
	flat_load_ushort v21, v[26:27]
	ds_write_b16 v160, v31 offset:17408
.LBB24_505:                             ;   in Loop: Header=BB24_500 Depth=1
	s_or_b64 exec, exec, s[8:9]
	s_waitcnt vmcnt(0) lgkmcnt(0)
	ds_write_b16 v161, v18 offset:17408
	ds_write_b16 v162, v19 offset:17408
	;; [unrolled: 1-line block ×4, first 2 shown]
                                        ; implicit-def: $sgpr53
	s_and_saveexec_b64 s[8:9], s[6:7]
	s_xor_b64 s[8:9], exec, s[8:9]
	s_cbranch_execz .LBB24_507
; %bb.506:                              ;   in Loop: Header=BB24_500 Depth=1
	ds_write_b16 v165, v154 offset:17408
	ds_write_b16 v166, v154 offset:17408
	;; [unrolled: 1-line block ×4, first 2 shown]
	s_mov_b32 s53, 0
                                        ; implicit-def: $vgpr16
                                        ; implicit-def: $vgpr17
.LBB24_507:                             ;   in Loop: Header=BB24_500 Depth=1
	s_or_saveexec_b64 s[8:9], s[8:9]
	v_mov_b32_e32 v18, s53
	v_mov_b32_e32 v19, s53
	;; [unrolled: 1-line block ×4, first 2 shown]
	s_xor_b64 exec, exec, s[8:9]
	s_cbranch_execz .LBB24_509
; %bb.508:                              ;   in Loop: Header=BB24_500 Depth=1
	v_add_co_u32_e32 v18, vcc, v16, v54
	v_addc_co_u32_e32 v19, vcc, v17, v55, vcc
	v_add_co_u32_e32 v20, vcc, v16, v56
	v_addc_co_u32_e32 v21, vcc, v17, v57, vcc
	;; [unrolled: 2-line block ×8, first 2 shown]
	flat_load_ushort v37, v[18:19]
	flat_load_ushort v87, v[20:21]
	s_nop 0
	flat_load_ushort v22, v[22:23]
	s_nop 0
	flat_load_ushort v23, v[24:25]
	flat_load_ushort v18, v[26:27]
	;; [unrolled: 1-line block ×5, first 2 shown]
	s_waitcnt vmcnt(0) lgkmcnt(0)
	ds_write_b16 v165, v37 offset:17408
	ds_write_b16 v166, v87 offset:17408
	;; [unrolled: 1-line block ×4, first 2 shown]
.LBB24_509:                             ;   in Loop: Header=BB24_500 Depth=1
	s_or_b64 exec, exec, s[8:9]
	ds_write_b16 v169, v18 offset:17408
	ds_write_b16 v170, v19 offset:17408
	;; [unrolled: 1-line block ×4, first 2 shown]
.LBB24_510:                             ;   in Loop: Header=BB24_500 Depth=1
	s_mul_hi_i32 s9, s52, s72
	s_mul_i32 s8, s52, s72
	s_lshl_b64 s[8:9], s[8:9], 2
	s_add_u32 s8, s56, s8
	s_addc_u32 s9, s57, s9
	v_mov_b32_e32 v16, s9
	v_add_co_u32_e32 v17, vcc, s8, v70
	v_addc_co_u32_e32 v16, vcc, v16, v71, vcc
	v_add_co_u32_e32 v18, vcc, v17, v217
	v_addc_co_u32_e32 v16, vcc, 0, v16, vcc
	v_mov_b32_e32 v22, s51
	v_mov_b32_e32 v23, s50
	buffer_store_dword v154, off, s[0:3], 0
	buffer_store_dword v154, off, s[0:3], 0 offset:4
	buffer_store_dword v154, off, s[0:3], 0 offset:8
	;; [unrolled: 1-line block ×3, first 2 shown]
	v_cndmask_b32_e64 v17, v22, v16, s[44:45]
	v_cndmask_b32_e64 v16, v23, v18, s[44:45]
	flat_load_dwordx4 v[16:19], v[16:17]
	v_mov_b32_e32 v20, s9
	v_add_co_u32_e32 v21, vcc, s8, v72
	v_addc_co_u32_e32 v20, vcc, v20, v73, vcc
	v_add_co_u32_e32 v21, vcc, v21, v217
	v_addc_co_u32_e32 v24, vcc, 0, v20, vcc
	v_cndmask_b32_e64 v20, v23, v21, s[10:11]
	v_cndmask_b32_e64 v21, v22, v24, s[10:11]
	v_add_u32_e32 v37, 0x1000, v179
	v_add_u32_e32 v87, 0x2000, v179
	;; [unrolled: 1-line block ×3, first 2 shown]
	s_waitcnt vmcnt(0) lgkmcnt(0)
	ds_write_b128 v175, v[16:19]
	flat_load_dwordx4 v[16:19], v[20:21]
	v_mov_b32_e32 v20, s9
	v_add_co_u32_e32 v21, vcc, s8, v74
	v_addc_co_u32_e32 v20, vcc, v20, v75, vcc
	v_add_co_u32_e32 v21, vcc, v21, v217
	v_addc_co_u32_e32 v24, vcc, 0, v20, vcc
	v_cndmask_b32_e64 v20, v23, v21, s[12:13]
	v_cndmask_b32_e64 v21, v22, v24, s[12:13]
	s_waitcnt vmcnt(0) lgkmcnt(0)
	ds_write_b128 v176, v[16:19]
	flat_load_dwordx4 v[16:19], v[20:21]
	v_mov_b32_e32 v20, s9
	v_add_co_u32_e32 v21, vcc, s8, v76
	v_addc_co_u32_e32 v20, vcc, v20, v77, vcc
	v_add_co_u32_e32 v21, vcc, v21, v217
	v_addc_co_u32_e32 v24, vcc, 0, v20, vcc
	v_cndmask_b32_e64 v20, v23, v21, s[14:15]
	v_cndmask_b32_e64 v21, v22, v24, s[14:15]
	s_and_b64 vcc, exec, s[42:43]
	s_waitcnt vmcnt(0) lgkmcnt(0)
	ds_write_b128 v177, v[16:19]
	flat_load_dwordx4 v[16:19], v[20:21]
	s_waitcnt vmcnt(0) lgkmcnt(0)
	ds_write_b128 v178, v[16:19]
	s_waitcnt lgkmcnt(0)
	s_barrier
	ds_read2_b64 v[16:19], v179 offset1:4
	ds_read2_b64 v[24:27], v37 offset0:32 offset1:36
	ds_read2_b64 v[88:91], v87 offset0:64 offset1:68
	;; [unrolled: 1-line block ×3, first 2 shown]
	s_waitcnt lgkmcnt(3)
	v_mfma_f32_16x16x16f16 v[20:23], v[16:17], v[12:13], 0
	ds_read2_b64 v[232:235], v92 offset0:120 offset1:124
	s_waitcnt lgkmcnt(3)
	v_mfma_f32_16x16x16f16 v[28:31], v[24:25], v[12:13], 0
	s_waitcnt lgkmcnt(2)
	v_mfma_f32_16x16x16f16 v[114:117], v[88:89], v[12:13], 0
	;; [unrolled: 2-line block ×3, first 2 shown]
	v_mfma_f32_16x16x16f16 v[16:19], v[18:19], v[14:15], v[20:23]
	v_mfma_f32_16x16x16f16 v[20:23], v[26:27], v[14:15], v[28:31]
	;; [unrolled: 1-line block ×3, first 2 shown]
	ds_read2_b64 v[88:91], v179 offset0:8 offset1:12
	v_mfma_f32_16x16x16f16 v[28:31], v[226:227], v[14:15], v[228:231]
	s_nop 4
	ds_read2_b64 v[114:117], v37 offset0:40 offset1:44
	ds_read2_b64 v[224:227], v87 offset0:72 offset1:76
	ds_read2_b64 v[228:231], v92 offset0:104 offset1:108
	s_waitcnt lgkmcnt(3)
	v_mfma_f32_16x16x16f16 v[16:19], v[88:89], v[8:9], v[16:19]
	s_waitcnt lgkmcnt(2)
	v_mfma_f32_16x16x16f16 v[20:23], v[114:115], v[8:9], v[20:23]
	;; [unrolled: 2-line block ×4, first 2 shown]
	v_mfma_f32_16x16x16f16 v[16:19], v[90:91], v[10:11], v[16:19]
	ds_read2_b64 v[88:91], v179 offset0:16 offset1:20
	v_mfma_f32_16x16x16f16 v[20:23], v[116:117], v[10:11], v[20:23]
	ds_read2_b64 v[114:117], v37 offset0:48 offset1:52
	;; [unrolled: 2-line block ×4, first 2 shown]
	s_waitcnt lgkmcnt(3)
	v_mfma_f32_16x16x16f16 v[16:19], v[88:89], v[4:5], v[16:19]
	s_waitcnt lgkmcnt(2)
	v_mfma_f32_16x16x16f16 v[20:23], v[114:115], v[4:5], v[20:23]
	;; [unrolled: 2-line block ×4, first 2 shown]
	v_mfma_f32_16x16x16f16 v[16:19], v[90:91], v[6:7], v[16:19]
	ds_read2_b64 v[88:91], v179 offset0:24 offset1:28
	v_mfma_f32_16x16x16f16 v[20:23], v[116:117], v[6:7], v[20:23]
	ds_read2_b64 v[114:117], v37 offset0:56 offset1:60
	;; [unrolled: 2-line block ×3, first 2 shown]
	s_waitcnt lgkmcnt(0)
	s_barrier
	v_mfma_f32_16x16x16f16 v[28:31], v[230:231], v[6:7], v[28:31]
	v_mfma_f32_16x16x16f16 v[16:19], v[88:89], v[0:1], v[16:19]
	;; [unrolled: 1-line block ×9, first 2 shown]
	s_cbranch_vccnz .LBB24_512
; %bb.511:                              ;   in Loop: Header=BB24_500 Depth=1
	ds_read_b32 v37, v180 offset:17408
	ds_read_b32 v87, v181 offset:17408
	ds_read2_b32 v[88:89], v218 offset1:1
	ds_read2_b32 v[90:91], v219 offset1:1
	s_waitcnt lgkmcnt(3)
	v_cvt_f32_f16_sdwa v93, v37 dst_sel:DWORD dst_unused:UNUSED_PAD src0_sel:WORD_1
	v_cvt_f32_f16_e32 v92, v37
	s_waitcnt lgkmcnt(1)
	v_cvt_f32_f16_e32 v116, v88
	v_cvt_f32_f16_e32 v224, v89
	v_cvt_f32_f16_sdwa v225, v89 dst_sel:DWORD dst_unused:UNUSED_PAD src0_sel:WORD_1
	v_cvt_f32_f16_sdwa v117, v88 dst_sel:DWORD dst_unused:UNUSED_PAD src0_sel:WORD_1
	ds_read2_b32 v[88:89], v220 offset1:1
	v_cvt_f32_f16_sdwa v115, v87 dst_sel:DWORD dst_unused:UNUSED_PAD src0_sel:WORD_1
	v_cvt_f32_f16_e32 v114, v87
	v_mov_b32_e32 v37, v36
	v_pk_fma_f32 v[28:29], v[32:33], v[92:93], v[28:29]
	v_pk_fma_f32 v[24:25], v[32:33], v[116:117], v[24:25]
	;; [unrolled: 1-line block ×3, first 2 shown]
	s_waitcnt lgkmcnt(1)
	v_cvt_f32_f16_e32 v92, v90
	v_cvt_f32_f16_sdwa v93, v90 dst_sel:DWORD dst_unused:UNUSED_PAD src0_sel:WORD_1
	v_cvt_f32_f16_e32 v90, v91
	v_cvt_f32_f16_sdwa v91, v91 dst_sel:DWORD dst_unused:UNUSED_PAD src0_sel:WORD_1
	s_waitcnt lgkmcnt(0)
	v_cvt_f32_f16_e32 v114, v88
	v_cvt_f32_f16_e32 v116, v89
	v_cvt_f32_f16_sdwa v117, v89 dst_sel:DWORD dst_unused:UNUSED_PAD src0_sel:WORD_1
	v_cvt_f32_f16_sdwa v115, v88 dst_sel:DWORD dst_unused:UNUSED_PAD src0_sel:WORD_1
	v_pk_fma_f32 v[26:27], v[36:37], v[224:225], v[26:27]
	v_pk_fma_f32 v[22:23], v[36:37], v[90:91], v[22:23]
	;; [unrolled: 1-line block ×5, first 2 shown]
.LBB24_512:                             ;   in Loop: Header=BB24_500 Depth=1
	s_nop 6
	v_add_f32_e32 v37, 0x40051340, v28
	v_max_f32_e32 v87, v86, v86
	v_max_f32_e32 v37, v87, v37
	v_cndmask_b32_e64 v37, v86, v37, s[16:17]
	v_add_f32_e32 v87, 0x40051340, v29
	v_max_f32_e32 v37, v37, v37
	v_max_f32_e32 v37, v37, v87
	v_cndmask_b32_e64 v37, v86, v37, s[16:17]
	;; [unrolled: 4-line block ×16, first 2 shown]
	ds_bpermute_b32 v87, v173, v37
	v_max_f32_e32 v37, v37, v37
	s_mul_hi_i32 s9, s52, s96
	s_mul_i32 s8, s52, s96
	s_lshl_b64 s[42:43], s[8:9], 2
	s_waitcnt lgkmcnt(0)
	v_max_f32_e32 v87, v87, v87
	v_max_f32_e32 v37, v37, v87
	ds_bpermute_b32 v87, v174, v37
	s_add_u32 s9, s33, s42
	s_addc_u32 s8, s55, s43
	v_mov_b32_e32 v91, s8
	v_mov_b32_e32 v116, s51
	s_waitcnt lgkmcnt(0)
	v_max_f32_e32 v87, v87, v87
	v_max_f32_e32 v37, v37, v87
	v_sub_f32_e32 v28, v28, v37
	v_mul_f32_e32 v87, 0x3fb8aa3b, v28
	v_fma_f32 v88, v28, s59, -v87
	v_rndne_f32_e32 v89, v87
	v_fmac_f32_e32 v88, 0x32a5705f, v28
	v_sub_f32_e32 v87, v87, v89
	v_add_f32_e32 v87, v87, v88
	v_exp_f32_e32 v87, v87
	v_cvt_i32_f32_e32 v88, v89
	v_sub_f32_e32 v29, v29, v37
	v_cmp_ngt_f32_e32 vcc, s61, v28
	v_mov_b32_e32 v117, s50
	v_ldexp_f32 v87, v87, v88
	v_mul_f32_e32 v88, 0x3fb8aa3b, v29
	v_fma_f32 v89, v29, s59, -v88
	v_rndne_f32_e32 v90, v88
	v_fmac_f32_e32 v89, 0x32a5705f, v29
	v_sub_f32_e32 v88, v88, v90
	v_cndmask_b32_e32 v87, 0, v87, vcc
	v_add_f32_e32 v88, v88, v89
	v_cvt_i32_f32_e32 v89, v90
	v_add_co_u32_e32 v90, vcc, s9, v78
	v_addc_co_u32_e32 v91, vcc, v91, v79, vcc
	v_add_co_u32_e32 v90, vcc, v90, v217
	v_addc_co_u32_e32 v91, vcc, 0, v91, vcc
	v_cndmask_b32_e64 v91, v116, v91, s[44:45]
	v_cndmask_b32_e64 v90, v117, v90, s[44:45]
	buffer_store_dword v154, off, s[0:3], 0
	buffer_store_dword v154, off, s[0:3], 0 offset:4
	buffer_store_dword v154, off, s[0:3], 0 offset:8
	;; [unrolled: 1-line block ×3, first 2 shown]
	flat_load_dwordx4 v[90:93], v[90:91]
	v_exp_f32_e32 v88, v88
	v_cmp_nlt_f32_e32 vcc, s62, v28
	v_cndmask_b32_e32 v227, v221, v87, vcc
	v_cmp_ngt_f32_e32 vcc, s61, v29
	v_ldexp_f32 v87, v88, v89
	v_cndmask_b32_e32 v87, 0, v87, vcc
	v_cmp_nlt_f32_e32 vcc, s62, v29
	v_cndmask_b32_e64 v29, v30, v30, s[16:17]
	v_sub_f32_e32 v30, v29, v37
	v_mul_f32_e32 v29, 0x3fb8aa3b, v30
	v_cndmask_b32_e32 v228, v221, v87, vcc
	v_fma_f32 v87, v30, s59, -v29
	v_rndne_f32_e32 v88, v29
	v_fmac_f32_e32 v87, 0x32a5705f, v30
	v_sub_f32_e32 v29, v29, v88
	v_add_f32_e32 v29, v29, v87
	v_exp_f32_e32 v89, v29
	v_cvt_i32_f32_e32 v88, v88
	v_mov_b32_e32 v29, s58
	v_cndmask_b32_e64 v31, v31, v31, s[16:17]
	v_cndmask_b32_e64 v87, v29, v228, s[16:17]
	v_ldexp_f32 v29, v89, v88
	v_cmp_ngt_f32_e32 vcc, s61, v30
	v_sub_f32_e32 v89, v31, v37
	v_cndmask_b32_e32 v29, 0, v29, vcc
	v_cmp_nlt_f32_e32 vcc, s62, v30
	v_mul_f32_e32 v30, 0x3fb8aa3b, v89
	v_fma_f32 v31, v89, s59, -v30
	v_rndne_f32_e32 v88, v30
	v_fmac_f32_e32 v31, 0x32a5705f, v89
	v_sub_f32_e32 v30, v30, v88
	v_add_f32_e32 v30, v30, v31
	v_exp_f32_e32 v114, v30
	v_cvt_i32_f32_e32 v115, v88
	v_cndmask_b32_e32 v31, v221, v29, vcc
	v_mov_b32_e32 v30, s58
	v_sub_f32_e32 v24, v24, v37
	v_cndmask_b32_e64 v88, v30, v31, s[16:17]
	v_ldexp_f32 v29, v114, v115
	v_cmp_ngt_f32_e32 vcc, s61, v89
	v_mul_f32_e32 v30, 0x3fb8aa3b, v24
	v_cndmask_b32_e32 v29, 0, v29, vcc
	v_cmp_nlt_f32_e32 vcc, s62, v89
	v_fma_f32 v89, v24, s59, -v30
	v_rndne_f32_e32 v114, v30
	v_fmac_f32_e32 v89, 0x32a5705f, v24
	v_sub_f32_e32 v30, v30, v114
	v_add_f32_e32 v30, v30, v89
	v_exp_f32_e32 v30, v30
	v_cvt_i32_f32_e32 v114, v114
	v_cndmask_b32_e32 v230, v221, v29, vcc
	v_mov_b32_e32 v29, s58
	v_cndmask_b32_e64 v89, v29, v230, s[16:17]
	v_ldexp_f32 v29, v30, v114
	v_cmp_ngt_f32_e32 vcc, s61, v24
	v_cndmask_b32_e64 v25, v25, v25, s[18:19]
	v_cndmask_b32_e32 v29, 0, v29, vcc
	v_cmp_nlt_f32_e32 vcc, s62, v24
	v_sub_f32_e32 v25, v25, v37
	v_cndmask_b32_e32 v229, v221, v29, vcc
	v_mul_f32_e32 v29, 0x3fb8aa3b, v25
	v_fma_f32 v30, v25, s59, -v29
	v_rndne_f32_e32 v216, v29
	v_fmac_f32_e32 v30, 0x32a5705f, v25
	v_sub_f32_e32 v29, v29, v216
	v_add_f32_e32 v29, v29, v30
	v_add_co_u32_e32 v30, vcc, s9, v80
	v_mov_b32_e32 v114, s8
	v_addc_co_u32_e32 v114, vcc, v114, v81, vcc
	v_add_co_u32_e32 v30, vcc, v30, v217
	v_addc_co_u32_e32 v114, vcc, 0, v114, vcc
	v_cndmask_b32_e64 v115, v116, v114, s[10:11]
	v_cndmask_b32_e64 v114, v117, v30, s[10:11]
	v_exp_f32_e32 v29, v29
	v_cvt_i32_f32_e32 v30, v216
	s_waitcnt vmcnt(0) lgkmcnt(0)
	ds_write_b128 v175, v[90:93]
	flat_load_dwordx4 v[90:93], v[114:115]
	v_mov_b32_e32 v24, s58
	v_cndmask_b32_e64 v26, v26, v26, s[18:19]
	v_cndmask_b32_e64 v114, v24, v229, s[18:19]
	v_ldexp_f32 v24, v29, v30
	v_cmp_ngt_f32_e32 vcc, s61, v25
	v_sub_f32_e32 v26, v26, v37
	v_cndmask_b32_e32 v24, 0, v24, vcc
	v_cmp_nlt_f32_e32 vcc, s62, v25
	v_mul_f32_e32 v25, 0x3fb8aa3b, v26
	v_fma_f32 v29, v26, s59, -v25
	v_rndne_f32_e32 v30, v25
	v_fmac_f32_e32 v29, 0x32a5705f, v26
	v_sub_f32_e32 v25, v25, v30
	v_add_f32_e32 v25, v25, v29
	v_exp_f32_e32 v29, v25
	v_cvt_i32_f32_e32 v30, v30
	v_cndmask_b32_e64 v27, v27, v27, s[18:19]
	v_cndmask_b32_e32 v231, v221, v24, vcc
	v_mov_b32_e32 v25, s58
	v_cndmask_b32_e64 v115, v25, v231, s[20:21]
	v_ldexp_f32 v24, v29, v30
	v_cmp_ngt_f32_e32 vcc, s61, v26
	v_sub_f32_e32 v25, v27, v37
	v_cndmask_b32_e32 v24, 0, v24, vcc
	v_cmp_nlt_f32_e32 vcc, s62, v26
	v_mul_f32_e32 v26, 0x3fb8aa3b, v25
	v_fma_f32 v27, v25, s59, -v26
	v_rndne_f32_e32 v29, v26
	v_fmac_f32_e32 v27, 0x32a5705f, v25
	v_sub_f32_e32 v26, v26, v29
	v_add_f32_e32 v26, v26, v27
	v_exp_f32_e32 v26, v26
	v_cvt_i32_f32_e32 v27, v29
	v_cndmask_b32_e32 v232, v221, v24, vcc
	v_mov_b32_e32 v24, s58
	v_cndmask_b32_e64 v233, v24, v232, s[22:23]
	v_ldexp_f32 v24, v26, v27
	v_cmp_ngt_f32_e32 vcc, s61, v25
	v_sub_f32_e32 v20, v20, v37
	v_cndmask_b32_e32 v24, 0, v24, vcc
	v_cmp_nlt_f32_e32 vcc, s62, v25
	v_mul_f32_e32 v25, 0x3fb8aa3b, v20
	v_fma_f32 v26, v20, s59, -v25
	v_rndne_f32_e32 v27, v25
	v_fmac_f32_e32 v26, 0x32a5705f, v20
	v_sub_f32_e32 v25, v25, v27
	v_add_f32_e32 v25, v25, v26
	v_exp_f32_e32 v26, v25
	v_cvt_i32_f32_e32 v29, v27
	v_cndmask_b32_e32 v27, v221, v24, vcc
	v_cmp_ngt_f32_e32 vcc, s61, v20
	v_cndmask_b32_e64 v21, v21, v21, s[26:27]
	v_ldexp_f32 v24, v26, v29
	v_cndmask_b32_e32 v24, 0, v24, vcc
	v_cmp_nlt_f32_e32 vcc, s62, v20
	v_sub_f32_e32 v21, v21, v37
	v_mov_b32_e32 v25, s58
	v_cndmask_b32_e32 v26, v221, v24, vcc
	v_mul_f32_e32 v24, 0x3fb8aa3b, v21
	v_cndmask_b32_e64 v234, v25, v27, s[24:25]
	v_fma_f32 v25, v21, s59, -v24
	v_rndne_f32_e32 v29, v24
	v_fmac_f32_e32 v25, 0x32a5705f, v21
	v_sub_f32_e32 v24, v24, v29
	v_add_f32_e32 v24, v24, v25
	v_exp_f32_e32 v30, v24
	v_add_co_u32_e32 v24, vcc, s9, v82
	v_mov_b32_e32 v25, s8
	v_addc_co_u32_e32 v25, vcc, v25, v83, vcc
	v_add_co_u32_e32 v24, vcc, v24, v217
	v_addc_co_u32_e32 v25, vcc, 0, v25, vcc
	v_cndmask_b32_e64 v25, v116, v25, s[12:13]
	v_cndmask_b32_e64 v24, v117, v24, s[12:13]
	v_mov_b32_e32 v20, s58
	v_cndmask_b32_e64 v22, v22, v22, s[26:27]
	s_waitcnt vmcnt(0) lgkmcnt(0)
	ds_write_b128 v176, v[90:93]
	flat_load_dwordx4 v[90:93], v[24:25]
	v_cvt_i32_f32_e32 v24, v29
	v_cndmask_b32_e64 v235, v20, v26, s[26:27]
	v_cmp_ngt_f32_e32 vcc, s61, v21
	v_sub_f32_e32 v22, v22, v37
	v_ldexp_f32 v20, v30, v24
	v_cndmask_b32_e32 v20, 0, v20, vcc
	v_cmp_nlt_f32_e32 vcc, s62, v21
	v_mul_f32_e32 v21, 0x3fb8aa3b, v22
	v_fma_f32 v24, v22, s59, -v21
	v_rndne_f32_e32 v25, v21
	v_fmac_f32_e32 v24, 0x32a5705f, v22
	v_sub_f32_e32 v21, v21, v25
	v_add_f32_e32 v21, v21, v24
	v_exp_f32_e32 v24, v21
	v_cvt_i32_f32_e32 v25, v25
	v_cndmask_b32_e64 v23, v23, v23, s[26:27]
	v_cndmask_b32_e32 v29, v221, v20, vcc
	v_mov_b32_e32 v21, s58
	v_cndmask_b32_e64 v236, v21, v29, s[28:29]
	v_ldexp_f32 v20, v24, v25
	v_cmp_ngt_f32_e32 vcc, s61, v22
	v_sub_f32_e32 v21, v23, v37
	v_cndmask_b32_e32 v20, 0, v20, vcc
	v_cmp_nlt_f32_e32 vcc, s62, v22
	v_mul_f32_e32 v22, 0x3fb8aa3b, v21
	v_fma_f32 v23, v21, s59, -v22
	v_rndne_f32_e32 v24, v22
	v_fmac_f32_e32 v23, 0x32a5705f, v21
	v_sub_f32_e32 v22, v22, v24
	v_add_f32_e32 v22, v22, v23
	v_exp_f32_e32 v22, v22
	v_cvt_i32_f32_e32 v23, v24
	v_cndmask_b32_e32 v30, v221, v20, vcc
	v_mov_b32_e32 v20, s58
	v_cndmask_b32_e64 v237, v20, v30, s[30:31]
	v_ldexp_f32 v20, v22, v23
	v_cmp_ngt_f32_e32 vcc, s61, v21
	v_sub_f32_e32 v16, v16, v37
	v_cndmask_b32_e32 v20, 0, v20, vcc
	v_cmp_nlt_f32_e32 vcc, s62, v21
	v_mul_f32_e32 v21, 0x3fb8aa3b, v16
	v_fma_f32 v22, v16, s59, -v21
	v_rndne_f32_e32 v23, v21
	v_fmac_f32_e32 v22, 0x32a5705f, v16
	v_sub_f32_e32 v21, v21, v23
	v_add_f32_e32 v21, v21, v22
	v_exp_f32_e32 v22, v21
	v_cvt_i32_f32_e32 v23, v23
	v_cndmask_b32_e32 v25, v221, v20, vcc
	v_cmp_ngt_f32_e32 vcc, s61, v16
	v_cndmask_b32_e64 v17, v17, v17, s[4:5]
	v_ldexp_f32 v20, v22, v23
	v_cndmask_b32_e32 v20, 0, v20, vcc
	v_cmp_nlt_f32_e32 vcc, s62, v16
	v_sub_f32_e32 v17, v17, v37
	v_mov_b32_e32 v21, s58
	v_cndmask_b32_e32 v24, v221, v20, vcc
	v_mul_f32_e32 v20, 0x3fb8aa3b, v17
	v_cndmask_b32_e64 v238, v21, v25, s[34:35]
	v_fma_f32 v21, v17, s59, -v20
	v_rndne_f32_e32 v22, v20
	v_fmac_f32_e32 v21, 0x32a5705f, v17
	v_sub_f32_e32 v20, v20, v22
	v_add_f32_e32 v20, v20, v21
	v_exp_f32_e32 v216, v20
	v_add_co_u32_e32 v20, vcc, s9, v84
	v_mov_b32_e32 v21, s8
	v_addc_co_u32_e32 v21, vcc, v21, v85, vcc
	v_add_co_u32_e32 v20, vcc, v20, v217
	v_addc_co_u32_e32 v21, vcc, 0, v21, vcc
	v_cndmask_b32_e64 v21, v116, v21, s[14:15]
	v_cndmask_b32_e64 v20, v117, v20, s[14:15]
	v_cvt_i32_f32_e32 v223, v22
	v_mov_b32_e32 v16, s58
	v_cndmask_b32_e64 v18, v18, v18, s[4:5]
	s_waitcnt vmcnt(0) lgkmcnt(0)
	ds_write_b128 v177, v[90:93]
	flat_load_dwordx4 v[20:23], v[20:21]
	v_cndmask_b32_e64 v116, v16, v24, s[4:5]
	v_ldexp_f32 v16, v216, v223
	v_cmp_ngt_f32_e32 vcc, s61, v17
	v_sub_f32_e32 v18, v18, v37
	v_cndmask_b32_e32 v16, 0, v16, vcc
	v_cmp_nlt_f32_e32 vcc, s62, v17
	v_mul_f32_e32 v17, 0x3fb8aa3b, v18
	v_fma_f32 v90, v18, s59, -v17
	v_rndne_f32_e32 v91, v17
	v_fmac_f32_e32 v90, 0x32a5705f, v18
	v_sub_f32_e32 v17, v17, v91
	v_add_f32_e32 v17, v17, v90
	v_exp_f32_e32 v90, v17
	v_cvt_i32_f32_e32 v91, v91
	v_cndmask_b32_e64 v19, v19, v19, s[4:5]
	v_cndmask_b32_e32 v216, v221, v16, vcc
	v_mov_b32_e32 v17, s58
	v_cndmask_b32_e64 v117, v17, v216, s[36:37]
	v_ldexp_f32 v16, v90, v91
	v_cmp_ngt_f32_e32 vcc, s61, v18
	v_sub_f32_e32 v17, v19, v37
	v_cndmask_b32_e32 v16, 0, v16, vcc
	v_cmp_nlt_f32_e32 vcc, s62, v18
	v_mul_f32_e32 v18, 0x3fb8aa3b, v17
	v_fma_f32 v19, v17, s59, -v18
	v_rndne_f32_e32 v90, v18
	v_fmac_f32_e32 v19, 0x32a5705f, v17
	v_sub_f32_e32 v18, v18, v90
	v_add_f32_e32 v18, v18, v19
	v_exp_f32_e32 v18, v18
	v_cvt_i32_f32_e32 v19, v90
	v_cndmask_b32_e32 v225, v221, v16, vcc
	v_mov_b32_e32 v16, s58
	v_cndmask_b32_e64 v239, v16, v225, s[38:39]
	v_ldexp_f32 v16, v18, v19
	v_sub_f32_e32 v18, v86, v37
	v_mul_f32_e32 v19, 0x3fb8aa3b, v18
	v_fma_f32 v86, v18, s59, -v19
	v_rndne_f32_e32 v90, v19
	v_fmac_f32_e32 v86, 0x32a5705f, v18
	v_sub_f32_e32 v19, v19, v90
	v_add_f32_e32 v19, v19, v86
	v_exp_f32_e32 v19, v19
	v_cvt_i32_f32_e32 v86, v90
	v_cmp_ngt_f32_e32 vcc, s61, v17
	v_cndmask_b32_e32 v16, 0, v16, vcc
	v_cmp_nlt_f32_e32 vcc, s62, v17
	v_ldexp_f32 v17, v19, v86
	v_cmp_ngt_f32_e64 s[8:9], s61, v18
	v_cndmask_b32_e64 v17, 0, v17, s[8:9]
	v_cmp_nlt_f32_e64 s[8:9], s62, v18
	v_cndmask_b32_e64 v17, v221, v17, s[8:9]
	v_cmp_le_f32_e64 s[8:9], s63, v18
	v_cndmask_b32_e64 v224, 0, v17, s[8:9]
	v_cndmask_b32_e64 v28, 0, v227, s[16:17]
	v_cvt_f16_f32_e32 v223, v224
	v_cndmask_b32_e32 v226, v221, v16, vcc
	v_cvt_f16_f32_e32 v16, v28
	v_cvt_f16_f32_e32 v18, v87
	v_mov_b32_e32 v17, s58
	v_cndmask_b32_e64 v86, v17, v226, s[40:41]
	v_pk_mul_f16 v17, v223, v150 op_sel_hi:[0,1]
	v_pk_mul_f16 v19, v223, v149 op_sel_hi:[0,1]
	v_cvt_f16_f32_e32 v28, v88
	v_cvt_f16_f32_e32 v87, v89
	v_pack_b32_f16 v90, v16, v18
	v_cvt_f32_f16_e32 v16, v17
	v_cvt_f32_f16_sdwa v17, v17 dst_sel:DWORD dst_unused:UNUSED_PAD src0_sel:WORD_1
	v_cvt_f32_f16_e32 v18, v19
	v_cvt_f32_f16_sdwa v19, v19 dst_sel:DWORD dst_unused:UNUSED_PAD src0_sel:WORD_1
	v_pack_b32_f16 v91, v28, v87
	v_cvt_f16_f32_e32 v88, v114
	v_cvt_f16_f32_e32 v89, v115
	;; [unrolled: 1-line block ×6, first 2 shown]
	v_pack_b32_f16 v88, v88, v89
	v_pack_b32_f16 v89, v92, v93
	s_waitcnt vmcnt(0) lgkmcnt(0)
	ds_write_b128 v178, v[20:23]
	s_waitcnt lgkmcnt(0)
	s_barrier
	ds_read_u16 v20, v183 offset:544
	ds_read_u16 v21, v184
	ds_read_u16 v22, v182
	ds_read_u16 v23, v183 offset:272
	v_pack_b32_f16 v92, v28, v87
	v_cvt_f16_f32_e32 v93, v237
	s_waitcnt lgkmcnt(2)
	v_perm_b32 v21, v21, v20, s64
	v_cvt_f16_f32_e32 v114, v238
	s_waitcnt lgkmcnt(0)
	v_perm_b32 v20, v23, v22, s64
	v_cvt_f16_f32_e32 v87, v86
	v_cvt_f16_f32_e32 v22, v116
	v_mfma_f32_16x16x16f16 v[16:19], v[20:21], v[90:91], v[16:19]
	ds_read_u16 v20, v182 offset:4352
	ds_read_u16 v21, v185 offset:544
	;; [unrolled: 1-line block ×4, first 2 shown]
	v_pack_b32_f16 v93, v93, v114
	v_pk_mul_f16 v149, v223, v151 op_sel_hi:[0,1]
	v_pk_mul_f16 v106, v223, v106 op_sel_hi:[0,1]
	s_waitcnt lgkmcnt(1)
	v_perm_b32 v21, v23, v21, s64
	s_waitcnt lgkmcnt(0)
	v_perm_b32 v20, v28, v20, s64
	v_cvt_f16_f32_e32 v23, v117
	v_cvt_f16_f32_e32 v16, v16
	;; [unrolled: 1-line block ×5, first 2 shown]
	v_cvt_f32_f16_e32 v16, v16
	v_cvt_f32_f16_e32 v17, v17
	;; [unrolled: 1-line block ×4, first 2 shown]
	v_cvt_f16_f32_e32 v28, v239
	v_pk_mul_f16 v103, v223, v103 op_sel_hi:[0,1]
	v_mfma_f32_16x16x16f16 v[16:19], v[20:21], v[88:89], v[16:19]
	ds_read_u16 v20, v182 offset:8704
	ds_read_u16 v21, v186 offset:544
	;; [unrolled: 1-line block ×4, first 2 shown]
	v_pack_b32_f16 v87, v28, v87
	ds_read_u16 v28, v184 offset:32
	v_pk_mul_f16 v101, v223, v101 op_sel_hi:[0,1]
	s_waitcnt lgkmcnt(2)
	v_perm_b32 v21, v86, v21, s64
	s_waitcnt lgkmcnt(1)
	v_perm_b32 v20, v114, v20, s64
	v_pack_b32_f16 v86, v22, v23
	v_cvt_f16_f32_e32 v16, v16
	v_cvt_f16_f32_e32 v17, v17
	;; [unrolled: 1-line block ×4, first 2 shown]
	v_cvt_f32_f16_e32 v16, v16
	v_cvt_f32_f16_e32 v17, v17
	;; [unrolled: 1-line block ×4, first 2 shown]
	v_pk_mul_f16 v99, v223, v99 op_sel_hi:[0,1]
	s_add_i32 s54, s54, 1
	v_mfma_f32_16x16x16f16 v[16:19], v[20:21], v[92:93], v[16:19]
	ds_read_u16 v20, v182 offset:13056
	ds_read_u16 v21, v187 offset:544
	;; [unrolled: 1-line block ×7, first 2 shown]
	v_cmp_lt_i32_e32 vcc, s54, v153
	s_and_b64 vcc, exec, vcc
	s_waitcnt lgkmcnt(4)
	v_perm_b32 v21, v22, v21, s64
	s_waitcnt lgkmcnt(3)
	v_perm_b32 v20, v23, v20, s64
	;; [unrolled: 2-line block ×3, first 2 shown]
	v_cvt_f16_f32_e32 v16, v16
	v_cvt_f16_f32_e32 v17, v17
	;; [unrolled: 1-line block ×4, first 2 shown]
	v_cvt_f32_f16_e32 v16, v16
	v_cvt_f32_f16_e32 v17, v17
	v_cvt_f32_f16_e32 v18, v18
	v_cvt_f32_f16_e32 v19, v19
	v_perm_b32 v114, v116, v114, s64
	v_add_f32_e32 v28, v227, v228
	v_mfma_f32_16x16x16f16 v[20:23], v[20:21], v[86:87], v[16:19]
	v_add_f32_e32 v28, v28, v31
	v_add_f32_e32 v28, v28, v230
	s_add_i32 s52, s52, 64
	s_nop 3
	v_cvt_f32_f16_e32 v16, v149
	v_cvt_f32_f16_sdwa v17, v149 dst_sel:DWORD dst_unused:UNUSED_PAD src0_sel:WORD_1
	v_cvt_f32_f16_e32 v18, v106
	v_cvt_f32_f16_sdwa v19, v106 dst_sel:DWORD dst_unused:UNUSED_PAD src0_sel:WORD_1
	s_nop 1
	v_mfma_f32_16x16x16f16 v[16:19], v[114:115], v[90:91], v[16:19]
	ds_read_u16 v31, v182 offset:4384
	ds_read_u16 v106, v189 offset:544
	;; [unrolled: 1-line block ×4, first 2 shown]
	s_waitcnt lgkmcnt(1)
	v_perm_b32 v115, v114, v106, s64
	s_waitcnt lgkmcnt(0)
	v_perm_b32 v114, v116, v31, s64
	v_cndmask_b32_e64 v31, 0, v28, s[16:17]
	s_nop 1
	v_cvt_f16_f32_e32 v16, v16
	v_cvt_f16_f32_e32 v17, v17
	;; [unrolled: 1-line block ×4, first 2 shown]
	v_cvt_f32_f16_e32 v16, v16
	v_cvt_f32_f16_e32 v17, v17
	;; [unrolled: 1-line block ×4, first 2 shown]
	v_add_f32_e32 v28, v229, v31
	v_cndmask_b32_e64 v28, v31, v28, s[18:19]
	v_mfma_f32_16x16x16f16 v[16:19], v[114:115], v[88:89], v[16:19]
	ds_read_u16 v106, v182 offset:8736
	ds_read_u16 v114, v190 offset:544
	;; [unrolled: 1-line block ×4, first 2 shown]
	v_add_f32_e32 v31, v231, v28
	v_cndmask_b32_e64 v28, v28, v31, s[20:21]
	s_waitcnt lgkmcnt(1)
	v_perm_b32 v115, v115, v114, s64
	s_waitcnt lgkmcnt(0)
	v_perm_b32 v114, v116, v106, s64
	s_nop 0
	v_cvt_f16_f32_e32 v16, v16
	v_cvt_f16_f32_e32 v17, v17
	;; [unrolled: 1-line block ×4, first 2 shown]
	v_cvt_f32_f16_e32 v16, v16
	v_cvt_f32_f16_e32 v17, v17
	;; [unrolled: 1-line block ×4, first 2 shown]
	s_nop 1
	v_mfma_f32_16x16x16f16 v[16:19], v[114:115], v[92:93], v[16:19]
	ds_read_u16 v31, v182 offset:13088
	ds_read_u16 v106, v191 offset:544
	;; [unrolled: 1-line block ×4, first 2 shown]
	s_waitcnt lgkmcnt(1)
	v_perm_b32 v115, v114, v106, s64
	s_waitcnt lgkmcnt(0)
	v_perm_b32 v114, v116, v31, s64
	v_pk_mul_f16 v106, v223, v102 op_sel_hi:[0,1]
	s_nop 1
	v_cvt_f16_f32_e32 v16, v16
	v_cvt_f16_f32_e32 v17, v17
	;; [unrolled: 1-line block ×4, first 2 shown]
	ds_read_u16 v102, v182 offset:64
	ds_read_u16 v117, v192 offset:544
	;; [unrolled: 1-line block ×4, first 2 shown]
	v_cvt_f32_f16_e32 v16, v16
	v_cvt_f32_f16_e32 v17, v17
	;; [unrolled: 1-line block ×4, first 2 shown]
	s_waitcnt lgkmcnt(0)
	v_perm_b32 v102, v150, v102, s64
	v_cvt_f32_f16_e32 v116, v106
	v_mfma_f32_16x16x16f16 v[16:19], v[114:115], v[86:87], v[16:19]
	v_cvt_f32_f16_e32 v114, v103
	v_cvt_f32_f16_sdwa v115, v103 dst_sel:DWORD dst_unused:UNUSED_PAD src0_sel:WORD_1
	v_perm_b32 v103, v149, v117, s64
	v_cvt_f32_f16_sdwa v117, v106 dst_sel:DWORD dst_unused:UNUSED_PAD src0_sel:WORD_1
	v_add_f32_e32 v31, v232, v28
	v_cndmask_b32_e64 v28, v28, v31, s[22:23]
	v_add_f32_e32 v27, v27, v28
	v_mfma_f32_16x16x16f16 v[114:117], v[102:103], v[90:91], v[114:117]
	v_cndmask_b32_e64 v27, v28, v27, s[24:25]
	v_add_f32_e32 v26, v26, v27
	s_nop 7
	s_nop 0
	v_cvt_f16_f32_e32 v106, v117
	ds_read_u16 v117, v182 offset:4416
	ds_read_u16 v103, v193 offset:544
	;; [unrolled: 1-line block ×4, first 2 shown]
	v_cvt_f16_f32_e32 v102, v116
	v_cvt_f16_f32_e32 v28, v114
	;; [unrolled: 1-line block ×3, first 2 shown]
	s_waitcnt lgkmcnt(1)
	v_perm_b32 v103, v149, v103, s64
	v_cvt_f32_f16_e32 v116, v102
	s_waitcnt lgkmcnt(0)
	v_perm_b32 v102, v150, v117, s64
	v_cvt_f32_f16_e32 v114, v28
	v_cvt_f32_f16_e32 v115, v31
	;; [unrolled: 1-line block ×3, first 2 shown]
	v_cndmask_b32_e64 v28, v27, v26, s[26:27]
	v_add_f32_e32 v29, v29, v28
	v_mfma_f32_16x16x16f16 v[114:117], v[102:103], v[88:89], v[114:117]
	s_nop 7
	s_nop 2
	v_cvt_f16_f32_e32 v102, v117
	ds_read_u16 v103, v182 offset:8768
	ds_read_u16 v106, v194 offset:544
	;; [unrolled: 1-line block ×4, first 2 shown]
	v_cvt_f16_f32_e32 v26, v114
	v_cvt_f16_f32_e32 v27, v115
	;; [unrolled: 1-line block ×3, first 2 shown]
	v_cvt_f32_f16_e32 v114, v26
	v_cvt_f32_f16_e32 v115, v27
	s_waitcnt lgkmcnt(1)
	v_perm_b32 v27, v117, v106, s64
	s_waitcnt lgkmcnt(0)
	v_perm_b32 v26, v149, v103, s64
	v_cvt_f32_f16_e32 v116, v31
	v_cvt_f32_f16_e32 v117, v102
	v_cndmask_b32_e64 v102, v28, v29, s[28:29]
	v_add_f32_e32 v103, v30, v102
	v_mfma_f32_16x16x16f16 v[26:29], v[26:27], v[92:93], v[114:117]
	ds_read_u16 v30, v182 offset:13120
	ds_read_u16 v31, v195 offset:544
	;; [unrolled: 1-line block ×3, first 2 shown]
	s_nop 3
	ds_read_u16 v114, v183 offset:13392
	s_waitcnt lgkmcnt(1)
	v_perm_b32 v31, v106, v31, s64
	s_waitcnt lgkmcnt(0)
	v_perm_b32 v30, v114, v30, s64
	v_cndmask_b32_e64 v106, v102, v103, s[30:31]
	v_cvt_f16_f32_e32 v26, v26
	v_cvt_f16_f32_e32 v27, v27
	v_cvt_f16_f32_e32 v28, v28
	v_cvt_f16_f32_e32 v29, v29
	v_cvt_f32_f16_e32 v26, v26
	v_cvt_f32_f16_e32 v27, v27
	;; [unrolled: 1-line block ×4, first 2 shown]
	v_pk_mul_f16 v103, v223, v100 op_sel_hi:[0,1]
	v_cvt_f32_f16_e32 v100, v101
	v_mfma_f32_16x16x16f16 v[28:31], v[30:31], v[86:87], v[26:29]
	s_nop 6
	ds_read_u16 v26, v182 offset:96
	ds_read_u16 v27, v196 offset:544
	;; [unrolled: 1-line block ×4, first 2 shown]
	v_cvt_f32_f16_sdwa v101, v101 dst_sel:DWORD dst_unused:UNUSED_PAD src0_sel:WORD_1
	v_cvt_f32_f16_e32 v102, v103
	v_cvt_f32_f16_sdwa v103, v103 dst_sel:DWORD dst_unused:UNUSED_PAD src0_sel:WORD_1
	s_waitcnt lgkmcnt(1)
	v_perm_b32 v115, v114, v27, s64
	s_waitcnt lgkmcnt(0)
	v_perm_b32 v114, v116, v26, s64
	v_add_f32_e32 v25, v25, v106
	v_cndmask_b32_e64 v25, v106, v25, s[34:35]
	v_mfma_f32_16x16x16f16 v[100:103], v[114:115], v[90:91], v[100:103]
	ds_read_u16 v106, v182 offset:4448
	ds_read_u16 v114, v197 offset:544
	;; [unrolled: 1-line block ×4, first 2 shown]
	v_add_f32_e32 v24, v24, v25
	s_nop 5
	v_cvt_f16_f32_e32 v26, v100
	v_cvt_f16_f32_e32 v27, v101
	;; [unrolled: 1-line block ×4, first 2 shown]
	v_cvt_f32_f16_e32 v100, v26
	v_cvt_f32_f16_e32 v101, v27
	s_waitcnt lgkmcnt(1)
	v_perm_b32 v27, v115, v114, s64
	s_waitcnt lgkmcnt(0)
	v_perm_b32 v26, v116, v106, s64
	v_cvt_f32_f16_e32 v102, v102
	v_cvt_f32_f16_e32 v103, v103
	v_cndmask_b32_e64 v106, v25, v24, s[4:5]
	v_add_f32_e32 v114, v216, v106
	v_mfma_f32_16x16x16f16 v[24:27], v[26:27], v[88:89], v[100:103]
	s_nop 6
	ds_read_u16 v100, v182 offset:8800
	ds_read_u16 v101, v198 offset:544
	;; [unrolled: 1-line block ×4, first 2 shown]
	v_pk_mul_f16 v115, v223, v98 op_sel_hi:[0,1]
	v_cvt_f32_f16_e32 v98, v99
	v_cvt_f32_f16_sdwa v99, v99 dst_sel:DWORD dst_unused:UNUSED_PAD src0_sel:WORD_1
	s_waitcnt lgkmcnt(1)
	v_perm_b32 v101, v102, v101, s64
	s_waitcnt lgkmcnt(0)
	v_perm_b32 v100, v103, v100, s64
	v_cndmask_b32_e64 v102, v106, v114, s[36:37]
	v_cvt_f16_f32_e32 v24, v24
	v_cvt_f16_f32_e32 v25, v25
	;; [unrolled: 1-line block ×4, first 2 shown]
	v_cvt_f32_f16_e32 v24, v24
	v_cvt_f32_f16_e32 v25, v25
	;; [unrolled: 1-line block ×4, first 2 shown]
	v_add_f32_e32 v103, v225, v102
	v_cndmask_b32_e64 v106, v102, v103, s[38:39]
	v_mfma_f32_16x16x16f16 v[24:27], v[100:101], v[92:93], v[24:27]
	ds_read_u16 v100, v182 offset:13152
	ds_read_u16 v101, v199 offset:544
	;; [unrolled: 1-line block ×4, first 2 shown]
	v_add_f32_e32 v114, v226, v106
	v_cndmask_b32_e64 v216, v106, v114, s[40:41]
	v_pk_mul_f16 v106, v223, v97 op_sel_hi:[0,1]
	s_waitcnt lgkmcnt(1)
	v_perm_b32 v101, v102, v101, s64
	s_waitcnt lgkmcnt(0)
	v_perm_b32 v100, v103, v100, s64
	v_fmac_f32_e32 v216, v222, v224
	v_cvt_f16_f32_e32 v24, v24
	v_cvt_f16_f32_e32 v25, v25
	v_cvt_f16_f32_e32 v26, v26
	v_cvt_f16_f32_e32 v27, v27
	v_cvt_f32_f16_e32 v24, v24
	v_cvt_f32_f16_e32 v25, v25
	;; [unrolled: 1-line block ×4, first 2 shown]
	s_nop 1
	v_mfma_f32_16x16x16f16 v[24:27], v[100:101], v[86:87], v[24:27]
	ds_read_u16 v101, v182 offset:128
	ds_read_u16 v102, v200 offset:544
	;; [unrolled: 1-line block ×4, first 2 shown]
	v_cvt_f32_f16_e32 v100, v115
	s_waitcnt lgkmcnt(1)
	v_perm_b32 v103, v103, v102, s64
	s_waitcnt lgkmcnt(0)
	v_perm_b32 v102, v116, v101, s64
	v_cvt_f32_f16_sdwa v101, v115 dst_sel:DWORD dst_unused:UNUSED_PAD src0_sel:WORD_1
	v_pk_mul_f16 v116, v223, v145 op_sel_hi:[0,1]
	v_cvt_f16_f32_e32 v26, v26
	v_mfma_f32_16x16x16f16 v[98:101], v[102:103], v[90:91], v[98:101]
	ds_read_u16 v102, v182 offset:4480
	ds_read_u16 v103, v201 offset:544
	;; [unrolled: 1-line block ×4, first 2 shown]
	v_cvt_f16_f32_e32 v27, v27
	s_waitcnt lgkmcnt(1)
	v_perm_b32 v103, v114, v103, s64
	s_waitcnt lgkmcnt(0)
	v_perm_b32 v102, v115, v102, s64
	v_pk_mul_f16 v114, v223, v96 op_sel_hi:[0,1]
	s_nop 0
	v_cvt_f16_f32_e32 v97, v98
	v_cvt_f16_f32_e32 v99, v99
	;; [unrolled: 1-line block ×4, first 2 shown]
	v_cvt_f32_f16_e32 v98, v97
	v_cvt_f32_f16_e32 v99, v99
	;; [unrolled: 1-line block ×4, first 2 shown]
	v_pk_mul_f16 v115, v223, v146 op_sel_hi:[0,1]
	s_nop 0
	v_mfma_f32_16x16x16f16 v[96:99], v[102:103], v[88:89], v[98:101]
	ds_read_u16 v102, v182 offset:8832
	ds_read_u16 v103, v202 offset:544
	;; [unrolled: 1-line block ×4, first 2 shown]
	s_waitcnt lgkmcnt(1)
	v_perm_b32 v103, v117, v103, s64
	s_waitcnt lgkmcnt(0)
	v_perm_b32 v102, v145, v102, s64
	v_cvt_f16_f32_e32 v117, v20
	s_nop 1
	v_cvt_f16_f32_e32 v96, v96
	v_cvt_f16_f32_e32 v97, v97
	;; [unrolled: 1-line block ×4, first 2 shown]
	v_cvt_f32_f16_e32 v98, v96
	v_cvt_f32_f16_e32 v99, v97
	v_cvt_f32_f16_e32 v100, v100
	v_cvt_f32_f16_e32 v101, v101
	v_pk_mul_f16 v97, v223, v137 op_sel_hi:[0,1]
	v_pk_mul_f16 v96, v223, v136 op_sel_hi:[0,1]
	v_mfma_f32_16x16x16f16 v[98:101], v[102:103], v[92:93], v[98:101]
	ds_read_u16 v102, v182 offset:13184
	ds_read_u16 v103, v203 offset:544
	;; [unrolled: 1-line block ×4, first 2 shown]
	v_cvt_f16_f32_e32 v145, v23
	s_waitcnt lgkmcnt(1)
	v_perm_b32 v103, v136, v103, s64
	s_waitcnt lgkmcnt(0)
	v_perm_b32 v102, v137, v102, s64
	v_cvt_f16_f32_e32 v136, v21
	s_nop 0
	v_cvt_f16_f32_e32 v20, v98
	v_cvt_f16_f32_e32 v99, v99
	;; [unrolled: 1-line block ×4, first 2 shown]
	v_cvt_f32_f16_e32 v98, v20
	v_cvt_f32_f16_e32 v99, v99
	;; [unrolled: 1-line block ×4, first 2 shown]
	v_cvt_f16_f32_e32 v137, v22
	v_pack_b32_f16 v150, v117, v136
	v_mfma_f32_16x16x16f16 v[20:23], v[102:103], v[86:87], v[98:101]
	s_nop 6
	ds_read_u16 v101, v182 offset:160
	ds_read_u16 v102, v204 offset:544
	;; [unrolled: 1-line block ×4, first 2 shown]
	v_cvt_f32_f16_e32 v98, v106
	v_cvt_f32_f16_sdwa v99, v106 dst_sel:DWORD dst_unused:UNUSED_PAD src0_sel:WORD_1
	v_cvt_f32_f16_e32 v100, v114
	s_waitcnt lgkmcnt(1)
	v_perm_b32 v103, v103, v102, s64
	s_waitcnt lgkmcnt(0)
	v_perm_b32 v102, v146, v101, s64
	v_cvt_f32_f16_sdwa v101, v114 dst_sel:DWORD dst_unused:UNUSED_PAD src0_sel:WORD_1
	v_cvt_f16_f32_e32 v106, v16
	v_cvt_f16_f32_e32 v136, v19
	v_mfma_f32_16x16x16f16 v[98:101], v[102:103], v[90:91], v[98:101]
	ds_read_u16 v102, v182 offset:4512
	ds_read_u16 v103, v205 offset:544
	;; [unrolled: 1-line block ×4, first 2 shown]
	v_pack_b32_f16 v149, v137, v145
	s_waitcnt lgkmcnt(1)
	v_perm_b32 v103, v114, v103, s64
	s_waitcnt lgkmcnt(0)
	v_perm_b32 v102, v117, v102, s64
	v_cvt_f16_f32_e32 v114, v17
	s_nop 0
	v_cvt_f16_f32_e32 v16, v98
	v_cvt_f16_f32_e32 v99, v99
	;; [unrolled: 1-line block ×4, first 2 shown]
	v_cvt_f32_f16_e32 v98, v16
	v_cvt_f32_f16_e32 v99, v99
	;; [unrolled: 1-line block ×4, first 2 shown]
	v_cvt_f16_f32_e32 v117, v18
	v_pack_b32_f16 v151, v106, v114
	v_mfma_f32_16x16x16f16 v[16:19], v[102:103], v[88:89], v[98:101]
	s_nop 6
	ds_read_u16 v98, v182 offset:8864
	ds_read_u16 v99, v206 offset:544
	;; [unrolled: 1-line block ×4, first 2 shown]
	v_cvt_f16_f32_e32 v102, v30
	v_cvt_f16_f32_e32 v114, v31
	v_pack_b32_f16 v106, v117, v136
	s_waitcnt lgkmcnt(1)
	v_perm_b32 v99, v100, v99, s64
	s_waitcnt lgkmcnt(0)
	v_perm_b32 v98, v101, v98, s64
	v_cvt_f16_f32_e32 v100, v28
	v_cvt_f16_f32_e32 v16, v16
	;; [unrolled: 1-line block ×5, first 2 shown]
	v_cvt_f32_f16_e32 v16, v16
	v_cvt_f32_f16_e32 v17, v17
	;; [unrolled: 1-line block ×4, first 2 shown]
	v_pack_b32_f16 v102, v102, v114
	v_cvt_f16_f32_e32 v114, v23
	v_mfma_f32_16x16x16f16 v[16:19], v[98:99], v[92:93], v[16:19]
	ds_read_u16 v28, v182 offset:13216
	ds_read_u16 v98, v207 offset:544
	;; [unrolled: 1-line block ×4, first 2 shown]
	s_waitcnt lgkmcnt(1)
	v_perm_b32 v99, v99, v98, s64
	s_waitcnt lgkmcnt(0)
	v_perm_b32 v98, v101, v28, s64
	v_cvt_f16_f32_e32 v101, v29
	s_nop 1
	v_cvt_f16_f32_e32 v16, v16
	v_cvt_f16_f32_e32 v17, v17
	;; [unrolled: 1-line block ×4, first 2 shown]
	v_cvt_f32_f16_e32 v16, v16
	v_cvt_f32_f16_e32 v17, v17
	;; [unrolled: 1-line block ×4, first 2 shown]
	s_nop 1
	v_mfma_f32_16x16x16f16 v[28:31], v[98:99], v[86:87], v[16:19]
	s_nop 6
	ds_read_u16 v19, v182 offset:192
	ds_read_u16 v98, v208 offset:544
	;; [unrolled: 1-line block ×4, first 2 shown]
	v_cvt_f32_f16_e32 v16, v115
	v_cvt_f32_f16_sdwa v17, v115 dst_sel:DWORD dst_unused:UNUSED_PAD src0_sel:WORD_1
	v_cvt_f32_f16_e32 v18, v116
	s_waitcnt lgkmcnt(1)
	v_perm_b32 v99, v99, v98, s64
	s_waitcnt lgkmcnt(0)
	v_perm_b32 v98, v103, v19, s64
	v_cvt_f32_f16_sdwa v19, v116 dst_sel:DWORD dst_unused:UNUSED_PAD src0_sel:WORD_1
	v_pack_b32_f16 v103, v100, v101
	v_cvt_f16_f32_e32 v100, v24
	v_mfma_f32_16x16x16f16 v[16:19], v[98:99], v[90:91], v[16:19]
	ds_read_u16 v24, v182 offset:4544
	ds_read_u16 v98, v209 offset:544
	;; [unrolled: 1-line block ×4, first 2 shown]
	s_waitcnt lgkmcnt(1)
	v_perm_b32 v99, v99, v98, s64
	s_waitcnt lgkmcnt(0)
	v_perm_b32 v98, v101, v24, s64
	v_cvt_f16_f32_e32 v101, v25
	s_nop 1
	v_cvt_f16_f32_e32 v16, v16
	v_cvt_f16_f32_e32 v17, v17
	;; [unrolled: 1-line block ×4, first 2 shown]
	v_cvt_f32_f16_e32 v16, v16
	v_cvt_f32_f16_e32 v17, v17
	;; [unrolled: 1-line block ×4, first 2 shown]
	v_pack_b32_f16 v101, v100, v101
	v_pack_b32_f16 v100, v26, v27
	v_mfma_f32_16x16x16f16 v[16:19], v[98:99], v[88:89], v[16:19]
	ds_read_u16 v24, v182 offset:8896
	ds_read_u16 v25, v210 offset:544
	;; [unrolled: 1-line block ×4, first 2 shown]
	v_cvt_f16_f32_e32 v26, v20
	s_waitcnt lgkmcnt(1)
	v_perm_b32 v25, v98, v25, s64
	s_waitcnt lgkmcnt(0)
	v_perm_b32 v24, v99, v24, s64
	v_cvt_f16_f32_e32 v98, v22
	s_nop 0
	v_cvt_f16_f32_e32 v16, v16
	v_cvt_f16_f32_e32 v17, v17
	;; [unrolled: 1-line block ×4, first 2 shown]
	v_cvt_f32_f16_e32 v16, v16
	v_cvt_f32_f16_e32 v17, v17
	v_cvt_f32_f16_e32 v18, v18
	v_cvt_f32_f16_e32 v19, v19
	v_cvt_f32_f16_e32 v22, v96
	v_pack_b32_f16 v98, v98, v114
	v_mfma_f32_16x16x16f16 v[16:19], v[24:25], v[92:93], v[16:19]
	ds_read_u16 v20, v182 offset:13248
	ds_read_u16 v24, v211 offset:544
	;; [unrolled: 1-line block ×4, first 2 shown]
	s_waitcnt lgkmcnt(1)
	v_perm_b32 v25, v25, v24, s64
	s_waitcnt lgkmcnt(0)
	v_perm_b32 v24, v27, v20, s64
	v_cvt_f16_f32_e32 v27, v21
	s_nop 1
	v_cvt_f16_f32_e32 v16, v16
	v_cvt_f16_f32_e32 v17, v17
	;; [unrolled: 1-line block ×4, first 2 shown]
	v_cvt_f32_f16_e32 v16, v16
	v_cvt_f32_f16_e32 v17, v17
	;; [unrolled: 1-line block ×5, first 2 shown]
	v_cvt_f32_f16_sdwa v21, v97 dst_sel:DWORD dst_unused:UNUSED_PAD src0_sel:WORD_1
	v_mfma_f32_16x16x16f16 v[16:19], v[24:25], v[86:87], v[16:19]
	ds_read_u16 v23, v182 offset:224
	ds_read_u16 v24, v212 offset:544
	;; [unrolled: 1-line block ×4, first 2 shown]
	s_waitcnt lgkmcnt(1)
	v_perm_b32 v25, v25, v24, s64
	s_waitcnt lgkmcnt(0)
	v_perm_b32 v24, v99, v23, s64
	v_cvt_f32_f16_sdwa v23, v96 dst_sel:DWORD dst_unused:UNUSED_PAD src0_sel:WORD_1
	v_pack_b32_f16 v99, v26, v27
	v_cvt_f16_f32_e32 v26, v28
	v_mfma_f32_16x16x16f16 v[20:23], v[24:25], v[90:91], v[20:23]
	ds_read_u16 v24, v182 offset:4576
	ds_read_u16 v25, v213 offset:544
	;; [unrolled: 1-line block ×4, first 2 shown]
	v_cvt_f16_f32_e32 v16, v16
	v_cvt_f16_f32_e32 v17, v17
	s_waitcnt lgkmcnt(1)
	v_perm_b32 v25, v27, v25, s64
	s_waitcnt lgkmcnt(0)
	v_perm_b32 v24, v28, v24, s64
	v_cvt_f16_f32_e32 v27, v29
	v_cvt_f16_f32_e32 v20, v20
	v_cvt_f16_f32_e32 v21, v21
	v_cvt_f16_f32_e32 v22, v22
	v_cvt_f16_f32_e32 v23, v23
	v_cvt_f32_f16_e32 v20, v20
	v_cvt_f32_f16_e32 v21, v21
	;; [unrolled: 1-line block ×4, first 2 shown]
	v_cvt_f16_f32_e32 v28, v30
	v_cvt_f16_f32_e32 v29, v31
	v_mfma_f32_16x16x16f16 v[20:23], v[24:25], v[88:89], v[20:23]
	ds_read_u16 v24, v182 offset:8928
	ds_read_u16 v25, v214 offset:544
	;; [unrolled: 1-line block ×4, first 2 shown]
	v_pack_b32_f16 v97, v26, v27
	v_pack_b32_f16 v96, v28, v29
	v_cvt_f16_f32_e32 v28, v18
	s_waitcnt lgkmcnt(1)
	v_perm_b32 v25, v30, v25, s64
	s_waitcnt lgkmcnt(0)
	v_perm_b32 v24, v31, v24, s64
	v_cvt_f16_f32_e32 v29, v19
	v_cvt_f16_f32_e32 v20, v20
	;; [unrolled: 1-line block ×5, first 2 shown]
	v_cvt_f32_f16_e32 v20, v20
	v_cvt_f32_f16_e32 v21, v21
	;; [unrolled: 1-line block ×4, first 2 shown]
	v_pack_b32_f16 v146, v16, v17
	v_pack_b32_f16 v145, v28, v29
	v_mfma_f32_16x16x16f16 v[20:23], v[24:25], v[92:93], v[20:23]
	s_nop 7
	s_nop 2
	v_cvt_f16_f32_e32 v24, v20
	v_cvt_f16_f32_e32 v25, v21
	;; [unrolled: 1-line block ×4, first 2 shown]
	ds_read_u16 v21, v182 offset:13280
	ds_read_u16 v22, v215 offset:544
	;; [unrolled: 1-line block ×4, first 2 shown]
	v_cvt_f32_f16_e32 v24, v24
	v_cvt_f32_f16_e32 v25, v25
	;; [unrolled: 1-line block ×3, first 2 shown]
	s_waitcnt lgkmcnt(1)
	v_perm_b32 v23, v23, v22, s64
	s_waitcnt lgkmcnt(0)
	v_perm_b32 v22, v27, v21, s64
	v_cvt_f32_f16_e32 v27, v20
	s_barrier
	s_nop 0
	v_mfma_f32_16x16x16f16 v[18:21], v[22:23], v[86:87], v[24:27]
	s_nop 7
	s_nop 2
	v_cvt_f16_f32_e32 v18, v18
	v_cvt_f16_f32_e32 v19, v19
	;; [unrolled: 1-line block ×4, first 2 shown]
	v_pack_b32_f16 v137, v18, v19
	v_pack_b32_f16 v136, v20, v21
	s_cbranch_vccz .LBB24_515
; %bb.513:                              ;   in Loop: Header=BB24_500 Depth=1
	v_mov_b32_e32 v222, v216
	v_mov_b32_e32 v86, v37
	s_branch .LBB24_500
.LBB24_514:
	v_mov_b32_e32 v216, 0
	v_mov_b32_e32 v37, 0xfeffffff
	;; [unrolled: 1-line block ×17, first 2 shown]
	s_branch .LBB24_516
.LBB24_515:
	v_add_u32_e32 v204, 60, v130
	v_add_u32_e32 v205, 56, v130
	;; [unrolled: 1-line block ×4, first 2 shown]
.LBB24_516:
	s_lshl_b32 s48, s54, 6
	v_readlane_b32 s4, v253, 4
	s_sub_i32 s50, s4, s48
	s_cmp_lg_u64 s[46:47], 0
	s_cselect_b64 s[6:7], -1, 0
	s_ashr_i32 s49, s48, 31
	s_cmp_eq_u64 s[46:47], 0
	v_readlane_b32 s51, v253, 12
	v_readlane_b32 s54, v253, 17
	;; [unrolled: 1-line block ×3, first 2 shown]
	s_cbranch_scc1 .LBB24_550
; %bb.517:
	s_lshl_b64 s[4:5], s[48:49], 1
	s_add_u32 s4, s46, s4
	s_addc_u32 s5, s47, s5
	v_mov_b32_e32 v17, s5
	v_add_co_u32_e64 v16, s[4:5], s4, v152
	v_cmp_gt_i32_e32 vcc, s50, v34
	v_mov_b32_e32 v18, 0
	v_addc_co_u32_e64 v17, s[4:5], 0, v17, s[4:5]
	v_mov_b32_e32 v20, 0
	s_and_saveexec_b64 s[8:9], vcc
	s_cbranch_execz .LBB24_519
; %bb.518:
	v_readlane_b32 s4, v253, 13
	v_mul_hi_u32 v19, s4, v107
	v_readlane_b32 s5, v253, 14
	v_add_u32_e32 v19, v107, v19
	v_lshrrev_b32_e32 v19, s5, v19
	v_mul_lo_u32 v19, v19, s60
	v_sub_u32_e32 v19, v107, v19
	v_mad_i64_i32 v[20:21], s[4:5], v19, s98, 0
	v_lshlrev_b64 v[20:21], 1, v[20:21]
	v_add_co_u32_e64 v20, s[4:5], v16, v20
	v_addc_co_u32_e64 v21, s[4:5], v17, v21, s[4:5]
	flat_load_ushort v20, v[20:21]
.LBB24_519:
	s_or_b64 exec, exec, s[8:9]
	s_movk_i32 s4, 0x90
	v_mad_u32_u24 v19, v130, s4, 0
	v_lshl_add_u32 v21, v34, 1, v19
	s_waitcnt vmcnt(0) lgkmcnt(0)
	ds_write_b16 v21, v20 offset:17408
	s_and_saveexec_b64 s[8:9], vcc
	s_cbranch_execz .LBB24_521
; %bb.520:
	v_readlane_b32 s4, v253, 13
	v_mul_hi_u32 v18, s4, v108
	v_readlane_b32 s5, v253, 14
	v_add_u32_e32 v18, v108, v18
	v_lshrrev_b32_e32 v18, s5, v18
	v_mul_lo_u32 v18, v18, s60
	v_sub_u32_e32 v18, v108, v18
	v_mad_i64_i32 v[20:21], s[4:5], v18, s98, 0
	v_lshlrev_b64 v[20:21], 1, v[20:21]
	v_add_co_u32_e64 v20, s[4:5], v16, v20
	v_addc_co_u32_e64 v21, s[4:5], v17, v21, s[4:5]
	flat_load_ushort v18, v[20:21]
.LBB24_521:
	s_or_b64 exec, exec, s[8:9]
	v_add_u32_e32 v19, 0x240, v19
	v_lshl_add_u32 v20, v34, 1, v19
	s_waitcnt vmcnt(0) lgkmcnt(0)
	ds_write_b16 v20, v18 offset:17408
	v_mov_b32_e32 v18, 0
	v_mov_b32_e32 v20, 0
	s_and_saveexec_b64 s[8:9], vcc
	s_cbranch_execz .LBB24_523
; %bb.522:
	v_readlane_b32 s4, v253, 13
	v_mul_hi_u32 v20, s4, v109
	v_readlane_b32 s5, v253, 14
	v_add_u32_e32 v20, v109, v20
	v_lshrrev_b32_e32 v20, s5, v20
	v_mul_lo_u32 v20, v20, s60
	v_sub_u32_e32 v20, v109, v20
	v_mad_i64_i32 v[20:21], s[4:5], v20, s98, 0
	v_lshlrev_b64 v[20:21], 1, v[20:21]
	v_add_co_u32_e64 v20, s[4:5], v16, v20
	v_addc_co_u32_e64 v21, s[4:5], v17, v21, s[4:5]
	flat_load_ushort v20, v[20:21]
.LBB24_523:
	s_or_b64 exec, exec, s[8:9]
	v_add_u32_e32 v19, 0x240, v19
	v_lshl_add_u32 v21, v34, 1, v19
	s_waitcnt vmcnt(0) lgkmcnt(0)
	ds_write_b16 v21, v20 offset:17408
	s_and_saveexec_b64 s[8:9], vcc
	s_cbranch_execz .LBB24_525
; %bb.524:
	v_readlane_b32 s4, v253, 13
	v_mul_hi_u32 v18, s4, v110
	v_readlane_b32 s5, v253, 14
	v_add_u32_e32 v18, v110, v18
	v_lshrrev_b32_e32 v18, s5, v18
	v_mul_lo_u32 v18, v18, s60
	v_sub_u32_e32 v18, v110, v18
	v_mad_i64_i32 v[20:21], s[4:5], v18, s98, 0
	v_lshlrev_b64 v[20:21], 1, v[20:21]
	v_add_co_u32_e64 v20, s[4:5], v16, v20
	v_addc_co_u32_e64 v21, s[4:5], v17, v21, s[4:5]
	flat_load_ushort v18, v[20:21]
.LBB24_525:
	s_or_b64 exec, exec, s[8:9]
	v_add_u32_e32 v19, 0x240, v19
	v_lshl_add_u32 v20, v34, 1, v19
	s_waitcnt vmcnt(0) lgkmcnt(0)
	ds_write_b16 v20, v18 offset:17408
	v_mov_b32_e32 v18, 0
	v_mov_b32_e32 v20, 0
	s_and_saveexec_b64 s[8:9], vcc
	s_cbranch_execz .LBB24_527
; %bb.526:
	v_readlane_b32 s4, v253, 13
	v_mul_hi_u32 v20, s4, v111
	v_readlane_b32 s5, v253, 14
	v_add_u32_e32 v20, v111, v20
	v_lshrrev_b32_e32 v20, s5, v20
	v_mul_lo_u32 v20, v20, s60
	v_sub_u32_e32 v20, v111, v20
	v_mad_i64_i32 v[20:21], s[4:5], v20, s98, 0
	v_lshlrev_b64 v[20:21], 1, v[20:21]
	v_add_co_u32_e64 v20, s[4:5], v16, v20
	v_addc_co_u32_e64 v21, s[4:5], v17, v21, s[4:5]
	flat_load_ushort v20, v[20:21]
.LBB24_527:
	s_or_b64 exec, exec, s[8:9]
	v_add_u32_e32 v19, 0x240, v19
	;; [unrolled: 44-line block ×7, first 2 shown]
	v_lshl_add_u32 v19, v34, 1, v19
	s_waitcnt vmcnt(0) lgkmcnt(0)
	ds_write_b16 v19, v20 offset:17408
	s_and_saveexec_b64 s[4:5], vcc
	s_cbranch_execz .LBB24_549
; %bb.548:
	v_readlane_b32 s8, v253, 13
	v_mul_hi_u32 v18, s8, v144
	v_readlane_b32 s9, v253, 14
	v_add_u32_e32 v18, v144, v18
	v_lshrrev_b32_e32 v18, s9, v18
	v_mul_lo_u32 v18, v18, s60
	v_sub_u32_e32 v18, v144, v18
	v_mad_i64_i32 v[20:21], s[8:9], v18, s98, 0
	v_lshlrev_b64 v[20:21], 1, v[20:21]
	v_add_co_u32_e32 v16, vcc, v16, v20
	v_addc_co_u32_e32 v17, vcc, v17, v21, vcc
	flat_load_ushort v18, v[16:17]
.LBB24_549:
	s_or_b64 exec, exec, s[4:5]
	s_waitcnt vmcnt(0) lgkmcnt(0)
	ds_write_b16 v19, v18 offset:17984
.LBB24_550:
	v_lshlrev_b32_e32 v42, 2, v130
	s_mul_hi_i32 s5, s48, s72
	s_mul_i32 s4, s48, s72
	v_add_u32_e32 v41, v42, v148
	s_lshl_b64 s[4:5], s[4:5], 2
	v_mov_b32_e32 v16, 0
	v_mul_lo_u32 v20, s72, v41
	s_add_u32 s8, s56, s4
	buffer_store_dword v16, off, s[0:3], 0
	buffer_store_dword v16, off, s[0:3], 0 offset:4
	buffer_store_dword v16, off, s[0:3], 0 offset:8
	;; [unrolled: 1-line block ×3, first 2 shown]
	v_and_b32_e32 v16, 60, v147
	v_ashrrev_i32_e32 v21, 31, v20
	s_addc_u32 s9, s57, s5
	v_lshlrev_b32_e32 v38, 2, v16
	v_lshlrev_b64 v[16:17], 2, v[20:21]
	v_mov_b32_e32 v18, s9
	v_add_co_u32_e32 v16, vcc, s8, v16
	v_addc_co_u32_e32 v17, vcc, v18, v17, vcc
	s_mov_b64 s[4:5], src_private_base
	v_add_co_u32_e32 v16, vcc, v16, v38
	v_addc_co_u32_e32 v17, vcc, 0, v17, vcc
	v_mov_b32_e32 v24, s5
	v_cmp_gt_i32_e64 s[40:41], s50, v41
	v_mov_b32_e32 v25, 0
	v_cndmask_b32_e64 v17, v24, v17, s[40:41]
	v_cndmask_b32_e64 v16, v25, v16, s[40:41]
	flat_load_dwordx4 v[16:19], v[16:17]
	s_lshl_b32 s4, s72, 4
	v_mul_u32_u24_e32 v21, 0x110, v41
	v_add_u32_e32 v20, s4, v20
	v_add3_u32 v40, 0, v21, v38
	v_ashrrev_i32_e32 v21, 31, v20
	v_lshlrev_b64 v[22:23], 2, v[20:21]
	v_mov_b32_e32 v27, s9
	v_add_co_u32_e32 v21, vcc, s8, v22
	v_addc_co_u32_e32 v22, vcc, v27, v23, vcc
	v_add_u32_e32 v26, 16, v41
	v_add_co_u32_e32 v21, vcc, v21, v38
	v_addc_co_u32_e32 v22, vcc, 0, v22, vcc
	v_cmp_gt_i32_e64 s[38:39], s50, v26
	v_cndmask_b32_e64 v23, v24, v22, s[38:39]
	v_cndmask_b32_e64 v22, v25, v21, s[38:39]
	v_add_u32_e32 v20, s4, v20
	v_ashrrev_i32_e32 v21, 31, v20
	v_add_u32_e32 v26, 32, v41
	v_cmp_gt_i32_e64 s[36:37], s50, v26
	v_add3_u32 v32, 0, v141, v142
	v_add_u32_e32 v33, 0x1000, v32
	v_add_u32_e32 v39, 0x2000, v32
	;; [unrolled: 1-line block ×3, first 2 shown]
	s_waitcnt vmcnt(0) lgkmcnt(0)
	ds_write_b128 v40, v[16:19]
	flat_load_dwordx4 v[16:19], v[22:23]
	v_lshlrev_b64 v[22:23], 2, v[20:21]
	v_add_co_u32_e32 v21, vcc, s8, v22
	v_addc_co_u32_e32 v22, vcc, v27, v23, vcc
	v_add_co_u32_e32 v21, vcc, v21, v38
	v_addc_co_u32_e32 v22, vcc, 0, v22, vcc
	v_cndmask_b32_e64 v23, v24, v22, s[36:37]
	v_cndmask_b32_e64 v22, v25, v21, s[36:37]
	v_add_u32_e32 v20, s4, v20
	v_ashrrev_i32_e32 v21, 31, v20
	v_lshlrev_b64 v[20:21], 2, v[20:21]
	v_add_co_u32_e32 v20, vcc, s8, v20
	s_waitcnt vmcnt(0) lgkmcnt(0)
	ds_write_b128 v40, v[16:19] offset:4352
	flat_load_dwordx4 v[16:19], v[22:23]
	v_mov_b32_e32 v23, s9
	v_addc_co_u32_e32 v21, vcc, v23, v21, vcc
	v_add_u32_e32 v22, 48, v41
	v_add_co_u32_e32 v20, vcc, v20, v38
	v_addc_co_u32_e32 v21, vcc, 0, v21, vcc
	v_cmp_gt_i32_e64 s[34:35], s50, v22
	v_cndmask_b32_e64 v21, v24, v21, s[34:35]
	v_cndmask_b32_e64 v20, v25, v20, s[34:35]
	s_and_b64 vcc, exec, s[6:7]
	s_waitcnt vmcnt(0) lgkmcnt(0)
	ds_write_b128 v40, v[16:19] offset:8704
	flat_load_dwordx4 v[16:19], v[20:21]
	s_waitcnt vmcnt(0) lgkmcnt(0)
	ds_write_b128 v40, v[16:19] offset:13056
	s_waitcnt lgkmcnt(0)
	s_barrier
	ds_read2_b64 v[16:19], v32 offset1:4
	ds_read2_b64 v[24:27], v33 offset0:32 offset1:36
	ds_read2_b64 v[44:47], v39 offset0:64 offset1:68
	;; [unrolled: 1-line block ×3, first 2 shown]
	s_waitcnt lgkmcnt(3)
	v_mfma_f32_16x16x16f16 v[20:23], v[16:17], v[12:13], 0
	s_waitcnt lgkmcnt(2)
	v_mfma_f32_16x16x16f16 v[28:31], v[24:25], v[12:13], 0
	;; [unrolled: 2-line block ×4, first 2 shown]
	v_mfma_f32_16x16x16f16 v[16:19], v[18:19], v[14:15], v[20:23]
	v_mfma_f32_16x16x16f16 v[20:23], v[26:27], v[14:15], v[28:31]
	v_mfma_f32_16x16x16f16 v[24:27], v[46:47], v[14:15], v[48:51]
	s_nop 5
	ds_read2_b64 v[28:31], v32 offset0:8 offset1:12
	ds_read2_b64 v[44:47], v33 offset0:40 offset1:44
	v_mfma_f32_16x16x16f16 v[12:15], v[54:55], v[14:15], v[56:59]
	ds_read2_b64 v[48:51], v39 offset0:72 offset1:76
	ds_read2_b64 v[52:55], v43 offset0:104 offset1:108
	s_waitcnt lgkmcnt(3)
	v_mfma_f32_16x16x16f16 v[16:19], v[28:29], v[8:9], v[16:19]
	s_waitcnt lgkmcnt(2)
	v_mfma_f32_16x16x16f16 v[20:23], v[44:45], v[8:9], v[20:23]
	;; [unrolled: 2-line block ×4, first 2 shown]
	v_mfma_f32_16x16x16f16 v[16:19], v[30:31], v[10:11], v[16:19]
	ds_read2_b64 v[28:31], v33 offset0:48 offset1:52
	v_mfma_f32_16x16x16f16 v[20:23], v[46:47], v[10:11], v[20:23]
	ds_read2_b64 v[44:47], v39 offset0:80 offset1:84
	;; [unrolled: 2-line block ×4, first 2 shown]
	s_nop 5
	ds_read2_b64 v[12:15], v32 offset0:16 offset1:20
	s_waitcnt lgkmcnt(0)
	v_mfma_f32_16x16x16f16 v[16:19], v[12:13], v[4:5], v[16:19]
	v_mfma_f32_16x16x16f16 v[20:23], v[28:29], v[4:5], v[20:23]
	;; [unrolled: 1-line block ×7, first 2 shown]
	ds_read2_b64 v[44:47], v39 offset0:88 offset1:92
	v_and_b32_e32 v39, 0xfc, v105
	v_mfma_f32_16x16x16f16 v[4:7], v[50:51], v[6:7], v[8:11]
	s_nop 3
	ds_read2_b64 v[24:27], v33 offset0:56 offset1:60
	s_nop 1
	ds_read2_b64 v[8:11], v32 offset0:24 offset1:28
	s_waitcnt lgkmcnt(0)
	v_mfma_f32_16x16x16f16 v[12:15], v[8:9], v[0:1], v[12:15]
	s_barrier
	v_mfma_f32_16x16x16f16 v[28:31], v[24:25], v[0:1], v[16:19]
	v_mfma_f32_16x16x16f16 v[48:51], v[44:45], v[0:1], v[20:23]
	v_add_u32_e32 v45, 32, v39
	v_mfma_f32_16x16x16f16 v[4:7], v[52:53], v[0:1], v[4:7]
	v_add_u32_e32 v0, 16, v39
	v_add_u32_e32 v1, 18, v39
	v_mfma_f32_16x16x16f16 v[18:21], v[10:11], v[2:3], v[12:15]
	v_mfma_f32_16x16x16f16 v[22:25], v[26:27], v[2:3], v[28:31]
	;; [unrolled: 1-line block ×3, first 2 shown]
	v_add_u32_e32 v47, 34, v39
	v_mfma_f32_16x16x16f16 v[30:33], v[54:55], v[2:3], v[4:7]
	s_nop 4
	v_add_u32_e32 v49, 48, v39
	v_add_u32_e32 v51, 50, v39
	s_cbranch_vccz .LBB24_552
; %bb.551:
	s_movk_i32 s4, 0x90
	v_mad_u32_u24 v44, v131, s4, 0
	v_lshl_add_u32 v2, v39, 1, v44
	v_add_u32_e32 v3, v44, v126
	ds_read_b32 v9, v2 offset:17408
	ds_read_b32 v7, v3 offset:17408
	v_add_u32_e32 v43, 16, v39
	v_add_u32_e32 v48, 32, v39
	v_lshlrev_b32_e32 v4, 1, v43
	s_movk_i32 s4, 0x4400
	v_lshlrev_b32_e32 v2, 1, v48
	v_add3_u32 v4, v44, v4, s4
	v_add3_u32 v5, v44, v2, s4
	ds_read2_b32 v[2:3], v4 offset1:1
	ds_read2_b32 v[4:5], v5 offset1:1
	s_waitcnt lgkmcnt(2)
	v_cvt_f32_f16_e32 v6, v7
	v_cvt_f32_f16_sdwa v7, v7 dst_sel:DWORD dst_unused:UNUSED_PAD src0_sel:WORD_1
	v_add_u32_e32 v52, 48, v39
	s_waitcnt lgkmcnt(1)
	v_cvt_f32_f16_e32 v10, v3
	v_cvt_f32_f16_sdwa v11, v3 dst_sel:DWORD dst_unused:UNUSED_PAD src0_sel:WORD_1
	v_pk_fma_f32 v[16:17], v[36:37], v[6:7], v[20:21] op_sel_hi:[0,1,1]
	v_cvt_f32_f16_e32 v6, v2
	v_cvt_f32_f16_sdwa v7, v2 dst_sel:DWORD dst_unused:UNUSED_PAD src0_sel:WORD_1
	s_waitcnt lgkmcnt(0)
	v_cvt_f32_f16_e32 v2, v5
	v_cvt_f32_f16_sdwa v3, v5 dst_sel:DWORD dst_unused:UNUSED_PAD src0_sel:WORD_1
	v_lshlrev_b32_e32 v5, 1, v52
	v_add3_u32 v5, v44, v5, s4
	v_pk_fma_f32 v[12:13], v[36:37], v[10:11], v[24:25] op_sel_hi:[0,1,1]
	v_pk_fma_f32 v[10:11], v[36:37], v[6:7], v[22:23] op_sel_hi:[0,1,1]
	ds_read2_b32 v[6:7], v5 offset1:1
	v_cvt_f32_f16_e32 v8, v9
	v_cvt_f32_f16_sdwa v9, v9 dst_sel:DWORD dst_unused:UNUSED_PAD src0_sel:WORD_1
	v_cvt_f32_f16_e32 v56, v4
	v_cvt_f32_f16_sdwa v57, v4 dst_sel:DWORD dst_unused:UNUSED_PAD src0_sel:WORD_1
	s_waitcnt lgkmcnt(0)
	v_cvt_f32_f16_e32 v4, v7
	v_pk_fma_f32 v[14:15], v[36:37], v[8:9], v[18:19] op_sel_hi:[0,1,1]
	v_pk_fma_f32 v[8:9], v[36:37], v[2:3], v[28:29] op_sel_hi:[0,1,1]
	v_cvt_f32_f16_e32 v2, v6
	v_cvt_f32_f16_sdwa v5, v7 dst_sel:DWORD dst_unused:UNUSED_PAD src0_sel:WORD_1
	v_cvt_f32_f16_sdwa v3, v6 dst_sel:DWORD dst_unused:UNUSED_PAD src0_sel:WORD_1
	v_add_u32_e32 v54, 18, v39
	v_add_u32_e32 v55, 34, v39
	v_pk_fma_f32 v[6:7], v[36:37], v[56:57], v[26:27] op_sel_hi:[0,1,1]
	v_add_u32_e32 v53, 50, v39
	v_pk_fma_f32 v[4:5], v[36:37], v[4:5], v[32:33] op_sel_hi:[0,1,1]
	v_pk_fma_f32 v[2:3], v[36:37], v[2:3], v[30:31] op_sel_hi:[0,1,1]
	s_mov_b64 s[4:5], 0
	s_branch .LBB24_553
.LBB24_552:
	s_mov_b64 s[4:5], -1
                                        ; implicit-def: $vgpr14_vgpr15_vgpr16_vgpr17
                                        ; implicit-def: $vgpr10_vgpr11_vgpr12_vgpr13
                                        ; implicit-def: $vgpr6_vgpr7_vgpr8_vgpr9
                                        ; implicit-def: $vgpr2_vgpr3_vgpr4_vgpr5
                                        ; implicit-def: $vgpr43
                                        ; implicit-def: $vgpr54
                                        ; implicit-def: $vgpr48
                                        ; implicit-def: $vgpr55
                                        ; implicit-def: $vgpr52
                                        ; implicit-def: $vgpr53
.LBB24_553:
	v_readlane_b32 s8, v253, 31
	v_readlane_b32 s22, v253, 45
	;; [unrolled: 1-line block ×3, first 2 shown]
	s_mov_b64 s[58:59], s[22:23]
	v_add_u32_e32 v44, 0x1100, v40
	v_add_u32_e32 v46, 0x2200, v40
	s_andn2_b64 vcc, exec, s[4:5]
	v_add_u32_e32 v50, 0x3300, v40
	v_readlane_b32 s9, v253, 32
	v_readlane_b32 s10, v253, 33
	v_readlane_b32 s11, v253, 34
	v_readlane_b32 s12, v253, 35
	v_readlane_b32 s13, v253, 36
	v_readlane_b32 s14, v253, 37
	v_readlane_b32 s15, v253, 38
	v_readlane_b32 s16, v253, 39
	v_readlane_b32 s17, v253, 40
	v_readlane_b32 s18, v253, 41
	v_readlane_b32 s19, v253, 42
	v_readlane_b32 s20, v253, 43
	v_readlane_b32 s21, v253, 44
	s_cbranch_vccnz .LBB24_555
; %bb.554:
	v_pk_mov_b32 v[2:3], v[30:31], v[30:31] op_sel:[0,1]
	v_pk_mov_b32 v[6:7], v[26:27], v[26:27] op_sel:[0,1]
	v_pk_mov_b32 v[10:11], v[22:23], v[22:23] op_sel:[0,1]
	v_pk_mov_b32 v[14:15], v[18:19], v[18:19] op_sel:[0,1]
	v_mov_b32_e32 v53, v51
	v_mov_b32_e32 v52, v49
	;; [unrolled: 1-line block ×6, first 2 shown]
	v_pk_mov_b32 v[4:5], v[32:33], v[32:33] op_sel:[0,1]
	v_pk_mov_b32 v[8:9], v[28:29], v[28:29] op_sel:[0,1]
	;; [unrolled: 1-line block ×4, first 2 shown]
.LBB24_555:
	v_add_f32_e32 v0, 0x40051340, v14
	v_max_f32_e32 v1, v37, v37
	v_max_f32_e32 v0, v1, v0
	v_cmp_gt_u32_e64 s[42:43], s50, v39
	v_cndmask_b32_e64 v0, v37, v0, s[42:43]
	v_or_b32_e32 v1, 1, v39
	v_add_f32_e32 v18, 0x40051340, v15
	v_max_f32_e32 v19, v0, v0
	v_max_f32_e32 v18, v19, v18
	v_cmp_gt_u32_e64 s[30:31], s50, v1
	v_cndmask_b32_e64 v0, v0, v18, s[30:31]
	v_or_b32_e32 v1, 2, v39
	;; [unrolled: 6-line block ×3, first 2 shown]
	v_add_f32_e32 v1, 0x40051340, v17
	v_max_f32_e32 v18, v0, v0
	v_max_f32_e32 v1, v18, v1
	v_cmp_gt_u32_e64 s[28:29], s50, v20
	v_cndmask_b32_e64 v0, v0, v1, s[28:29]
	v_add_f32_e32 v1, 0x40051340, v10
	v_max_f32_e32 v18, v0, v0
	v_max_f32_e32 v1, v18, v1
	v_cmp_gt_u32_e64 s[24:25], s50, v43
	v_cndmask_b32_e64 v0, v0, v1, s[24:25]
	v_add_u32_e32 v1, 17, v39
	v_add_f32_e32 v18, 0x40051340, v11
	v_max_f32_e32 v19, v0, v0
	v_max_f32_e32 v18, v19, v18
	v_cmp_gt_u32_e64 s[22:23], s50, v1
	v_cndmask_b32_e64 v0, v0, v18, s[22:23]
	v_add_f32_e32 v1, 0x40051340, v12
	v_max_f32_e32 v18, v0, v0
	v_max_f32_e32 v1, v18, v1
	v_cmp_gt_u32_e64 s[20:21], s50, v54
	v_cndmask_b32_e64 v0, v0, v1, s[20:21]
	v_add_u32_e32 v1, 19, v39
	;; [unrolled: 11-line block ×6, first 2 shown]
	v_add_f32_e32 v18, 0x40051340, v5
	v_max_f32_e32 v19, v0, v0
	v_max_f32_e32 v18, v19, v18
	v_cmp_gt_u32_e32 vcc, s50, v1
	v_cndmask_b32_e32 v0, v0, v18, vcc
	v_mbcnt_hi_u32_b32 v18, -1, v104
	v_and_b32_e32 v1, 64, v18
	v_add_u32_e32 v19, 64, v1
	v_xor_b32_e32 v1, 32, v18
	v_cmp_lt_i32_e64 s[8:9], v1, v19
	v_cndmask_b32_e64 v1, v18, v1, s[8:9]
	v_lshlrev_b32_e32 v1, 2, v1
	ds_bpermute_b32 v21, v1, v0
	v_max_f32_e32 v0, v0, v0
	s_mov_b32 s49, 0x3fb8aa3b
	s_mov_b32 s50, 0xc2ce8ed0
	;; [unrolled: 1-line block ×3, first 2 shown]
	s_waitcnt lgkmcnt(0)
	v_max_f32_e32 v21, v21, v21
	v_max_f32_e32 v0, v0, v21
	v_xor_b32_e32 v21, 16, v18
	v_cmp_lt_i32_e64 s[8:9], v21, v19
	v_cndmask_b32_e64 v18, v18, v21, s[8:9]
	v_lshlrev_b32_e32 v43, 2, v18
	ds_bpermute_b32 v18, v43, v0
	v_mul_lo_u32 v28, s96, v41
	v_ashrrev_i32_e32 v29, 31, v28
	s_mov_b64 s[52:53], src_private_base
	v_mov_b32_e32 v32, 0
	s_waitcnt lgkmcnt(0)
	v_max_f32_e32 v18, v18, v18
	v_max_f32_e32 v36, v0, v18
	v_sub_f32_e32 v0, v14, v36
	v_mul_f32_e32 v14, 0x3fb8aa3b, v0
	v_fma_f32 v18, v0, s49, -v14
	v_rndne_f32_e32 v19, v14
	v_fmac_f32_e32 v18, 0x32a5705f, v0
	v_sub_f32_e32 v14, v14, v19
	v_sub_f32_e32 v15, v15, v36
	v_add_f32_e32 v14, v14, v18
	v_cvt_i32_f32_e32 v18, v19
	v_mul_f32_e32 v19, 0x3fb8aa3b, v15
	v_fma_f32 v21, v15, s49, -v19
	v_rndne_f32_e32 v22, v19
	v_exp_f32_e32 v14, v14
	v_fmac_f32_e32 v21, 0x32a5705f, v15
	v_sub_f32_e32 v19, v19, v22
	v_add_f32_e32 v19, v19, v21
	v_exp_f32_e32 v19, v19
	v_cvt_i32_f32_e32 v21, v22
	v_ldexp_f32 v14, v14, v18
	v_cmp_ngt_f32_e64 s[8:9], s50, v0
	v_cndmask_b32_e64 v18, 0, v14, s[8:9]
	v_mov_b32_e32 v14, 0x7f800000
	v_cmp_nlt_f32_e64 s[8:9], s47, v0
	v_cndmask_b32_e64 v0, v14, v18, s[8:9]
	v_ldexp_f32 v18, v19, v21
	v_cmp_ngt_f32_e64 s[8:9], s50, v15
	v_cndmask_b32_e64 v18, 0, v18, s[8:9]
	v_cmp_nlt_f32_e64 s[8:9], s47, v15
	v_cndmask_b32_e64 v18, v14, v18, s[8:9]
	s_mul_hi_i32 s9, s48, s96
	s_mul_i32 s8, s48, s96
	s_lshl_b64 s[8:9], s[8:9], 2
	s_add_u32 s33, s33, s8
	v_cndmask_b32_e64 v0, 0, v0, s[42:43]
	s_addc_u32 s42, s55, s9
	v_lshlrev_b64 v[22:23], 2, v[28:29]
	v_cndmask_b32_e64 v15, v16, v16, s[30:31]
	v_mov_b32_e32 v16, s42
	v_add_co_u32_e64 v19, s[8:9], s33, v22
	v_addc_co_u32_e64 v16, s[8:9], v16, v23, s[8:9]
	v_add_co_u32_e64 v19, s[8:9], v19, v38
	v_addc_co_u32_e64 v16, s[8:9], 0, v16, s[8:9]
	v_mov_b32_e32 v21, s53
	v_cndmask_b32_e64 v23, v21, v16, s[40:41]
	v_mov_b32_e32 v16, 0
	v_cndmask_b32_e64 v22, v32, v19, s[40:41]
	buffer_store_dword v16, off, s[0:3], 0
	buffer_store_dword v16, off, s[0:3], 0 offset:4
	buffer_store_dword v16, off, s[0:3], 0 offset:8
	;; [unrolled: 1-line block ×3, first 2 shown]
	flat_load_dwordx4 v[24:27], v[22:23]
	v_sub_f32_e32 v16, v15, v36
	v_mul_f32_e32 v15, 0x3fb8aa3b, v16
	v_fma_f32 v19, v16, s49, -v15
	v_rndne_f32_e32 v22, v15
	v_fmac_f32_e32 v19, 0x32a5705f, v16
	v_sub_f32_e32 v15, v15, v22
	v_add_f32_e32 v15, v15, v19
	v_exp_f32_e32 v19, v15
	v_cvt_i32_f32_e32 v22, v22
	s_mov_b32 s46, 0
	v_cndmask_b32_e64 v17, v17, v17, s[30:31]
	v_mov_b32_e32 v15, s46
	v_sub_f32_e32 v17, v17, v36
	v_cndmask_b32_e64 v33, v15, v18, s[30:31]
	v_ldexp_f32 v15, v19, v22
	v_mul_f32_e32 v19, 0x3fb8aa3b, v17
	v_fma_f32 v22, v17, s49, -v19
	v_rndne_f32_e32 v23, v19
	v_fmac_f32_e32 v22, 0x32a5705f, v17
	v_sub_f32_e32 v19, v19, v23
	v_add_f32_e32 v19, v19, v22
	v_cmp_ngt_f32_e64 s[8:9], s50, v16
	v_exp_f32_e32 v22, v19
	v_cvt_i32_f32_e32 v23, v23
	v_cndmask_b32_e64 v15, 0, v15, s[8:9]
	v_cmp_nlt_f32_e64 s[8:9], s47, v16
	v_cndmask_b32_e64 v19, v14, v15, s[8:9]
	v_mov_b32_e32 v16, s46
	v_sub_f32_e32 v10, v10, v36
	v_cndmask_b32_e64 v41, v16, v19, s[26:27]
	v_mul_f32_e32 v16, 0x3fb8aa3b, v10
	v_ldexp_f32 v15, v22, v23
	v_fma_f32 v22, v10, s49, -v16
	v_rndne_f32_e32 v23, v16
	v_fmac_f32_e32 v22, 0x32a5705f, v10
	v_sub_f32_e32 v16, v16, v23
	v_add_f32_e32 v16, v16, v22
	v_exp_f32_e32 v16, v16
	v_cvt_i32_f32_e32 v22, v23
	v_cmp_ngt_f32_e64 s[8:9], s50, v17
	v_cndmask_b32_e64 v15, 0, v15, s[8:9]
	v_cmp_nlt_f32_e64 s[8:9], s47, v17
	v_cndmask_b32_e64 v23, v14, v15, s[8:9]
	v_mov_b32_e32 v15, s46
	v_cndmask_b32_e64 v51, v15, v23, s[28:29]
	v_ldexp_f32 v15, v16, v22
	v_cmp_ngt_f32_e64 s[8:9], s50, v10
	v_cndmask_b32_e64 v15, 0, v15, s[8:9]
	v_cmp_nlt_f32_e64 s[8:9], s47, v10
	v_cndmask_b32_e64 v11, v11, v11, s[24:25]
	v_cndmask_b32_e64 v22, v14, v15, s[8:9]
	v_sub_f32_e32 v15, v11, v36
	v_mul_f32_e32 v11, 0x3fb8aa3b, v15
	v_fma_f32 v16, v15, s49, -v11
	v_rndne_f32_e32 v17, v11
	v_fmac_f32_e32 v16, 0x32a5705f, v15
	v_sub_f32_e32 v11, v11, v17
	v_add_f32_e32 v11, v11, v16
	v_exp_f32_e32 v11, v11
	v_cvt_i32_f32_e32 v16, v17
	s_lshl_b32 s40, s96, 4
	v_add_u32_e32 v28, s40, v28
	v_mov_b32_e32 v10, s46
	v_ashrrev_i32_e32 v29, 31, v28
	v_cndmask_b32_e64 v56, v10, v22, s[24:25]
	v_ldexp_f32 v16, v11, v16
	v_lshlrev_b64 v[10:11], 2, v[28:29]
	v_cndmask_b32_e64 v30, v12, v12, s[24:25]
	v_mov_b32_e32 v12, s42
	v_add_co_u32_e64 v10, s[8:9], s33, v10
	v_addc_co_u32_e64 v11, s[8:9], v12, v11, s[8:9]
	v_add_co_u32_e64 v10, s[8:9], v10, v38
	v_addc_co_u32_e64 v11, s[8:9], 0, v11, s[8:9]
	v_cndmask_b32_e64 v11, v21, v11, s[38:39]
	v_cndmask_b32_e64 v10, v32, v10, s[38:39]
	s_waitcnt vmcnt(0) lgkmcnt(0)
	ds_write_b128 v40, v[24:27]
	v_cndmask_b32_e64 v17, v13, v13, s[24:25]
	flat_load_dwordx4 v[10:13], v[10:11]
	v_sub_f32_e32 v25, v30, v36
	v_mul_f32_e32 v24, 0x3fb8aa3b, v25
	v_fma_f32 v26, v25, s49, -v24
	v_rndne_f32_e32 v27, v24
	v_fmac_f32_e32 v26, 0x32a5705f, v25
	v_sub_f32_e32 v24, v24, v27
	v_add_f32_e32 v24, v24, v26
	v_exp_f32_e32 v26, v24
	v_cvt_i32_f32_e32 v27, v27
	v_cmp_ngt_f32_e64 s[8:9], s50, v15
	v_cndmask_b32_e64 v16, 0, v16, s[8:9]
	v_cmp_nlt_f32_e64 s[8:9], s47, v15
	v_sub_f32_e32 v17, v17, v36
	v_cndmask_b32_e64 v24, v14, v16, s[8:9]
	v_mov_b32_e32 v15, s46
	v_mul_f32_e32 v16, 0x3fb8aa3b, v17
	v_cndmask_b32_e64 v40, v15, v24, s[22:23]
	v_ldexp_f32 v15, v26, v27
	v_fma_f32 v26, v17, s49, -v16
	v_rndne_f32_e32 v27, v16
	v_fmac_f32_e32 v26, 0x32a5705f, v17
	v_sub_f32_e32 v16, v16, v27
	v_add_f32_e32 v16, v16, v26
	v_cmp_ngt_f32_e64 s[8:9], s50, v25
	v_exp_f32_e32 v26, v16
	v_cvt_i32_f32_e32 v27, v27
	v_cndmask_b32_e64 v15, 0, v15, s[8:9]
	v_cmp_nlt_f32_e64 s[8:9], s47, v25
	v_cndmask_b32_e64 v25, v14, v15, s[8:9]
	v_mov_b32_e32 v16, s46
	v_sub_f32_e32 v6, v6, v36
	v_cndmask_b32_e64 v57, v16, v25, s[20:21]
	v_mul_f32_e32 v16, 0x3fb8aa3b, v6
	v_ldexp_f32 v15, v26, v27
	v_fma_f32 v26, v6, s49, -v16
	v_rndne_f32_e32 v27, v16
	v_fmac_f32_e32 v26, 0x32a5705f, v6
	v_sub_f32_e32 v16, v16, v27
	v_add_f32_e32 v16, v16, v26
	v_exp_f32_e32 v16, v16
	v_cvt_i32_f32_e32 v26, v27
	v_cmp_ngt_f32_e64 s[8:9], s50, v17
	v_cndmask_b32_e64 v15, 0, v15, s[8:9]
	v_cmp_nlt_f32_e64 s[8:9], s47, v17
	v_cndmask_b32_e64 v27, v14, v15, s[8:9]
	v_mov_b32_e32 v15, s46
	v_cndmask_b32_e64 v58, v15, v27, s[18:19]
	v_ldexp_f32 v15, v16, v26
	v_cmp_ngt_f32_e64 s[8:9], s50, v6
	v_cndmask_b32_e64 v15, 0, v15, s[8:9]
	v_cmp_nlt_f32_e64 s[8:9], s47, v6
	v_cndmask_b32_e64 v7, v7, v7, s[16:17]
	v_cndmask_b32_e64 v26, v14, v15, s[8:9]
	v_mov_b32_e32 v6, s46
	v_sub_f32_e32 v17, v7, v36
	v_cndmask_b32_e64 v59, v6, v26, s[16:17]
	v_mul_f32_e32 v6, 0x3fb8aa3b, v17
	v_cndmask_b32_e64 v15, v8, v8, s[16:17]
	v_fma_f32 v7, v17, s49, -v6
	v_rndne_f32_e32 v8, v6
	v_fmac_f32_e32 v7, 0x32a5705f, v17
	v_sub_f32_e32 v6, v6, v8
	v_add_u32_e32 v30, s40, v28
	v_add_f32_e32 v6, v6, v7
	v_ashrrev_i32_e32 v31, 31, v30
	v_exp_f32_e32 v29, v6
	v_lshlrev_b64 v[6:7], 2, v[30:31]
	v_cvt_i32_f32_e32 v45, v8
	v_mov_b32_e32 v8, s42
	v_add_co_u32_e64 v6, s[8:9], s33, v6
	v_addc_co_u32_e64 v7, s[8:9], v8, v7, s[8:9]
	v_add_co_u32_e64 v6, s[8:9], v6, v38
	v_addc_co_u32_e64 v7, s[8:9], 0, v7, s[8:9]
	v_cndmask_b32_e64 v7, v21, v7, s[36:37]
	v_cndmask_b32_e64 v6, v32, v6, s[36:37]
	s_waitcnt vmcnt(0) lgkmcnt(0)
	ds_write_b128 v44, v[10:13]
	v_cndmask_b32_e64 v16, v9, v9, s[16:17]
	flat_load_dwordx4 v[6:9], v[6:7]
	v_sub_f32_e32 v12, v15, v36
	v_mul_f32_e32 v11, 0x3fb8aa3b, v12
	v_fma_f32 v13, v12, s49, -v11
	v_rndne_f32_e32 v15, v11
	v_fmac_f32_e32 v13, 0x32a5705f, v12
	v_sub_f32_e32 v11, v11, v15
	v_add_f32_e32 v11, v11, v13
	v_ldexp_f32 v10, v29, v45
	v_cmp_ngt_f32_e64 s[8:9], s50, v17
	v_exp_f32_e32 v13, v11
	v_cvt_i32_f32_e32 v29, v15
	v_cndmask_b32_e64 v10, 0, v10, s[8:9]
	v_cmp_nlt_f32_e64 s[8:9], s47, v17
	v_cndmask_b32_e64 v28, v14, v10, s[8:9]
	v_mov_b32_e32 v11, s46
	v_cndmask_b32_e64 v15, v11, v28, s[12:13]
	v_sub_f32_e32 v11, v16, v36
	v_ldexp_f32 v10, v13, v29
	v_mul_f32_e32 v13, 0x3fb8aa3b, v11
	v_fma_f32 v16, v11, s49, -v13
	v_rndne_f32_e32 v17, v13
	v_fmac_f32_e32 v16, 0x32a5705f, v11
	v_sub_f32_e32 v13, v13, v17
	v_add_f32_e32 v13, v13, v16
	v_exp_f32_e32 v13, v13
	v_cvt_i32_f32_e32 v17, v17
	v_cmp_ngt_f32_e64 s[8:9], s50, v12
	v_cndmask_b32_e64 v10, 0, v10, s[8:9]
	v_cmp_nlt_f32_e64 s[8:9], s47, v12
	v_sub_f32_e32 v2, v2, v36
	v_cndmask_b32_e64 v29, v14, v10, s[8:9]
	v_mov_b32_e32 v10, s46
	v_mul_f32_e32 v12, 0x3fb8aa3b, v2
	v_cndmask_b32_e64 v16, v10, v29, s[14:15]
	v_ldexp_f32 v10, v13, v17
	v_fma_f32 v13, v2, s49, -v12
	v_rndne_f32_e32 v17, v12
	v_fmac_f32_e32 v13, 0x32a5705f, v2
	v_sub_f32_e32 v12, v12, v17
	v_add_f32_e32 v12, v12, v13
	v_exp_f32_e32 v12, v12
	v_cvt_i32_f32_e32 v13, v17
	v_cmp_ngt_f32_e64 s[8:9], s50, v11
	v_cndmask_b32_e64 v10, 0, v10, s[8:9]
	v_cmp_nlt_f32_e64 s[8:9], s47, v11
	v_cndmask_b32_e64 v45, v14, v10, s[8:9]
	v_ldexp_f32 v10, v12, v13
	v_cmp_ngt_f32_e64 s[8:9], s50, v2
	v_cndmask_b32_e64 v3, v3, v3, s[6:7]
	v_cndmask_b32_e64 v10, 0, v10, s[8:9]
	v_cmp_nlt_f32_e64 s[8:9], s47, v2
	v_sub_f32_e32 v3, v3, v36
	v_mov_b32_e32 v11, s46
	v_cndmask_b32_e64 v44, v14, v10, s[8:9]
	v_mul_f32_e32 v10, 0x3fb8aa3b, v3
	v_cndmask_b32_e64 v17, v11, v45, s[10:11]
	v_fma_f32 v11, v3, s49, -v10
	v_rndne_f32_e32 v12, v10
	v_fmac_f32_e32 v11, 0x32a5705f, v3
	v_sub_f32_e32 v10, v10, v12
	v_add_f32_e32 v10, v10, v11
	v_exp_f32_e32 v31, v10
	v_add_u32_e32 v10, s40, v30
	v_ashrrev_i32_e32 v11, 31, v10
	v_lshlrev_b64 v[10:11], 2, v[10:11]
	v_mov_b32_e32 v13, s42
	v_add_co_u32_e64 v10, s[8:9], s33, v10
	v_addc_co_u32_e64 v11, s[8:9], v13, v11, s[8:9]
	v_add_co_u32_e64 v10, s[8:9], v10, v38
	v_addc_co_u32_e64 v11, s[8:9], 0, v11, s[8:9]
	v_cndmask_b32_e64 v11, v21, v11, s[34:35]
	v_cndmask_b32_e64 v10, v32, v10, s[34:35]
	;; [unrolled: 1-line block ×3, first 2 shown]
	v_sub_f32_e32 v4, v4, v36
	v_cvt_i32_f32_e32 v12, v12
	s_waitcnt vmcnt(0) lgkmcnt(0)
	ds_write_b128 v46, v[6:9]
	flat_load_dwordx4 v[52:55], v[10:11]
	v_mul_f32_e32 v6, 0x3fb8aa3b, v4
	v_fma_f32 v7, v4, s49, -v6
	v_rndne_f32_e32 v8, v6
	v_fmac_f32_e32 v7, 0x32a5705f, v4
	v_sub_f32_e32 v6, v6, v8
	v_add_f32_e32 v6, v6, v7
	v_exp_f32_e32 v6, v6
	v_cvt_i32_f32_e32 v8, v8
	v_mov_b32_e32 v2, s46
	v_cndmask_b32_e64 v13, v2, v44, s[6:7]
	v_ldexp_f32 v2, v31, v12
	v_cmp_ngt_f32_e64 s[8:9], s50, v3
	v_cndmask_b32_e64 v2, 0, v2, s[8:9]
	v_cmp_nlt_f32_e64 s[8:9], s47, v3
	v_cndmask_b32_e64 v47, v14, v2, s[8:9]
	v_ldexp_f32 v2, v6, v8
	v_cmp_ngt_f32_e64 s[8:9], s50, v4
	v_cndmask_b32_e64 v2, 0, v2, s[8:9]
	v_cmp_nlt_f32_e64 s[8:9], s47, v4
	v_cndmask_b32_e64 v5, v5, v5, s[6:7]
	v_cndmask_b32_e64 v46, v14, v2, s[8:9]
	v_mov_b32_e32 v2, s46
	v_mov_b32_e32 v3, s46
	v_cndmask_b32_e64 v9, v2, v46, s[4:5]
	v_sub_f32_e32 v2, v5, v36
	v_cndmask_b32_e64 v7, v3, v47, s[44:45]
	v_mul_f32_e32 v3, 0x3fb8aa3b, v2
	v_fma_f32 v4, v2, s49, -v3
	v_rndne_f32_e32 v5, v3
	v_fmac_f32_e32 v4, 0x32a5705f, v2
	v_sub_f32_e32 v3, v3, v5
	v_add_f32_e32 v3, v3, v4
	v_cvt_i32_f32_e32 v4, v5
	v_sub_f32_e32 v5, v37, v36
	v_mul_f32_e32 v6, 0x3fb8aa3b, v5
	v_fma_f32 v8, v5, s49, -v6
	v_rndne_f32_e32 v10, v6
	v_fmac_f32_e32 v8, 0x32a5705f, v5
	v_sub_f32_e32 v6, v6, v10
	v_exp_f32_e32 v3, v3
	v_add_f32_e32 v6, v6, v8
	v_exp_f32_e32 v6, v6
	v_cvt_i32_f32_e32 v8, v10
	v_ldexp_f32 v3, v3, v4
	v_cmp_ngt_f32_e64 s[8:9], s50, v2
	v_cndmask_b32_e64 v3, 0, v3, s[8:9]
	v_ldexp_f32 v4, v6, v8
	v_cmp_ngt_f32_e64 s[8:9], s50, v5
	v_cndmask_b32_e64 v4, 0, v4, s[8:9]
	v_cmp_nlt_f32_e64 s[8:9], s47, v5
	v_cndmask_b32_e64 v4, v14, v4, s[8:9]
	s_mov_b32 s8, 0xc1a00000
	v_cmp_le_f32_e64 s[8:9], s8, v5
	v_cndmask_b32_e64 v37, 0, v4, s[8:9]
	v_cmp_nlt_f32_e64 s[8:9], s47, v2
	v_cvt_f16_f32_e32 v2, v0
	v_cvt_f16_f32_e32 v4, v33
	v_cndmask_b32_e64 v48, v14, v3, s[8:9]
	v_cvt_f16_f32_e32 v8, v41
	v_cvt_f16_f32_e32 v10, v51
	v_cvt_f16_f32_e32 v11, v56
	v_cvt_f16_f32_e32 v14, v40
	v_cvt_f16_f32_e32 v21, v57
	v_cvt_f16_f32_e32 v31, v58
	v_cvt_f16_f32_e32 v49, v37
	v_pack_b32_f16 v32, v2, v4
	v_mul_u32_u24_e32 v2, 0x88, v39
	v_mul_u32_u24_e32 v4, 0x110, v39
	v_pack_b32_f16 v33, v8, v10
	v_pack_b32_f16 v30, v11, v14
	v_or_b32_e32 v2, v2, v35
	v_mul_u32_u24_e32 v11, 0x110, v20
	v_add3_u32 v8, 0, v4, v95
	v_pack_b32_f16 v31, v21, v31
	v_cvt_f16_f32_e32 v21, v59
	v_lshl_add_u32 v10, v2, 1, 0
	v_add3_u32 v11, 0, v11, v95
	s_mov_b32 s8, 0x5040100
	v_mov_b32_e32 v3, s46
	s_waitcnt vmcnt(0) lgkmcnt(0)
	ds_write_b128 v50, v[52:55]
	s_waitcnt lgkmcnt(0)
	s_barrier
	ds_read_u16 v38, v8 offset:544
	ds_read_u16 v14, v8 offset:576
	;; [unrolled: 1-line block ×8, first 2 shown]
	ds_read_u16 v39, v11
	ds_read_u16 v54, v11 offset:32
	ds_read_u16 v55, v11 offset:64
	;; [unrolled: 1-line block ×7, first 2 shown]
	s_waitcnt lgkmcnt(7)
	v_perm_b32 v39, v39, v38, s8
	ds_read_u16 v38, v10
	ds_read_u16 v62, v10 offset:32
	ds_read_u16 v63, v10 offset:64
	;; [unrolled: 1-line block ×15, first 2 shown]
	v_cndmask_b32_e32 v12, v3, v48, vcc
	v_pk_mul_f16 v3, v49, v150 op_sel_hi:[0,1]
	v_pk_mul_f16 v5, v49, v149 op_sel_hi:[0,1]
	s_waitcnt lgkmcnt(7)
	v_perm_b32 v38, v40, v38, s8
	v_cvt_f32_f16_e32 v2, v3
	v_cvt_f32_f16_sdwa v3, v3 dst_sel:DWORD dst_unused:UNUSED_PAD src0_sel:WORD_1
	v_cvt_f32_f16_e32 v4, v5
	v_cvt_f32_f16_sdwa v5, v5 dst_sel:DWORD dst_unused:UNUSED_PAD src0_sel:WORD_1
	v_cvt_f16_f32_e32 v40, v16
	v_cvt_f16_f32_e32 v41, v17
	v_mfma_f32_16x16x16f16 v[2:5], v[38:39], v[32:33], v[2:5]
	ds_read_u16 v16, v8 offset:4896
	ds_read_u16 v76, v8 offset:4928
	;; [unrolled: 1-line block ×16, first 2 shown]
	s_waitcnt lgkmcnt(7)
	v_perm_b32 v17, v17, v16, s8
	ds_read_u16 v16, v10 offset:4352
	ds_read_u16 v90, v10 offset:4384
	;; [unrolled: 1-line block ×16, first 2 shown]
	s_waitcnt lgkmcnt(7)
	v_perm_b32 v16, v38, v16, s8
	v_cvt_f16_f32_e32 v15, v15
	v_pk_mul_f16 v6, v49, v151 op_sel_hi:[0,1]
	v_pack_b32_f16 v39, v40, v41
	v_cvt_f16_f32_e32 v2, v2
	v_cvt_f16_f32_e32 v3, v3
	;; [unrolled: 1-line block ×4, first 2 shown]
	v_cvt_f32_f16_e32 v2, v2
	v_cvt_f32_f16_e32 v3, v3
	;; [unrolled: 1-line block ×4, first 2 shown]
	v_pack_b32_f16 v38, v21, v15
	v_cvt_f16_f32_e32 v13, v13
	v_mfma_f32_16x16x16f16 v[2:5], v[16:17], v[30:31], v[2:5]
	ds_read_u16 v15, v8 offset:9248
	ds_read_u16 v21, v8 offset:9280
	;; [unrolled: 1-line block ×16, first 2 shown]
	s_waitcnt lgkmcnt(7)
	v_perm_b32 v17, v16, v15, s8
	ds_read_u16 v15, v10 offset:8704
	ds_read_u16 v141, v10 offset:8736
	;; [unrolled: 1-line block ×16, first 2 shown]
	s_waitcnt lgkmcnt(7)
	v_perm_b32 v16, v16, v15, s8
	v_cvt_f16_f32_e32 v15, v9
	v_cvt_f16_f32_e32 v7, v7
	;; [unrolled: 1-line block ×7, first 2 shown]
	v_cvt_f32_f16_e32 v2, v2
	v_cvt_f32_f16_e32 v3, v3
	;; [unrolled: 1-line block ×4, first 2 shown]
	v_pack_b32_f16 v41, v15, v12
	v_pk_mul_f16 v12, v49, v103 op_sel_hi:[0,1]
	v_mfma_f32_16x16x16f16 v[2:5], v[16:17], v[38:39], v[2:5]
	ds_read_u16 v9, v8 offset:13600
	ds_read_u16 v16, v8 offset:13632
	;; [unrolled: 1-line block ×16, first 2 shown]
	s_waitcnt lgkmcnt(7)
	v_perm_b32 v9, v40, v9, s8
	ds_read_u16 v11, v10 offset:13056
	ds_read_u16 v169, v10 offset:13088
	;; [unrolled: 1-line block ×16, first 2 shown]
	s_waitcnt lgkmcnt(7)
	v_perm_b32 v8, v10, v11, s8
	v_pack_b32_f16 v40, v13, v7
	v_pk_mul_f16 v11, v49, v106 op_sel_hi:[0,1]
	v_perm_b32 v7, v54, v14, s8
	v_cvt_f16_f32_e32 v2, v2
	v_cvt_f16_f32_e32 v3, v3
	;; [unrolled: 1-line block ×4, first 2 shown]
	v_cvt_f32_f16_e32 v2, v2
	v_cvt_f32_f16_e32 v3, v3
	;; [unrolled: 1-line block ×5, first 2 shown]
	v_cvt_f32_f16_sdwa v11, v11 dst_sel:DWORD dst_unused:UNUSED_PAD src0_sel:WORD_1
	v_mfma_f32_16x16x16f16 v[2:5], v[8:9], v[40:41], v[2:5]
	v_cvt_f32_f16_e32 v8, v6
	v_cvt_f32_f16_sdwa v9, v6 dst_sel:DWORD dst_unused:UNUSED_PAD src0_sel:WORD_1
	v_perm_b32 v6, v69, v62, s8
	v_pk_mul_f16 v13, v49, v102 op_sel_hi:[0,1]
	v_perm_b32 v15, v55, v20, s8
	v_perm_b32 v14, v70, v63, s8
	;; [unrolled: 1-line block ×3, first 2 shown]
	v_mfma_f32_16x16x16f16 v[6:9], v[6:7], v[32:33], v[8:11]
	v_pk_mul_f16 v62, v49, v98 op_sel_hi:[0,1]
	v_add_f32_e32 v18, v18, v0
	v_cndmask_b32_e64 v0, v0, v18, s[30:31]
	v_pk_mul_f16 v63, v49, v96 op_sel_hi:[0,1]
	s_waitcnt lgkmcnt(0)
	s_nop 1
	v_perm_b32 v11, v83, v76, s8
	v_perm_b32 v10, v107, v90, s8
	s_nop 1
	v_cvt_f16_f32_e32 v6, v6
	v_cvt_f16_f32_e32 v7, v7
	;; [unrolled: 1-line block ×4, first 2 shown]
	v_cvt_f32_f16_e32 v6, v6
	v_cvt_f32_f16_e32 v7, v7
	;; [unrolled: 1-line block ×4, first 2 shown]
	s_barrier
	s_nop 0
	v_mfma_f32_16x16x16f16 v[6:9], v[10:11], v[30:31], v[6:9]
	v_perm_b32 v11, v132, v21, s8
	v_perm_b32 v10, v150, v141, s8
	;; [unrolled: 1-line block ×3, first 2 shown]
	v_pk_mul_f16 v50, v49, v99 op_sel_hi:[0,1]
	v_cvt_f32_f16_e32 v54, v50
	v_cvt_f32_f16_sdwa v55, v50 dst_sel:DWORD dst_unused:UNUSED_PAD src0_sel:WORD_1
	v_cvt_f32_f16_e32 v56, v62
	s_nop 3
	v_cvt_f16_f32_e32 v6, v6
	v_cvt_f16_f32_e32 v7, v7
	;; [unrolled: 1-line block ×4, first 2 shown]
	v_cvt_f32_f16_e32 v6, v6
	v_cvt_f32_f16_e32 v7, v7
	;; [unrolled: 1-line block ×4, first 2 shown]
	s_barrier
	s_nop 0
	v_mfma_f32_16x16x16f16 v[6:9], v[10:11], v[38:39], v[6:9]
	v_perm_b32 v11, v162, v16, s8
	v_perm_b32 v10, v176, v169, s8
	v_pk_mul_f16 v16, v49, v101 op_sel_hi:[0,1]
	s_nop 7
	v_cvt_f16_f32_e32 v6, v6
	v_cvt_f16_f32_e32 v7, v7
	;; [unrolled: 1-line block ×4, first 2 shown]
	v_cvt_f32_f16_e32 v6, v6
	v_cvt_f32_f16_e32 v7, v7
	;; [unrolled: 1-line block ×4, first 2 shown]
	s_nop 1
	v_mfma_f32_16x16x16f16 v[6:9], v[10:11], v[40:41], v[6:9]
	v_cvt_f32_f16_e32 v10, v12
	v_cvt_f32_f16_sdwa v11, v12 dst_sel:DWORD dst_unused:UNUSED_PAD src0_sel:WORD_1
	v_cvt_f32_f16_e32 v12, v13
	v_cvt_f32_f16_sdwa v13, v13 dst_sel:DWORD dst_unused:UNUSED_PAD src0_sel:WORD_1
	s_nop 1
	v_mfma_f32_16x16x16f16 v[10:13], v[14:15], v[32:33], v[10:13]
	v_perm_b32 v15, v84, v77, s8
	v_perm_b32 v14, v108, v91, s8
	s_nop 7
	s_nop 0
	v_cvt_f16_f32_e32 v10, v10
	v_cvt_f16_f32_e32 v11, v11
	;; [unrolled: 1-line block ×4, first 2 shown]
	v_cvt_f32_f16_e32 v10, v10
	v_cvt_f32_f16_e32 v11, v11
	;; [unrolled: 1-line block ×4, first 2 shown]
	s_nop 1
	v_mfma_f32_16x16x16f16 v[10:13], v[14:15], v[30:31], v[10:13]
	v_perm_b32 v15, v133, v114, s8
	v_perm_b32 v14, v151, v142, s8
	s_nop 7
	s_nop 0
	v_cvt_f16_f32_e32 v10, v10
	v_cvt_f16_f32_e32 v11, v11
	;; [unrolled: 1-line block ×4, first 2 shown]
	v_cvt_f32_f16_e32 v10, v10
	v_cvt_f32_f16_e32 v11, v11
	;; [unrolled: 1-line block ×4, first 2 shown]
	s_nop 1
	v_mfma_f32_16x16x16f16 v[10:13], v[14:15], v[38:39], v[10:13]
	v_perm_b32 v15, v163, v17, s8
	v_perm_b32 v14, v177, v170, s8
	v_pk_mul_f16 v17, v49, v100 op_sel_hi:[0,1]
	s_nop 7
	v_cvt_f16_f32_e32 v10, v10
	v_cvt_f16_f32_e32 v11, v11
	;; [unrolled: 1-line block ×4, first 2 shown]
	v_cvt_f32_f16_e32 v10, v10
	v_cvt_f32_f16_e32 v11, v11
	;; [unrolled: 1-line block ×4, first 2 shown]
	s_nop 1
	v_mfma_f32_16x16x16f16 v[10:13], v[14:15], v[40:41], v[10:13]
	v_cvt_f32_f16_e32 v14, v16
	v_cvt_f32_f16_sdwa v15, v16 dst_sel:DWORD dst_unused:UNUSED_PAD src0_sel:WORD_1
	v_cvt_f32_f16_e32 v16, v17
	v_cvt_f32_f16_sdwa v17, v17 dst_sel:DWORD dst_unused:UNUSED_PAD src0_sel:WORD_1
	s_nop 1
	v_mfma_f32_16x16x16f16 v[14:17], v[20:21], v[32:33], v[14:17]
	v_perm_b32 v21, v85, v78, s8
	v_perm_b32 v20, v109, v92, s8
	s_nop 7
	s_nop 0
	v_cvt_f16_f32_e32 v14, v14
	v_cvt_f16_f32_e32 v15, v15
	v_cvt_f16_f32_e32 v16, v16
	v_cvt_f16_f32_e32 v17, v17
	v_cvt_f32_f16_e32 v14, v14
	v_cvt_f32_f16_e32 v15, v15
	v_cvt_f32_f16_e32 v16, v16
	v_cvt_f32_f16_e32 v17, v17
	s_nop 1
	v_mfma_f32_16x16x16f16 v[14:17], v[20:21], v[30:31], v[14:17]
	v_perm_b32 v21, v134, v115, s8
	v_perm_b32 v20, v152, v143, s8
	s_nop 7
	s_nop 0
	v_cvt_f16_f32_e32 v14, v14
	v_cvt_f16_f32_e32 v15, v15
	v_cvt_f16_f32_e32 v16, v16
	v_cvt_f16_f32_e32 v17, v17
	v_cvt_f32_f16_e32 v14, v14
	v_cvt_f32_f16_e32 v15, v15
	v_cvt_f32_f16_e32 v16, v16
	v_cvt_f32_f16_e32 v17, v17
	;; [unrolled: 14-line block ×3, first 2 shown]
	s_nop 1
	v_mfma_f32_16x16x16f16 v[14:17], v[20:21], v[40:41], v[14:17]
	v_perm_b32 v21, v57, v51, s8
	v_perm_b32 v20, v72, v65, s8
	v_cvt_f32_f16_sdwa v57, v62 dst_sel:DWORD dst_unused:UNUSED_PAD src0_sel:WORD_1
	v_add_f32_e32 v62, v0, v19
	v_cndmask_b32_e64 v0, v0, v62, s[26:27]
	v_add_f32_e32 v23, v0, v23
	v_cndmask_b32_e64 v23, v0, v23, s[28:29]
	v_mfma_f32_16x16x16f16 v[54:57], v[20:21], v[32:33], v[54:57]
	s_nop 7
	s_nop 2
	v_cvt_f16_f32_e32 v20, v54
	v_cvt_f16_f32_e32 v21, v55
	;; [unrolled: 1-line block ×4, first 2 shown]
	v_cvt_f32_f16_e32 v54, v20
	v_cvt_f32_f16_e32 v55, v21
	v_perm_b32 v21, v86, v79, s8
	v_perm_b32 v20, v110, v93, s8
	v_cvt_f32_f16_e32 v56, v50
	v_cvt_f32_f16_e32 v57, v51
	v_perm_b32 v51, v135, v116, s8
	s_nop 0
	v_mfma_f32_16x16x16f16 v[54:57], v[20:21], v[30:31], v[54:57]
	s_nop 7
	s_nop 2
	v_cvt_f16_f32_e32 v50, v56
	v_cvt_f16_f32_e32 v20, v54
	;; [unrolled: 1-line block ×4, first 2 shown]
	v_cvt_f32_f16_e32 v56, v50
	v_perm_b32 v50, v153, v144, s8
	v_cvt_f32_f16_e32 v54, v20
	v_cvt_f32_f16_e32 v55, v21
	;; [unrolled: 1-line block ×3, first 2 shown]
	s_nop 1
	v_mfma_f32_16x16x16f16 v[54:57], v[50:51], v[38:39], v[54:57]
	v_perm_b32 v51, v59, v52, s8
	s_nop 7
	s_nop 1
	v_cvt_f16_f32_e32 v20, v55
	v_cvt_f16_f32_e32 v21, v56
	;; [unrolled: 1-line block ×4, first 2 shown]
	v_cvt_f32_f16_e32 v55, v20
	v_cvt_f32_f16_e32 v56, v21
	v_perm_b32 v21, v165, v158, s8
	v_perm_b32 v20, v179, v172, s8
	v_cvt_f32_f16_e32 v54, v18
	v_cvt_f32_f16_e32 v57, v50
	v_pk_mul_f16 v50, v49, v97 op_sel_hi:[0,1]
	s_nop 0
	v_mfma_f32_16x16x16f16 v[18:21], v[20:21], v[40:41], v[54:57]
	s_nop 6
	v_cvt_f32_f16_e32 v54, v50
	v_cvt_f32_f16_sdwa v55, v50 dst_sel:DWORD dst_unused:UNUSED_PAD src0_sel:WORD_1
	v_perm_b32 v50, v73, v66, s8
	v_cvt_f32_f16_e32 v56, v63
	v_cvt_f32_f16_sdwa v57, v63 dst_sel:DWORD dst_unused:UNUSED_PAD src0_sel:WORD_1
	s_nop 1
	v_mfma_f32_16x16x16f16 v[54:57], v[50:51], v[32:33], v[54:57]
	s_nop 7
	s_nop 2
	v_cvt_f16_f32_e32 v50, v55
	v_cvt_f16_f32_e32 v51, v56
	;; [unrolled: 1-line block ×4, first 2 shown]
	v_cvt_f32_f16_e32 v55, v50
	v_cvt_f32_f16_e32 v56, v51
	v_perm_b32 v51, v87, v80, s8
	v_perm_b32 v50, v111, v95, s8
	v_cvt_f32_f16_e32 v54, v0
	v_cvt_f32_f16_e32 v57, v52
	v_add_f32_e32 v0, v22, v23
	v_cndmask_b32_e64 v0, v23, v0, s[24:25]
	v_mfma_f32_16x16x16f16 v[54:57], v[50:51], v[30:31], v[54:57]
	v_add_f32_e32 v24, v24, v0
	v_cndmask_b32_e64 v0, v0, v24, s[22:23]
	v_add_f32_e32 v52, v25, v0
	v_cndmask_b32_e64 v0, v0, v52, s[20:21]
	v_pk_mul_f16 v52, v49, v146 op_sel_hi:[0,1]
	v_add_f32_e32 v27, v27, v0
	v_cndmask_b32_e64 v27, v0, v27, s[18:19]
	s_nop 3
	v_cvt_f16_f32_e32 v22, v54
	v_cvt_f16_f32_e32 v23, v55
	;; [unrolled: 1-line block ×4, first 2 shown]
	v_cvt_f32_f16_e32 v54, v22
	v_cvt_f32_f16_e32 v55, v23
	v_perm_b32 v23, v138, v117, s8
	v_perm_b32 v22, v154, v147, s8
	v_cvt_f32_f16_e32 v56, v50
	v_cvt_f32_f16_e32 v57, v51
	v_perm_b32 v51, v166, v159, s8
	v_perm_b32 v50, v180, v173, s8
	v_mfma_f32_16x16x16f16 v[22:25], v[22:23], v[38:39], v[54:57]
	s_nop 6
	v_pk_mul_f16 v56, v49, v145 op_sel_hi:[0,1]
	s_nop 2
	v_cvt_f16_f32_e32 v22, v22
	v_cvt_f16_f32_e32 v23, v23
	;; [unrolled: 1-line block ×4, first 2 shown]
	v_cvt_f32_f16_e32 v22, v22
	v_cvt_f32_f16_e32 v23, v23
	v_cvt_f32_f16_e32 v24, v24
	v_cvt_f32_f16_e32 v25, v25
	v_perm_b32 v55, v60, v53, s8
	v_perm_b32 v54, v74, v67, s8
	v_mfma_f32_16x16x16f16 v[22:25], v[50:51], v[40:41], v[22:25]
	v_cvt_f32_f16_e32 v50, v52
	v_cvt_f32_f16_sdwa v51, v52 dst_sel:DWORD dst_unused:UNUSED_PAD src0_sel:WORD_1
	v_cvt_f32_f16_e32 v52, v56
	v_cvt_f32_f16_sdwa v53, v56 dst_sel:DWORD dst_unused:UNUSED_PAD src0_sel:WORD_1
	s_nop 1
	v_mfma_f32_16x16x16f16 v[50:53], v[54:55], v[32:33], v[50:53]
	v_perm_b32 v55, v88, v81, s8
	v_perm_b32 v54, v112, v104, s8
	s_nop 7
	s_nop 0
	v_cvt_f16_f32_e32 v0, v50
	v_cvt_f16_f32_e32 v51, v51
	;; [unrolled: 1-line block ×4, first 2 shown]
	v_cvt_f32_f16_e32 v50, v0
	v_cvt_f32_f16_e32 v51, v51
	;; [unrolled: 1-line block ×4, first 2 shown]
	v_add_f32_e32 v0, v26, v27
	v_cndmask_b32_e64 v0, v27, v0, s[16:17]
	v_mfma_f32_16x16x16f16 v[50:53], v[54:55], v[30:31], v[50:53]
	v_add_f32_e32 v28, v28, v0
	v_cndmask_b32_e64 v0, v0, v28, s[12:13]
	v_add_f32_e32 v28, v29, v0
	v_cndmask_b32_e64 v0, v0, v28, s[14:15]
	v_perm_b32 v55, v61, v58, s8
	v_perm_b32 v54, v75, v68, s8
	v_add_f32_e32 v45, v45, v0
	s_nop 3
	v_cvt_f16_f32_e32 v26, v50
	v_cvt_f16_f32_e32 v27, v51
	;; [unrolled: 1-line block ×4, first 2 shown]
	v_cvt_f32_f16_e32 v50, v26
	v_cvt_f32_f16_e32 v51, v27
	v_perm_b32 v27, v139, v126, s8
	v_perm_b32 v26, v155, v148, s8
	v_cvt_f32_f16_e32 v52, v52
	v_cvt_f32_f16_e32 v53, v53
	v_cndmask_b32_e64 v45, v0, v45, s[10:11]
	v_add_f32_e32 v0, v44, v45
	v_mfma_f32_16x16x16f16 v[26:29], v[26:27], v[38:39], v[50:53]
	v_cndmask_b32_e64 v0, v45, v0, s[6:7]
	v_perm_b32 v45, v140, v131, s8
	s_nop 4
	v_perm_b32 v51, v167, v160, s8
	s_nop 2
	v_cvt_f16_f32_e32 v26, v26
	v_cvt_f16_f32_e32 v27, v27
	;; [unrolled: 1-line block ×4, first 2 shown]
	v_perm_b32 v50, v181, v174, s8
	v_cvt_f32_f16_e32 v26, v26
	v_cvt_f32_f16_e32 v27, v27
	;; [unrolled: 1-line block ×4, first 2 shown]
	v_pk_mul_f16 v52, v49, v137 op_sel_hi:[0,1]
	v_pk_mul_f16 v49, v49, v136 op_sel_hi:[0,1]
	v_mfma_f32_16x16x16f16 v[26:29], v[50:51], v[40:41], v[26:29]
	v_cvt_f32_f16_e32 v50, v52
	v_cvt_f32_f16_sdwa v51, v52 dst_sel:DWORD dst_unused:UNUSED_PAD src0_sel:WORD_1
	v_cvt_f32_f16_e32 v52, v49
	v_cvt_f32_f16_sdwa v53, v49 dst_sel:DWORD dst_unused:UNUSED_PAD src0_sel:WORD_1
	s_nop 1
	v_mfma_f32_16x16x16f16 v[50:53], v[54:55], v[32:33], v[50:53]
	s_nop 7
	s_nop 2
	v_cvt_f16_f32_e32 v32, v50
	v_cvt_f16_f32_e32 v33, v51
	;; [unrolled: 1-line block ×4, first 2 shown]
	v_cvt_f32_f16_e32 v50, v32
	v_cvt_f32_f16_e32 v51, v33
	v_perm_b32 v33, v89, v82, s8
	v_perm_b32 v32, v113, v105, s8
	v_cvt_f32_f16_e32 v52, v44
	v_cvt_f32_f16_e32 v53, v49
	v_add_f32_e32 v44, v47, v0
	v_cndmask_b32_e64 v0, v0, v44, s[44:45]
	v_mfma_f32_16x16x16f16 v[30:33], v[32:33], v[30:31], v[50:53]
	v_perm_b32 v44, v156, v149, s8
	v_add_f32_e32 v46, v46, v0
	v_cndmask_b32_e64 v0, v0, v46, s[4:5]
	v_add_f32_e32 v46, v48, v0
	v_cndmask_b32_e32 v0, v0, v46, vcc
	v_fmac_f32_e32 v0, v216, v37
	ds_bpermute_b32 v1, v1, v0
	s_nop 3
	v_cvt_f16_f32_e32 v30, v30
	v_cvt_f16_f32_e32 v31, v31
	;; [unrolled: 1-line block ×4, first 2 shown]
	v_cvt_f32_f16_e32 v30, v30
	v_cvt_f32_f16_e32 v31, v31
	;; [unrolled: 1-line block ×4, first 2 shown]
	s_waitcnt lgkmcnt(0)
	v_add_f32_e32 v1, v0, v1
	ds_bpermute_b32 v37, v43, v1
	v_mfma_f32_16x16x16f16 v[30:33], v[44:45], v[38:39], v[30:33]
	v_perm_b32 v39, v168, v161, s8
	v_perm_b32 v38, v182, v175, s8
	v_cmp_lt_u32_e32 vcc, 15, v34
                                        ; implicit-def: $vgpr0
	s_nop 7
	v_cvt_f16_f32_e32 v30, v30
	v_cvt_f16_f32_e32 v31, v31
	;; [unrolled: 1-line block ×4, first 2 shown]
	v_cvt_f32_f16_e32 v30, v30
	v_cvt_f32_f16_e32 v31, v31
	v_cvt_f32_f16_e32 v32, v32
	v_cvt_f32_f16_e32 v33, v33
	s_nop 1
	v_mfma_f32_16x16x16f16 v[30:33], v[38:39], v[40:41], v[30:33]
	s_and_saveexec_b64 s[4:5], vcc
	s_xor_b64 s[4:5], exec, s[4:5]
; %bb.556:
	v_lshlrev_b32_e32 v0, 4, v130
                                        ; implicit-def: $vgpr1
                                        ; implicit-def: $vgpr37
                                        ; implicit-def: $vgpr36
; %bb.557:
	s_or_saveexec_b64 s[4:5], s[4:5]
	v_and_b32_e32 v38, 15, v130
	s_xor_b64 exec, exec, s[4:5]
	s_cbranch_execz .LBB24_559
; %bb.558:
	s_add_i32 s6, s54, s51
	s_lshl_b32 s6, s6, 6
	s_mov_b32 s7, 0
	v_lshlrev_b32_e32 v0, 4, v130
	s_lshl_b64 s[6:7], s[6:7], 3
	s_waitcnt lgkmcnt(0)
	v_add_f32_e32 v37, v1, v37
	v_or_b32_e32 v1, v0, v34
	s_add_u32 s6, s58, s6
	s_addc_u32 s7, s59, s7
	v_lshlrev_b32_e32 v1, 3, v1
	global_store_dwordx2 v1, v[36:37], s[6:7]
.LBB24_559:
	s_or_b64 exec, exec, s[4:5]
	v_cvt_f16_f32_e32 v1, v2
	v_cvt_f16_f32_e32 v2, v3
	v_cvt_f16_f32_e32 v3, v4
	v_cvt_f16_f32_e32 v4, v5
	v_cvt_f16_f32_e32 v5, v6
	v_cvt_f16_f32_e32 v6, v8
	v_cvt_f16_f32_e32 v8, v9
	v_cvt_f16_f32_e32 v7, v7
	v_pack_b32_f16 v3, v3, v4
	v_pack_b32_f16 v1, v1, v2
	v_pack_b32_f16 v2, v6, v8
	v_pack_b32_f16 v4, v5, v7
	v_cvt_f16_f32_e32 v5, v10
	v_cvt_f16_f32_e32 v6, v11
	v_cvt_f16_f32_e32 v7, v12
	v_cvt_f16_f32_e32 v8, v13
	v_cvt_f16_f32_e32 v9, v14
	v_cvt_f16_f32_e32 v10, v16
	v_cvt_f16_f32_e32 v11, v17
	v_cvt_f16_f32_e32 v12, v15
	v_pack_b32_f16 v7, v7, v8
	v_pack_b32_f16 v5, v5, v6
	v_pack_b32_f16 v6, v10, v11
	v_pack_b32_f16 v8, v9, v12
	;; [unrolled: 12-line block ×3, first 2 shown]
	v_cvt_f16_f32_e32 v13, v26
	v_cvt_f16_f32_e32 v14, v27
	;; [unrolled: 1-line block ×8, first 2 shown]
	v_or_b32_e32 v0, v0, v35
	s_movk_i32 s6, 0x44
	v_mad_i32_i24 v0, v0, s6, v94
	v_readlane_b32 s8, v253, 8
	v_lshl_add_u32 v0, v0, 2, 0
	v_readlane_b32 s9, v253, 9
	v_pack_b32_f16 v15, v15, v16
	v_pack_b32_f16 v13, v13, v14
	;; [unrolled: 1-line block ×4, first 2 shown]
	ds_write2_b32 v0, v1, v3 offset1:1
	ds_write2_b32 v0, v4, v2 offset0:8 offset1:9
	ds_write2_b32 v0, v5, v7 offset0:16 offset1:17
	;; [unrolled: 1-line block ×7, first 2 shown]
	s_waitcnt lgkmcnt(0)
	s_barrier
	s_load_dword s4, s[8:9], 0x10
	s_load_dword s7, s[8:9], 0x0
	s_mov_b32 s5, 0
	v_mad_u32_u24 v8, v130, s6, v34
	v_lshl_add_u32 v9, v8, 2, 0
	s_waitcnt lgkmcnt(0)
	s_lshr_b32 s4, s4, 16
	s_cmp_lg_u32 s4, 0
	s_cselect_b64 s[8:9], -1, 0
	s_cmp_lg_u64 s[8:9], 0
	s_addc_u32 s4, s7, 0
	s_lshl_b32 s4, s4, 7
	s_lshl_b64 s[8:9], s[4:5], 3
	s_add_u32 s7, s58, s8
	s_addc_u32 s8, s59, s9
	s_lshl_b32 s4, s51, 12
	ds_read_b32 v5, v9
	ds_read_b32 v6, v9 offset:1088
	ds_read_b32 v7, v9 offset:2176
	;; [unrolled: 1-line block ×7, first 2 shown]
	s_lshl_b64 s[4:5], s[4:5], 3
	s_waitcnt lgkmcnt(7)
	v_cvt_f32_f16_e32 v4, v5
	v_cvt_f32_f16_sdwa v5, v5 dst_sel:DWORD dst_unused:UNUSED_PAD src0_sel:WORD_1
	v_mov_b32_e32 v1, 0
	s_add_u32 s4, s7, s4
	v_sub_u32_e32 v0, v8, v42
	s_addc_u32 s5, s8, s5
	v_lshlrev_b64 v[2:3], 3, v[0:1]
	v_mov_b32_e32 v0, s5
	v_add_co_u32_e32 v2, vcc, s4, v2
	v_addc_co_u32_e32 v3, vcc, v0, v3, vcc
	v_pk_add_f32 v[4:5], v[4:5], 0 op_sel_hi:[1,0]
	v_add_u32_e32 v15, 0x110, v8
	v_lshlrev_b32_e32 v0, 2, v129
	global_store_dwordx2 v[2:3], v[4:5], off
	v_sub_u32_e32 v0, v15, v0
	s_waitcnt lgkmcnt(6)
	v_cvt_f32_f16_e32 v4, v6
	v_cvt_f32_f16_sdwa v5, v6 dst_sel:DWORD dst_unused:UNUSED_PAD src0_sel:WORD_1
	v_lshlrev_b64 v[2:3], 3, v[0:1]
	v_mov_b32_e32 v0, s5
	v_add_co_u32_e32 v2, vcc, s4, v2
	v_addc_co_u32_e32 v3, vcc, v0, v3, vcc
	v_lshlrev_b32_e32 v0, 2, v128
	v_pk_add_f32 v[4:5], v[4:5], 0 op_sel_hi:[1,0]
	v_sub_u32_e32 v0, v15, v0
	global_store_dwordx2 v[2:3], v[4:5], off
	v_add_u32_e32 v0, 0x110, v0
	s_waitcnt lgkmcnt(5)
	v_cvt_f32_f16_e32 v4, v7
	v_cvt_f32_f16_sdwa v5, v7 dst_sel:DWORD dst_unused:UNUSED_PAD src0_sel:WORD_1
	v_lshlrev_b64 v[2:3], 3, v[0:1]
	v_mov_b32_e32 v0, s5
	v_add_co_u32_e32 v2, vcc, s4, v2
	v_addc_co_u32_e32 v3, vcc, v0, v3, vcc
	v_add_u32_e32 v15, 0x330, v8
	v_lshlrev_b32_e32 v0, 2, v127
	v_pk_add_f32 v[4:5], v[4:5], 0 op_sel_hi:[1,0]
	v_sub_u32_e32 v0, v15, v0
	global_store_dwordx2 v[2:3], v[4:5], off
	v_lshlrev_b64 v[2:3], 3, v[0:1]
	v_mov_b32_e32 v0, s5
	v_add_co_u32_e32 v2, vcc, s4, v2
	s_movk_i32 s7, 0x7f0
	v_addc_co_u32_e32 v3, vcc, v0, v3, vcc
	v_and_or_b32 v0, v125, s7, v38
	v_mad_u32_u24 v0, v0, s6, v34
	v_lshl_add_u32 v0, v0, 2, 0
	ds_read_b32 v0, v0
	v_and_or_b32 v6, v121, s7, v38
	v_and_or_b32 v7, v118, s7, v38
	v_mad_u32_u24 v6, v6, s6, v34
	v_mad_u32_u24 v7, v7, s6, v34
	s_waitcnt lgkmcnt(5)
	v_cvt_f32_f16_e32 v4, v10
	v_cvt_f32_f16_sdwa v5, v10 dst_sel:DWORD dst_unused:UNUSED_PAD src0_sel:WORD_1
	v_lshl_add_u32 v6, v6, 2, 0
	v_lshl_add_u32 v7, v7, 2, 0
	ds_read_b32 v10, v6
	ds_read_b32 v16, v7
	s_waitcnt lgkmcnt(2)
	v_cvt_f32_f16_e32 v6, v0
	v_cvt_f32_f16_sdwa v7, v0 dst_sel:DWORD dst_unused:UNUSED_PAD src0_sel:WORD_1
	v_pk_add_f32 v[4:5], v[4:5], 0 op_sel_hi:[1,0]
	v_lshlrev_b32_e32 v0, 6, v125
	global_store_dwordx2 v[2:3], v[4:5], off
	v_add_lshl_u32 v0, v0, v34, 3
	v_pk_add_f32 v[2:3], v[6:7], 0 op_sel_hi:[1,0]
	global_store_dwordx2 v0, v[2:3], s[4:5]
	v_lshlrev_b32_e32 v0, 2, v124
	v_sub_u32_e32 v0, v15, v0
	v_cvt_f32_f16_e32 v4, v11
	v_cvt_f32_f16_sdwa v5, v11 dst_sel:DWORD dst_unused:UNUSED_PAD src0_sel:WORD_1
	v_add_u32_e32 v0, 0x220, v0
	v_lshlrev_b64 v[2:3], 3, v[0:1]
	v_mov_b32_e32 v0, s5
	v_add_co_u32_e32 v2, vcc, s4, v2
	v_addc_co_u32_e32 v3, vcc, v0, v3, vcc
	v_pk_add_f32 v[4:5], v[4:5], 0 op_sel_hi:[1,0]
	global_store_dwordx2 v[2:3], v[4:5], off
	v_add_u32_e32 v6, 0x660, v8
	v_lshlrev_b32_e32 v0, 2, v123
	v_cvt_f32_f16_e32 v4, v12
	v_cvt_f32_f16_sdwa v5, v12 dst_sel:DWORD dst_unused:UNUSED_PAD src0_sel:WORD_1
	v_sub_u32_e32 v0, v6, v0
	v_lshlrev_b64 v[2:3], 3, v[0:1]
	v_mov_b32_e32 v0, s5
	v_add_co_u32_e32 v2, vcc, s4, v2
	v_addc_co_u32_e32 v3, vcc, v0, v3, vcc
	v_pk_add_f32 v[4:5], v[4:5], 0 op_sel_hi:[1,0]
	v_lshlrev_b32_e32 v0, 2, v122
	global_store_dwordx2 v[2:3], v[4:5], off
	v_sub_u32_e32 v0, v6, v0
	v_cvt_f32_f16_e32 v4, v13
	v_cvt_f32_f16_sdwa v5, v13 dst_sel:DWORD dst_unused:UNUSED_PAD src0_sel:WORD_1
	v_add_u32_e32 v0, 0x110, v0
	s_waitcnt lgkmcnt(1)
	v_cvt_f32_f16_e32 v6, v10
	v_cvt_f32_f16_sdwa v7, v10 dst_sel:DWORD dst_unused:UNUSED_PAD src0_sel:WORD_1
	v_lshlrev_b64 v[2:3], 3, v[0:1]
	v_mov_b32_e32 v0, s5
	v_add_co_u32_e32 v2, vcc, s4, v2
	v_addc_co_u32_e32 v3, vcc, v0, v3, vcc
	v_pk_add_f32 v[4:5], v[4:5], 0 op_sel_hi:[1,0]
	v_lshlrev_b32_e32 v0, 6, v121
	global_store_dwordx2 v[2:3], v[4:5], off
	v_add_lshl_u32 v0, v0, v34, 3
	v_pk_add_f32 v[2:3], v[6:7], 0 op_sel_hi:[1,0]
	global_store_dwordx2 v0, v[2:3], s[4:5]
	v_add_u32_e32 v6, 0x990, v8
	v_lshlrev_b32_e32 v0, 2, v120
	v_cvt_f32_f16_e32 v4, v14
	v_cvt_f32_f16_sdwa v5, v14 dst_sel:DWORD dst_unused:UNUSED_PAD src0_sel:WORD_1
	v_sub_u32_e32 v0, v6, v0
	v_lshlrev_b64 v[2:3], 3, v[0:1]
	v_mov_b32_e32 v0, s5
	v_add_co_u32_e32 v2, vcc, s4, v2
	v_addc_co_u32_e32 v3, vcc, v0, v3, vcc
	v_pk_add_f32 v[4:5], v[4:5], 0 op_sel_hi:[1,0]
	global_store_dwordx2 v[2:3], v[4:5], off
	v_lshlrev_b32_e32 v0, 2, v119
	v_sub_u32_e32 v0, v6, v0
	ds_read_b32 v5, v9 offset:10880
	ds_read_b32 v6, v9 offset:11968
	;; [unrolled: 1-line block ×5, first 2 shown]
	s_waitcnt lgkmcnt(4)
	v_cvt_f32_f16_e32 v4, v5
	v_cvt_f32_f16_sdwa v5, v5 dst_sel:DWORD dst_unused:UNUSED_PAD src0_sel:WORD_1
	v_add_u32_e32 v0, 0x110, v0
	v_lshlrev_b64 v[2:3], 3, v[0:1]
	v_mov_b32_e32 v0, s5
	v_add_co_u32_e32 v2, vcc, s4, v2
	v_addc_co_u32_e32 v3, vcc, v0, v3, vcc
	v_pk_add_f32 v[4:5], v[4:5], 0 op_sel_hi:[1,0]
	global_store_dwordx2 v[2:3], v[4:5], off
	v_add_u32_e32 v12, 0xbb0, v8
	v_lshlrev_b32_e32 v0, 2, v207
	s_waitcnt lgkmcnt(3)
	v_cvt_f32_f16_e32 v4, v6
	v_cvt_f32_f16_sdwa v5, v6 dst_sel:DWORD dst_unused:UNUSED_PAD src0_sel:WORD_1
	v_sub_u32_e32 v0, v12, v0
	v_cvt_f32_f16_e32 v6, v16
	v_cvt_f32_f16_sdwa v7, v16 dst_sel:DWORD dst_unused:UNUSED_PAD src0_sel:WORD_1
	v_lshlrev_b64 v[2:3], 3, v[0:1]
	v_mov_b32_e32 v0, s5
	v_add_co_u32_e32 v2, vcc, s4, v2
	v_addc_co_u32_e32 v3, vcc, v0, v3, vcc
	v_pk_add_f32 v[4:5], v[4:5], 0 op_sel_hi:[1,0]
	v_lshlrev_b32_e32 v0, 6, v118
	global_store_dwordx2 v[2:3], v[4:5], off
	v_add_lshl_u32 v0, v0, v34, 3
	v_pk_add_f32 v[2:3], v[6:7], 0 op_sel_hi:[1,0]
	global_store_dwordx2 v0, v[2:3], s[4:5]
	v_lshlrev_b32_e32 v0, 2, v206
	v_sub_u32_e32 v0, v12, v0
	s_waitcnt lgkmcnt(2)
	v_cvt_f32_f16_e32 v4, v10
	v_cvt_f32_f16_sdwa v5, v10 dst_sel:DWORD dst_unused:UNUSED_PAD src0_sel:WORD_1
	v_add_u32_e32 v0, 0x220, v0
	v_lshlrev_b64 v[2:3], 3, v[0:1]
	v_mov_b32_e32 v0, s5
	v_add_co_u32_e32 v2, vcc, s4, v2
	v_addc_co_u32_e32 v3, vcc, v0, v3, vcc
	v_pk_add_f32 v[4:5], v[4:5], 0 op_sel_hi:[1,0]
	global_store_dwordx2 v[2:3], v[4:5], off
	v_add_u32_e32 v6, 0xee0, v8
	v_lshlrev_b32_e32 v0, 2, v205
	s_waitcnt lgkmcnt(1)
	v_cvt_f32_f16_e32 v4, v11
	v_cvt_f32_f16_sdwa v5, v11 dst_sel:DWORD dst_unused:UNUSED_PAD src0_sel:WORD_1
	v_sub_u32_e32 v0, v6, v0
	v_lshlrev_b64 v[2:3], 3, v[0:1]
	v_mov_b32_e32 v0, s5
	v_add_co_u32_e32 v2, vcc, s4, v2
	v_addc_co_u32_e32 v3, vcc, v0, v3, vcc
	v_pk_add_f32 v[4:5], v[4:5], 0 op_sel_hi:[1,0]
	v_lshlrev_b32_e32 v0, 2, v204
	global_store_dwordx2 v[2:3], v[4:5], off
	v_sub_u32_e32 v0, v6, v0
	s_waitcnt lgkmcnt(0)
	v_cvt_f32_f16_e32 v2, v9
	v_cvt_f32_f16_sdwa v3, v9 dst_sel:DWORD dst_unused:UNUSED_PAD src0_sel:WORD_1
	v_add_u32_e32 v0, 0x110, v0
	v_lshlrev_b64 v[0:1], 3, v[0:1]
	v_mov_b32_e32 v4, s5
	v_add_co_u32_e32 v0, vcc, s4, v0
	v_addc_co_u32_e32 v1, vcc, v4, v1, vcc
	v_pk_add_f32 v[2:3], v[2:3], 0 op_sel_hi:[1,0]
	global_store_dwordx2 v[0:1], v[2:3], off
.LBB24_560:
	s_endpgm
	.section	.rodata,"a",@progbits
	.p2align	6, 0x0
	.amdhsa_kernel _ZL18flash_attn_ext_f16ILi128ELi128ELi64ELi1ELb0ELb0EEvPKcS1_S1_S1_S1_PKiPfP15HIP_vector_typeIfLj2EEffffjfiS5_IjLj3EEiiiiiiiiiiiliiliiiiil
		.amdhsa_group_segment_fixed_size 0
		.amdhsa_private_segment_fixed_size 144
		.amdhsa_kernarg_size 464
		.amdhsa_user_sgpr_count 8
		.amdhsa_user_sgpr_private_segment_buffer 1
		.amdhsa_user_sgpr_dispatch_ptr 0
		.amdhsa_user_sgpr_queue_ptr 0
		.amdhsa_user_sgpr_kernarg_segment_ptr 1
		.amdhsa_user_sgpr_dispatch_id 0
		.amdhsa_user_sgpr_flat_scratch_init 1
		.amdhsa_user_sgpr_kernarg_preload_length 0
		.amdhsa_user_sgpr_kernarg_preload_offset 0
		.amdhsa_user_sgpr_private_segment_size 0
		.amdhsa_uses_dynamic_stack 0
		.amdhsa_system_sgpr_private_segment_wavefront_offset 1
		.amdhsa_system_sgpr_workgroup_id_x 1
		.amdhsa_system_sgpr_workgroup_id_y 0
		.amdhsa_system_sgpr_workgroup_id_z 0
		.amdhsa_system_sgpr_workgroup_info 0
		.amdhsa_system_vgpr_workitem_id 1
		.amdhsa_next_free_vgpr 256
		.amdhsa_next_free_sgpr 100
		.amdhsa_accum_offset 256
		.amdhsa_reserve_vcc 1
		.amdhsa_reserve_flat_scratch 1
		.amdhsa_float_round_mode_32 0
		.amdhsa_float_round_mode_16_64 0
		.amdhsa_float_denorm_mode_32 3
		.amdhsa_float_denorm_mode_16_64 3
		.amdhsa_dx10_clamp 1
		.amdhsa_ieee_mode 1
		.amdhsa_fp16_overflow 0
		.amdhsa_tg_split 0
		.amdhsa_exception_fp_ieee_invalid_op 0
		.amdhsa_exception_fp_denorm_src 0
		.amdhsa_exception_fp_ieee_div_zero 0
		.amdhsa_exception_fp_ieee_overflow 0
		.amdhsa_exception_fp_ieee_underflow 0
		.amdhsa_exception_fp_ieee_inexact 0
		.amdhsa_exception_int_div_zero 0
	.end_amdhsa_kernel
	.section	.text._ZL18flash_attn_ext_f16ILi128ELi128ELi64ELi1ELb0ELb0EEvPKcS1_S1_S1_S1_PKiPfP15HIP_vector_typeIfLj2EEffffjfiS5_IjLj3EEiiiiiiiiiiiliiliiiiil,"axG",@progbits,_ZL18flash_attn_ext_f16ILi128ELi128ELi64ELi1ELb0ELb0EEvPKcS1_S1_S1_S1_PKiPfP15HIP_vector_typeIfLj2EEffffjfiS5_IjLj3EEiiiiiiiiiiiliiliiiiil,comdat
.Lfunc_end24:
	.size	_ZL18flash_attn_ext_f16ILi128ELi128ELi64ELi1ELb0ELb0EEvPKcS1_S1_S1_S1_PKiPfP15HIP_vector_typeIfLj2EEffffjfiS5_IjLj3EEiiiiiiiiiiiliiliiiiil, .Lfunc_end24-_ZL18flash_attn_ext_f16ILi128ELi128ELi64ELi1ELb0ELb0EEvPKcS1_S1_S1_S1_PKiPfP15HIP_vector_typeIfLj2EEffffjfiS5_IjLj3EEiiiiiiiiiiiliiliiiiil
                                        ; -- End function
	.section	.AMDGPU.csdata,"",@progbits
; Kernel info:
; codeLenInByte = 84760
; NumSgprs: 106
; NumVgprs: 256
; NumAgprs: 0
; TotalNumVgprs: 256
; ScratchSize: 144
; MemoryBound: 0
; FloatMode: 240
; IeeeMode: 1
; LDSByteSize: 0 bytes/workgroup (compile time only)
; SGPRBlocks: 13
; VGPRBlocks: 31
; NumSGPRsForWavesPerEU: 106
; NumVGPRsForWavesPerEU: 256
; AccumOffset: 256
; Occupancy: 2
; WaveLimiterHint : 0
; COMPUTE_PGM_RSRC2:SCRATCH_EN: 1
; COMPUTE_PGM_RSRC2:USER_SGPR: 8
; COMPUTE_PGM_RSRC2:TRAP_HANDLER: 0
; COMPUTE_PGM_RSRC2:TGID_X_EN: 1
; COMPUTE_PGM_RSRC2:TGID_Y_EN: 0
; COMPUTE_PGM_RSRC2:TGID_Z_EN: 0
; COMPUTE_PGM_RSRC2:TIDIG_COMP_CNT: 1
; COMPUTE_PGM_RSRC3_GFX90A:ACCUM_OFFSET: 63
; COMPUTE_PGM_RSRC3_GFX90A:TG_SPLIT: 0
	.section	.text._ZL18flash_attn_ext_f16ILi128ELi128ELi64ELi1ELb1ELb0EEvPKcS1_S1_S1_S1_PKiPfP15HIP_vector_typeIfLj2EEffffjfiS5_IjLj3EEiiiiiiiiiiiliiliiiiil,"axG",@progbits,_ZL18flash_attn_ext_f16ILi128ELi128ELi64ELi1ELb1ELb0EEvPKcS1_S1_S1_S1_PKiPfP15HIP_vector_typeIfLj2EEffffjfiS5_IjLj3EEiiiiiiiiiiiliiliiiiil,comdat
	.globl	_ZL18flash_attn_ext_f16ILi128ELi128ELi64ELi1ELb1ELb0EEvPKcS1_S1_S1_S1_PKiPfP15HIP_vector_typeIfLj2EEffffjfiS5_IjLj3EEiiiiiiiiiiiliiliiiiil ; -- Begin function _ZL18flash_attn_ext_f16ILi128ELi128ELi64ELi1ELb1ELb0EEvPKcS1_S1_S1_S1_PKiPfP15HIP_vector_typeIfLj2EEffffjfiS5_IjLj3EEiiiiiiiiiiiliiliiiiil
	.p2align	8
	.type	_ZL18flash_attn_ext_f16ILi128ELi128ELi64ELi1ELb1ELb0EEvPKcS1_S1_S1_S1_PKiPfP15HIP_vector_typeIfLj2EEffffjfiS5_IjLj3EEiiiiiiiiiiiliiliiiiil,@function
_ZL18flash_attn_ext_f16ILi128ELi128ELi64ELi1ELb1ELb0EEvPKcS1_S1_S1_S1_PKiPfP15HIP_vector_typeIfLj2EEffffjfiS5_IjLj3EEiiiiiiiiiiiliiliiiiil: ; @_ZL18flash_attn_ext_f16ILi128ELi128ELi64ELi1ELb1ELb0EEvPKcS1_S1_S1_S1_PKiPfP15HIP_vector_typeIfLj2EEffffjfiS5_IjLj3EEiiiiiiiiiiiliiliiiiil
; %bb.0:
	s_load_dwordx2 s[14:15], s[4:5], 0x80
	s_load_dwordx4 s[28:31], s[4:5], 0x64
	s_add_u32 flat_scratch_lo, s6, s9
	s_addc_u32 flat_scratch_hi, s7, 0
	s_add_u32 s0, s0, s9
	s_addc_u32 s1, s1, 0
	s_waitcnt lgkmcnt(0)
	s_abs_i32 s7, s15
	v_mov_b32_e32 v4, v0
	v_cvt_f32_u32_e32 v0, s7
	s_sub_i32 s10, 0, s7
	s_abs_i32 s9, s29
	s_mov_b32 s23, s8
	v_rcp_iflag_f32_e32 v0, v0
	s_xor_b32 s8, s29, s15
	s_ashr_i32 s8, s8, 31
                                        ; implicit-def: $vgpr253 : SGPR spill to VGPR lane
	s_load_dword s24, s[4:5], 0xd0
	v_mul_f32_e32 v0, 0x4f7ffffe, v0
	v_cvt_u32_f32_e32 v0, v0
	s_mov_b32 s6, 0
	v_cvt_f32_ubyte0_e32 v2, 0
	v_readfirstlane_b32 s11, v0
	s_mul_i32 s10, s10, s11
	s_mul_hi_u32 s10, s11, s10
	s_add_i32 s11, s11, s10
	s_mul_hi_u32 s10, s9, s11
	s_mul_i32 s11, s10, s7
	s_sub_i32 s9, s9, s11
	s_add_i32 s12, s10, 1
	s_sub_i32 s11, s9, s7
	s_cmp_ge_u32 s9, s7
	s_cselect_b32 s10, s12, s10
	s_cselect_b32 s9, s11, s9
	s_add_i32 s11, s10, 1
	s_cmp_ge_u32 s9, s7
	s_cselect_b32 s7, s11, s10
	s_add_i32 s9, s14, 63
	s_xor_b32 s7, s7, s8
	s_ashr_i32 s10, s9, 31
	s_sub_i32 s8, s7, s8
	s_lshr_b32 s7, s10, 26
	s_add_i32 s9, s9, s7
	s_add_i32 s7, s28, 63
	s_lshr_b32 s7, s7, 6
	s_ashr_i32 s9, s9, 6
	v_writelane_b32 v253, s7, 0
	v_writelane_b32 v253, s9, 1
	s_mul_i32 s7, s7, s9
	v_writelane_b32 v253, s8, 2
	v_writelane_b32 v253, s7, 3
	s_mul_i32 s7, s7, s8
	s_mov_b32 s8, s14
	v_writelane_b32 v253, s8, 4
	v_writelane_b32 v253, s9, 5
	;; [unrolled: 1-line block ×3, first 2 shown]
	s_mul_i32 s7, s7, s15
	s_mul_i32 s10, s7, s30
	s_ashr_i32 s11, s10, 31
	v_writelane_b32 v253, s7, 7
	s_mul_i32 s7, s11, s23
	s_mul_hi_u32 s8, s10, s23
	s_add_i32 s7, s8, s7
	s_add_u32 s8, s4, 0xd0
	s_waitcnt lgkmcnt(0)
	v_cvt_f32_u32_e32 v0, s24
	s_addc_u32 s9, s5, 0
	v_writelane_b32 v253, s8, 8
	s_mul_i32 s12, s10, s23
	v_writelane_b32 v253, s9, 9
	s_cmp_lg_u64 s[6:7], 0
	s_cbranch_scc0 .LBB25_2
; %bb.1:
	v_madmk_f32 v1, v2, 0x4f800000, v0
	v_rcp_f32_e32 v1, v1
	s_sub_u32 s6, 0, s24
	s_subb_u32 s13, 0, 0
	s_mov_b64 s[8:9], 0
	v_mul_f32_e32 v1, 0x5f7ffffc, v1
	v_mul_f32_e32 v3, 0x2f800000, v1
	v_trunc_f32_e32 v3, v3
	v_madmk_f32 v1, v3, 0xcf800000, v1
	v_cvt_u32_f32_e32 v3, v3
	v_cvt_u32_f32_e32 v1, v1
	v_readfirstlane_b32 s14, v3
	v_readfirstlane_b32 s15, v1
	s_mul_hi_u32 s17, s6, s15
	s_mul_i32 s18, s6, s14
	s_mul_i32 s16, s13, s15
	s_add_i32 s17, s17, s18
	s_add_i32 s17, s17, s16
	s_mul_i32 s19, s6, s15
	s_mul_hi_u32 s16, s15, s17
	s_mul_i32 s18, s15, s17
	s_mul_hi_u32 s15, s15, s19
	s_add_u32 s15, s15, s18
	s_addc_u32 s16, 0, s16
	s_mul_hi_u32 s20, s14, s19
	s_mul_i32 s19, s14, s19
	s_add_u32 s15, s15, s19
	s_mul_hi_u32 s18, s14, s17
	s_addc_u32 s15, s16, s20
	s_addc_u32 s16, s18, 0
	s_mul_i32 s17, s14, s17
	s_add_u32 s15, s15, s17
	s_addc_u32 s16, 0, s16
	v_add_co_u32_e32 v1, vcc, s15, v1
	s_cmp_lg_u64 vcc, 0
	s_addc_u32 s14, s14, s16
	v_readfirstlane_b32 s16, v1
	s_mul_i32 s15, s6, s14
	s_mul_hi_u32 s17, s6, s16
	s_add_i32 s15, s17, s15
	s_mul_i32 s13, s13, s16
	s_add_i32 s15, s15, s13
	s_mul_i32 s6, s6, s16
	s_mul_hi_u32 s17, s14, s6
	s_mul_i32 s18, s14, s6
	s_mul_i32 s20, s16, s15
	s_mul_hi_u32 s6, s16, s6
	s_mul_hi_u32 s19, s16, s15
	s_add_u32 s6, s6, s20
	s_addc_u32 s16, 0, s19
	s_add_u32 s6, s6, s18
	s_mul_hi_u32 s13, s14, s15
	s_addc_u32 s6, s16, s17
	s_addc_u32 s13, s13, 0
	s_mul_i32 s15, s14, s15
	s_add_u32 s6, s6, s15
	s_addc_u32 s13, 0, s13
	v_add_co_u32_e32 v1, vcc, s6, v1
	s_cmp_lg_u64 vcc, 0
	s_addc_u32 s13, s14, s13
	s_ashr_i32 s14, s7, 31
	s_add_u32 s6, s12, s14
	s_mov_b32 s15, s14
	s_addc_u32 s7, s7, s14
	s_xor_b64 s[6:7], s[6:7], s[14:15]
	v_readfirstlane_b32 s18, v1
	s_mul_i32 s17, s6, s13
	s_mul_hi_u32 s19, s6, s18
	s_mul_hi_u32 s16, s6, s13
	s_add_u32 s17, s19, s17
	s_addc_u32 s16, 0, s16
	s_mul_hi_u32 s20, s7, s18
	s_mul_i32 s18, s7, s18
	s_add_u32 s17, s17, s18
	s_mul_hi_u32 s19, s7, s13
	s_addc_u32 s16, s16, s20
	s_addc_u32 s17, s19, 0
	s_mul_i32 s13, s7, s13
	s_add_u32 s13, s16, s13
	s_addc_u32 s16, 0, s17
	s_add_u32 s17, s13, 1
	s_addc_u32 s18, s16, 0
	s_add_u32 s19, s13, 2
	s_mul_i32 s21, s24, s16
	s_mul_hi_u32 s22, s24, s13
	s_addc_u32 s20, s16, 0
	s_add_i32 s22, s22, s21
	s_mul_i32 s21, s24, s13
	v_mov_b32_e32 v1, s21
	v_sub_co_u32_e32 v1, vcc, s6, v1
	s_cmp_lg_u64 vcc, 0
	s_subb_u32 s6, s7, s22
	v_subrev_co_u32_e32 v3, vcc, s24, v1
	s_cmp_lg_u64 vcc, 0
	s_subb_u32 s7, s6, 0
	v_readfirstlane_b32 s21, v3
	s_cmp_ge_u32 s21, s24
	s_cselect_b32 s21, -1, 0
	s_cmp_eq_u32 s7, 0
	s_cselect_b32 s7, s21, -1
	s_cmp_lg_u32 s7, 0
	s_cselect_b32 s7, s20, s18
	v_readfirstlane_b32 s18, v1
	s_cselect_b32 s17, s19, s17
	s_cmp_ge_u32 s18, s24
	s_cselect_b32 s18, -1, 0
	s_cmp_eq_u32 s6, 0
	s_cselect_b32 s6, s18, -1
	s_cmp_lg_u32 s6, 0
	s_cselect_b32 s7, s7, s16
	s_cselect_b32 s6, s17, s13
	s_xor_b64 s[6:7], s[6:7], s[14:15]
	s_sub_u32 s6, s6, s14
	v_writelane_b32 v253, s6, 12
	v_writelane_b32 v253, s7, 13
	s_branch .LBB25_3
.LBB25_2:
	s_mov_b64 s[8:9], -1
                                        ; implicit-def: $sgpr6_sgpr7
                                        ; kill: killed $sgpr6_sgpr7
.LBB25_3:
	s_load_dwordx2 s[6:7], s[4:5], 0x74
	v_cvt_f32_u32_e32 v1, s24
	s_andn2_b64 vcc, exec, s[8:9]
	s_waitcnt lgkmcnt(0)
	v_writelane_b32 v253, s6, 10
	v_writelane_b32 v253, s7, 11
	s_cbranch_vccnz .LBB25_5
; %bb.4:
	v_rcp_iflag_f32_e32 v3, v1
	s_sub_i32 s6, 0, s24
	v_mul_f32_e32 v3, 0x4f7ffffe, v3
	v_cvt_u32_f32_e32 v3, v3
	v_readfirstlane_b32 s7, v3
	s_mul_i32 s6, s6, s7
	s_mul_hi_u32 s6, s7, s6
	s_add_i32 s7, s7, s6
	s_mul_hi_u32 s6, s12, s7
	s_mul_i32 s8, s6, s24
	s_sub_i32 s8, s12, s8
	s_add_i32 s7, s6, 1
	s_sub_i32 s9, s8, s24
	s_cmp_ge_u32 s8, s24
	s_cselect_b32 s6, s7, s6
	s_cselect_b32 s8, s9, s8
	s_add_i32 s7, s6, 1
	s_cmp_ge_u32 s8, s24
	s_cselect_b32 s6, s7, s6
	v_writelane_b32 v253, s6, 12
	v_writelane_b32 v253, s7, 13
.LBB25_5:
	s_add_i32 s6, s23, 1
	s_mul_i32 s7, s11, s6
	s_mul_hi_u32 s8, s10, s6
	s_add_i32 s9, s8, s7
	s_mov_b32 s8, 0
	s_cmp_lg_u64 s[8:9], 0
	s_mul_i32 s8, s10, s6
	s_cbranch_scc0 .LBB25_7
; %bb.6:
	v_madmk_f32 v0, v2, 0x4f800000, v0
	v_rcp_f32_e32 v0, v0
	s_sub_u32 s10, 0, s24
	s_subb_u32 s11, 0, 0
	s_mov_b64 s[6:7], 0
	v_mul_f32_e32 v0, 0x5f7ffffc, v0
	v_mul_f32_e32 v2, 0x2f800000, v0
	v_trunc_f32_e32 v2, v2
	v_madmk_f32 v0, v2, 0xcf800000, v0
	v_cvt_u32_f32_e32 v2, v2
	v_cvt_u32_f32_e32 v0, v0
	v_readfirstlane_b32 s12, v2
	v_readfirstlane_b32 s13, v0
	s_mul_hi_u32 s15, s10, s13
	s_mul_i32 s16, s10, s12
	s_mul_i32 s14, s11, s13
	s_add_i32 s15, s15, s16
	s_add_i32 s15, s15, s14
	s_mul_i32 s17, s10, s13
	s_mul_hi_u32 s14, s13, s15
	s_mul_i32 s16, s13, s15
	s_mul_hi_u32 s13, s13, s17
	s_add_u32 s13, s13, s16
	s_addc_u32 s14, 0, s14
	s_mul_hi_u32 s18, s12, s17
	s_mul_i32 s17, s12, s17
	s_add_u32 s13, s13, s17
	s_mul_hi_u32 s16, s12, s15
	s_addc_u32 s13, s14, s18
	s_addc_u32 s14, s16, 0
	s_mul_i32 s15, s12, s15
	s_add_u32 s13, s13, s15
	s_addc_u32 s14, 0, s14
	v_add_co_u32_e32 v0, vcc, s13, v0
	s_cmp_lg_u64 vcc, 0
	s_addc_u32 s12, s12, s14
	v_readfirstlane_b32 s14, v0
	s_mul_i32 s13, s10, s12
	s_mul_hi_u32 s15, s10, s14
	s_add_i32 s13, s15, s13
	s_mul_i32 s11, s11, s14
	s_add_i32 s13, s13, s11
	s_mul_i32 s10, s10, s14
	s_mul_hi_u32 s15, s12, s10
	s_mul_i32 s16, s12, s10
	s_mul_i32 s18, s14, s13
	s_mul_hi_u32 s10, s14, s10
	s_mul_hi_u32 s17, s14, s13
	s_add_u32 s10, s10, s18
	s_addc_u32 s14, 0, s17
	s_add_u32 s10, s10, s16
	s_mul_hi_u32 s11, s12, s13
	s_addc_u32 s10, s14, s15
	s_addc_u32 s11, s11, 0
	s_mul_i32 s13, s12, s13
	s_add_u32 s10, s10, s13
	s_addc_u32 s11, 0, s11
	v_add_co_u32_e32 v0, vcc, s10, v0
	s_cmp_lg_u64 vcc, 0
	s_addc_u32 s14, s12, s11
	s_ashr_i32 s10, s9, 31
	s_add_u32 s12, s8, s10
	s_mov_b32 s11, s10
	s_addc_u32 s13, s9, s10
	s_xor_b64 s[12:13], s[12:13], s[10:11]
	v_readfirstlane_b32 s16, v0
	s_mul_i32 s15, s12, s14
	s_mul_hi_u32 s17, s12, s16
	s_mul_hi_u32 s9, s12, s14
	s_add_u32 s15, s17, s15
	s_addc_u32 s9, 0, s9
	s_mul_hi_u32 s18, s13, s16
	s_mul_i32 s16, s13, s16
	s_add_u32 s15, s15, s16
	s_mul_hi_u32 s17, s13, s14
	s_addc_u32 s9, s9, s18
	s_addc_u32 s15, s17, 0
	s_mul_i32 s14, s13, s14
	s_add_u32 s9, s9, s14
	s_addc_u32 s14, 0, s15
	s_add_u32 s15, s9, 1
	s_addc_u32 s16, s14, 0
	s_add_u32 s17, s9, 2
	s_mul_i32 s19, s24, s14
	s_mul_hi_u32 s20, s24, s9
	s_addc_u32 s18, s14, 0
	s_add_i32 s20, s20, s19
	s_mul_i32 s19, s24, s9
	v_mov_b32_e32 v0, s19
	v_sub_co_u32_e32 v0, vcc, s12, v0
	s_cmp_lg_u64 vcc, 0
	s_subb_u32 s12, s13, s20
	v_subrev_co_u32_e32 v2, vcc, s24, v0
	s_cmp_lg_u64 vcc, 0
	s_subb_u32 s13, s12, 0
	v_readfirstlane_b32 s19, v2
	s_cmp_ge_u32 s19, s24
	s_cselect_b32 s19, -1, 0
	s_cmp_eq_u32 s13, 0
	s_cselect_b32 s13, s19, -1
	s_cmp_lg_u32 s13, 0
	s_cselect_b32 s13, s18, s16
	v_readfirstlane_b32 s16, v0
	s_cselect_b32 s15, s17, s15
	s_cmp_ge_u32 s16, s24
	s_cselect_b32 s16, -1, 0
	s_cmp_eq_u32 s12, 0
	s_cselect_b32 s12, s16, -1
	s_cmp_lg_u32 s12, 0
	s_cselect_b32 s13, s13, s14
	s_cselect_b32 s12, s15, s9
	s_xor_b64 s[12:13], s[12:13], s[10:11]
	s_sub_u32 s10, s12, s10
	v_writelane_b32 v253, s10, 17
	v_writelane_b32 v253, s11, 18
	s_branch .LBB25_8
.LBB25_7:
	s_mov_b64 s[6:7], -1
                                        ; implicit-def: $sgpr10_sgpr11
                                        ; kill: killed $sgpr10_sgpr11
.LBB25_8:
	s_load_dwordx2 s[10:11], s[4:5], 0x5c
	v_writelane_b32 v253, s23, 14
	s_andn2_b64 vcc, exec, s[6:7]
	s_waitcnt lgkmcnt(0)
	v_writelane_b32 v253, s10, 15
	v_writelane_b32 v253, s11, 16
	s_cbranch_vccnz .LBB25_10
; %bb.9:
	v_rcp_iflag_f32_e32 v0, v1
	s_sub_i32 s6, 0, s24
	v_mul_f32_e32 v0, 0x4f7ffffe, v0
	v_cvt_u32_f32_e32 v0, v0
	v_readfirstlane_b32 s7, v0
	s_mul_i32 s6, s6, s7
	s_mul_hi_u32 s6, s7, s6
	s_add_i32 s7, s7, s6
	s_mul_hi_u32 s6, s8, s7
	s_mul_i32 s9, s6, s24
	s_sub_i32 s8, s8, s9
	s_add_i32 s7, s6, 1
	s_sub_i32 s9, s8, s24
	s_cmp_ge_u32 s8, s24
	s_cselect_b32 s6, s7, s6
	s_cselect_b32 s8, s9, s8
	s_add_i32 s7, s6, 1
	s_cmp_ge_u32 s8, s24
	s_cselect_b32 s6, s7, s6
	v_writelane_b32 v253, s6, 17
	v_writelane_b32 v253, s7, 18
.LBB25_10:
	s_load_dwordx16 s[36:51], s[4:5], 0x0
	s_load_dwordx4 s[16:19], s[4:5], 0x40
	s_load_dwordx2 s[72:73], s[4:5], 0x50
	s_load_dwordx2 s[6:7], s[4:5], 0x8c
	s_load_dwordx4 s[8:11], s[4:5], 0x98
	s_load_dwordx2 s[12:13], s[4:5], 0xa8
	s_load_dwordx2 s[54:55], s[4:5], 0xb8
	s_nop 0
	s_load_dwordx2 s[4:5], s[4:5], 0xc8
	v_writelane_b32 v253, s24, 19
	s_waitcnt lgkmcnt(0)
	s_ashr_i32 s96, s6, 2
	s_ashr_i32 s94, s10, 2
	v_writelane_b32 v253, s12, 20
	v_writelane_b32 v253, s13, 21
	;; [unrolled: 1-line block ×4, first 2 shown]
	v_readlane_b32 s13, v253, 1
	s_abs_i32 s12, s13
	v_cvt_f32_u32_e32 v0, s12
	s_mov_b32 s5, s7
	v_writelane_b32 v253, s4, 24
	v_writelane_b32 v253, s5, 25
	v_rcp_iflag_f32_e32 v0, v0
	s_mov_b64 s[4:5], s[8:9]
	s_mov_b32 s7, s11
	v_writelane_b32 v253, s4, 26
	v_mul_f32_e32 v0, 0x4f7ffffe, v0
	v_cvt_u32_f32_e32 v0, v0
	v_writelane_b32 v253, s5, 27
	v_writelane_b32 v253, s6, 28
	;; [unrolled: 1-line block ×3, first 2 shown]
	v_readlane_b32 s4, v253, 12
	s_sub_i32 s6, 0, s12
	v_readfirstlane_b32 s7, v0
	v_readlane_b32 s5, v253, 13
	s_mul_i32 s6, s6, s7
	s_mov_b32 s10, s4
	s_ashr_i32 s5, s13, 31
	s_mul_hi_u32 s6, s7, s6
	v_writelane_b32 v253, s5, 30
	s_abs_i32 s5, s10
	s_add_i32 s6, s7, s6
	v_writelane_b32 v253, s6, 31
	s_mul_hi_u32 s6, s5, s6
	s_mul_i32 s6, s6, s12
	s_sub_i32 s5, s5, s6
	s_ashr_i32 s95, s31, 3
	s_ashr_i32 s92, s55, 1
	;; [unrolled: 1-line block ×3, first 2 shown]
	s_sub_i32 s6, s5, s12
	s_cmp_ge_u32 s5, s12
	s_cselect_b32 s5, s6, s5
	s_sub_i32 s6, s5, s12
	s_cmp_ge_u32 s5, s12
	s_cselect_b32 s5, s6, s5
	v_writelane_b32 v253, s12, 32
	s_xor_b32 s5, s5, s4
	s_sub_i32 s52, s5, s4
	v_readlane_b32 s4, v253, 17
	s_mov_b32 s12, s4
	s_sub_i32 s4, s4, s10
	s_add_i32 s6, s4, s52
	s_min_i32 s4, s13, s6
	v_readlane_b32 s5, v253, 18
	v_writelane_b32 v253, s4, 33
	v_writelane_b32 v253, s36, 34
	;; [unrolled: 1-line block ×11, first 2 shown]
	s_cmp_gt_i32 s12, s10
	v_cvt_f16_f32_e32 v0, s16
	v_writelane_b32 v253, s46, 44
	s_cselect_b64 s[8:9], -1, 0
	s_cmp_le_i32 s12, s10
	v_writelane_b32 v253, s47, 45
	s_cselect_b64 s[4:5], -1, 0
	s_cmp_gt_i32 s13, s6
	v_writelane_b32 v253, s48, 46
	s_cselect_b64 s[6:7], -1, 0
	v_bfe_u32 v148, v4, 10, 10
	v_writelane_b32 v253, s49, 47
	s_or_b64 s[4:5], s[6:7], s[4:5]
	v_pack_b32_f16 v149, v0, v0
	v_add_u32_e32 v0, 4, v148
	v_writelane_b32 v253, s50, 48
	s_and_b64 vcc, exec, s[4:5]
	buffer_store_dword v0, off, s[0:3], 0 offset:148 ; 4-byte Folded Spill
	v_add_u32_e32 v0, 8, v148
	v_writelane_b32 v253, s51, 49
	s_mov_b64 s[4:5], s[28:29]
	buffer_store_dword v0, off, s[0:3], 0 offset:144 ; 4-byte Folded Spill
	v_add_u32_e32 v0, 12, v148
	v_writelane_b32 v253, s4, 50
	buffer_store_dword v0, off, s[0:3], 0 offset:140 ; 4-byte Folded Spill
	v_add_u32_e32 v0, 20, v148
	v_writelane_b32 v253, s5, 51
	;; [unrolled: 3-line block ×4, first 2 shown]
	s_mov_b64 s[6:7], s[18:19]
	s_mov_b32 s5, s17
	buffer_store_dword v0, off, s[0:3], 0 offset:128 ; 4-byte Folded Spill
	v_add_u32_e32 v0, 36, v148
	v_writelane_b32 v253, s4, 54
	buffer_store_dword v0, off, s[0:3], 0 offset:124 ; 4-byte Folded Spill
	v_add_u32_e32 v0, 40, v148
	v_writelane_b32 v253, s5, 55
	;; [unrolled: 3-line block ×5, first 2 shown]
	s_mov_b32 s67, 0
	v_add_u32_e32 v24, 16, v148
	v_add_u32_e32 v23, 32, v148
	;; [unrolled: 1-line block ×3, first 2 shown]
	buffer_store_dword v0, off, s[0:3], 0 offset:108 ; 4-byte Folded Spill
	v_add_u32_e32 v0, 60, v148
	v_and_b32_e32 v25, 15, v148
	v_writelane_b32 v253, s55, 59
	buffer_store_dword v0, off, s[0:3], 0 offset:104 ; 4-byte Folded Spill
	buffer_store_dword v4, off, s[0:3], 0 offset:152 ; 4-byte Folded Spill
	s_cbranch_vccnz .LBB25_689
; %bb.11:
	s_cmp_lg_u64 s[42:43], 0
	s_cselect_b64 s[4:5], -1, 0
	s_mov_b64 s[56:57], s[28:29]
	v_writelane_b32 v253, s4, 60
	v_writelane_b32 v253, s5, 61
	s_mul_i32 s4, s56, s57
	s_cmp_eq_u64 s[44:45], 0
	v_writelane_b32 v253, s4, 62
	s_cselect_b64 s[4:5], -1, 0
                                        ; implicit-def: $vgpr254 : SGPR spill to VGPR lane
	v_writelane_b32 v253, s4, 63
	v_writelane_b32 v254, s5, 0
	v_cmp_nle_f32_e64 s[4:5], s17, 0
	v_writelane_b32 v254, s4, 1
	s_cmp_lg_u64 s[46:47], 0
	v_writelane_b32 v254, s5, 2
	s_cselect_b64 s[4:5], -1, 0
	v_writelane_b32 v254, s4, 3
	v_and_b32_e32 v54, 0x3ff, v4
	v_writelane_b32 v254, s5, 4
	s_movk_i32 s4, 0x1100
	v_and_b32_e32 v1, 15, v54
	v_lshrrev_b32_e32 v11, 1, v54
	v_mad_u32_u24 v0, v148, s4, 0
	v_mul_u32_u24_e32 v3, 0x110, v1
	v_and_b32_e32 v5, 0x78, v11
	v_mul_i32_i24_e32 v2, 0xffffef90, v148
	v_lshlrev_b32_e32 v56, 1, v54
	v_add3_u32 v150, v0, v3, v5
	v_add3_u32 v151, v0, v2, v56
	v_lshrrev_b32_e32 v0, 4, v54
	v_lshlrev_b32_e32 v2, 2, v54
	v_lshl_add_u32 v152, v148, 2, v0
	v_and_b32_e32 v58, 60, v2
	v_mul_u32_u24_e32 v0, 0x110, v152
	v_lshlrev_b32_e32 v2, 2, v58
	v_add3_u32 v153, 0, v0, v2
	v_mul_lo_u32 v2, s96, v152
	s_lshl_b32 s6, s96, 4
	v_add_u32_e32 v4, s6, v2
	v_add_u32_e32 v6, s6, v4
	v_lshlrev_b32_e32 v18, 4, v148
	v_add_u32_e32 v8, s6, v6
	v_add3_u32 v154, 0, v3, v5
	v_lshrrev_b32_e32 v0, 2, v54
	v_or_b32_e32 v3, v18, v1
	s_movk_i32 s6, 0x90
	v_and_b32_e32 v155, 60, v0
	v_mad_u32_u24 v13, v3, s6, 0
	v_mul_lo_u32 v16, s94, v152
	s_lshl_b32 s6, s94, 4
	v_add_u32_e32 v14, s6, v16
	v_mul_u32_u24_e32 v19, 0x88, v155
	v_add_u32_e32 v12, s6, v14
	v_or_b32_e32 v3, v19, v1
	v_add_u32_e32 v10, s6, v12
	v_lshlrev_b32_e32 v20, 1, v3
	s_add_i32 s6, 0, 0x1100
	v_add_u32_e32 v161, s6, v20
	s_add_i32 s6, 0, 0x2200
	v_add_u32_e32 v162, s6, v20
	;; [unrolled: 2-line block ×7, first 2 shown]
	v_readlane_b32 s6, v253, 14
	s_lshl_b32 s66, s6, 6
	s_ashr_i32 s93, s92, 31
	s_ashr_i32 s97, s96, 31
	v_writelane_b32 v254, s95, 5
	s_ashr_i32 s95, s94, 31
	s_add_i32 s9, 0, 0x2240
	s_add_i32 s10, 0, 0x3340
	;; [unrolled: 1-line block ×22, first 2 shown]
	s_lshl_b64 s[6:7], s[66:67], 3
	s_add_u32 s6, s50, s6
	v_or_b32_e32 v5, v18, v54
	s_addc_u32 s7, s51, s7
	v_readlane_b32 s44, v253, 7
	v_lshlrev_b32_e32 v5, 3, v5
	s_movk_i32 s8, 0x110
	s_abs_i32 s45, s44
	v_mov_b32_e32 v9, s7
	v_add_co_u32_e32 v26, vcc, s6, v5
	v_cmp_lt_u32_e64 s[6:7], 63, v54
	v_lshl_add_u32 v21, v1, 1, 0
	v_or_b32_e32 v182, 3, v0
	v_cvt_f32_u32_e32 v3, s45
	v_writelane_b32 v254, s6, 6
	v_mad_u32_u24 v181, v155, s8, v21
	v_mad_u32_u24 v184, v182, s8, v21
	s_movk_i32 s8, 0xc0
	v_addc_co_u32_e32 v27, vcc, 0, v9, vcc
	v_writelane_b32 v254, s7, 7
	v_add_u32_e32 v178, s18, v20
	v_cmp_gt_u32_e64 s[18:19], s8, v54
	s_lshl_b32 s8, s57, 6
	v_add_u32_e32 v0, v18, v54
	buffer_store_dword v26, off, s[0:3], 0 offset:28 ; 4-byte Folded Spill
	s_nop 0
	buffer_store_dword v27, off, s[0:3], 0 offset:32 ; 4-byte Folded Spill
	v_writelane_b32 v254, s8, 8
	v_mul_u32_u24_e32 v18, 0x110, v0
	v_mad_u32_u24 v0, v148, 52, v0
	s_movk_i32 s8, 0x44
	v_readlane_b32 s43, v253, 6
	v_lshl_add_u32 v26, v0, 2, 0
	v_mad_u32_u24 v0, v148, s8, v54
	v_rcp_iflag_f32_e32 v3, v3
	s_abs_i32 s46, s43
	v_add_u32_e32 v189, s22, v20
	v_lshl_add_u32 v0, v0, 2, 0
	s_movk_i32 s22, 0x1f0
	v_cvt_f32_u32_e32 v7, s46
	buffer_store_dword v0, off, s[0:3], 0 offset:16 ; 4-byte Folded Spill
	v_and_or_b32 v0, v24, s22, v25
	v_lshl_add_u32 v183, v19, 1, v21
	v_mul_u32_u24_e32 v19, 0x44, v0
	v_mad_u32_u24 v0, v0, s8, v54
	v_lshl_add_u32 v0, v0, 2, 0
	v_mul_f32_e32 v3, 0x4f7ffffe, v3
	v_readlane_b32 s42, v253, 3
	buffer_store_dword v0, off, s[0:3], 0 offset:156 ; 4-byte Folded Spill
	v_and_or_b32 v0, v23, s22, v25
	v_add_u32_e32 v168, s9, v20
	v_cvt_u32_f32_e32 v3, v3
	v_rcp_iflag_f32_e32 v7, v7
	s_abs_i32 s47, s42
	v_add_u32_e32 v169, s10, v20
	v_add_u32_e32 v170, s11, v20
	;; [unrolled: 1-line block ×9, first 2 shown]
	v_add3_u32 v186, 0, 32, v20
	v_add_u32_e32 v187, s20, v20
	v_add3_u32 v188, 0, 64, v20
	v_add_u32_e32 v190, s23, v20
	v_add_u32_e32 v191, s24, v20
	;; [unrolled: 1-line block ×10, first 2 shown]
	v_mul_u32_u24_e32 v20, 0x44, v0
	v_mad_u32_u24 v0, v0, s8, v54
	v_cvt_f32_u32_e32 v5, s47
	v_lshl_add_u32 v0, v0, 2, 0
	buffer_store_dword v0, off, s[0:3], 0 offset:164 ; 4-byte Folded Spill
	v_and_or_b32 v0, v22, s22, v25
	v_mul_u32_u24_e32 v21, 0x44, v0
	v_mad_u32_u24 v0, v0, s8, v54
	s_ashr_i32 s8, s44, 31
	v_readfirstlane_b32 s9, v3
	v_mul_f32_e32 v3, 0x4f7ffffe, v7
	s_abs_i32 s48, s54
	v_writelane_b32 v254, s8, 9
	s_sub_i32 s8, 0, s45
	v_cvt_f32_u32_e32 v7, s48
	v_cvt_u32_f32_e32 v3, v3
	v_rcp_iflag_f32_e32 v5, v5
	s_mul_i32 s8, s8, s9
	s_mul_hi_u32 s8, s9, s8
	v_writelane_b32 v254, s45, 10
	s_add_i32 s8, s9, s8
	v_lshl_add_u32 v0, v0, 2, 0
	v_writelane_b32 v254, s8, 11
	s_ashr_i32 s8, s43, 31
	v_rcp_iflag_f32_e32 v7, v7
	v_readfirstlane_b32 s35, v3
	v_mul_f32_e32 v3, 0x4f7ffffe, v5
	buffer_store_dword v0, off, s[0:3], 0 offset:172 ; 4-byte Folded Spill
	v_mul_u32_u24_e32 v0, 0x44, v148
	v_writelane_b32 v254, s8, 12
	s_sub_i32 s8, 0, s46
	v_cvt_u32_f32_e32 v3, v3
	v_lshl_add_u32 v0, v0, 2, 0
	s_mul_i32 s8, s8, s35
	buffer_store_dword v0, off, s[0:3], 0 offset:24 ; 4-byte Folded Spill
	v_lshl_add_u32 v0, v19, 2, 0
	s_mul_hi_u32 s8, s35, s8
	v_ashrrev_i32_e32 v17, 31, v16
	buffer_store_dword v0, off, s[0:3], 0 offset:160 ; 4-byte Folded Spill
	v_lshl_add_u32 v0, v20, 2, 0
	v_writelane_b32 v254, s46, 13
	s_add_i32 s8, s35, s8
	v_mul_f32_e32 v5, 0x4f7ffffe, v7
	buffer_store_dword v0, off, s[0:3], 0 offset:168 ; 4-byte Folded Spill
	v_lshl_add_u32 v0, v21, 2, 0
	v_writelane_b32 v254, s8, 14
	s_ashr_i32 s8, s42, 31
	v_lshlrev_b64 v[62:63], 2, v[16:17]
	v_cvt_u32_f32_e32 v5, v5
	v_readfirstlane_b32 s36, v3
	v_or_b32_e32 v11, 4, v11
	v_ashrrev_i32_e32 v15, 31, v14
	buffer_store_dword v0, off, s[0:3], 0 offset:176 ; 4-byte Folded Spill
	v_writelane_b32 v254, s8, 15
	s_sub_i32 s8, 0, s47
	v_mov_b32_e32 v0, s41
	v_add_co_u32_e32 v16, vcc, s40, v62
	v_add_u32_e32 v157, 16, v155
	v_add_u32_e32 v159, 32, v155
	;; [unrolled: 1-line block ×3, first 2 shown]
	v_and_b32_e32 v11, 0x1fc, v11
	s_mul_i32 s8, s8, s36
	v_addc_co_u32_e32 v0, vcc, v0, v63, vcc
	v_lshlrev_b64 v[64:65], 2, v[14:15]
	v_lshl_add_u32 v156, v155, 1, v13
	v_lshl_add_u32 v158, v157, 1, v13
	;; [unrolled: 1-line block ×3, first 2 shown]
	v_add_u32_e32 v179, v13, v11
	v_lshl_add_u32 v180, v172, 1, v13
	v_ashrrev_i32_e32 v13, 31, v12
	s_mul_hi_u32 s8, s36, s8
	buffer_store_dword v0, off, s[0:3], 0 offset:40 ; 4-byte Folded Spill
	v_mov_b32_e32 v0, s41
	v_add_co_u32_e32 v14, vcc, s40, v64
	v_writelane_b32 v254, s47, 16
	s_add_i32 s8, s36, s8
	v_addc_co_u32_e32 v0, vcc, v0, v65, vcc
	v_lshlrev_b64 v[66:67], 2, v[12:13]
	v_readfirstlane_b32 s37, v5
	v_ashrrev_i32_e32 v11, 31, v10
	v_writelane_b32 v254, s8, 17
	s_sub_i32 s8, 0, s48
	buffer_store_dword v0, off, s[0:3], 0 offset:48 ; 4-byte Folded Spill
	v_mov_b32_e32 v0, s41
	v_add_co_u32_e32 v12, vcc, s40, v66
	s_mul_i32 s8, s8, s37
	v_addc_co_u32_e32 v0, vcc, v0, v67, vcc
	v_lshlrev_b64 v[68:69], 2, v[10:11]
	v_ashrrev_i32_e32 v3, 31, v2
	s_mul_hi_u32 s8, s37, s8
	buffer_store_dword v0, off, s[0:3], 0 offset:56 ; 4-byte Folded Spill
	v_mov_b32_e32 v0, s41
	v_add_co_u32_e32 v10, vcc, s40, v68
	v_writelane_b32 v254, s48, 18
	s_add_i32 s8, s37, s8
	v_addc_co_u32_e32 v0, vcc, v0, v69, vcc
	v_lshlrev_b64 v[70:71], 2, v[2:3]
	v_ashrrev_i32_e32 v5, 31, v4
	v_writelane_b32 v254, s8, 19
	buffer_store_dword v0, off, s[0:3], 0 offset:64 ; 4-byte Folded Spill
	v_mov_b32_e32 v0, s39
	v_add_co_u32_e32 v2, vcc, s38, v70
	v_cmp_gt_u32_e64 s[8:9], 16, v54
	v_addc_co_u32_e32 v0, vcc, v0, v71, vcc
	v_lshlrev_b64 v[72:73], 2, v[4:5]
	v_writelane_b32 v254, s8, 20
	v_ashrrev_i32_e32 v7, 31, v6
	buffer_store_dword v2, off, s[0:3], 0 offset:68 ; 4-byte Folded Spill
	buffer_store_dword v0, off, s[0:3], 0 offset:72 ; 4-byte Folded Spill
	v_mov_b32_e32 v0, s39
	v_add_co_u32_e32 v2, vcc, s38, v72
	v_writelane_b32 v254, s9, 21
	s_lshl_b64 s[8:9], s[92:93], 1
	v_addc_co_u32_e32 v0, vcc, v0, v73, vcc
	v_lshlrev_b64 v[74:75], 2, v[6:7]
	v_writelane_b32 v254, s8, 22
	v_ashrrev_i32_e32 v9, 31, v8
	buffer_store_dword v2, off, s[0:3], 0 offset:76 ; 4-byte Folded Spill
	buffer_store_dword v0, off, s[0:3], 0 offset:80 ; 4-byte Folded Spill
	v_mov_b32_e32 v0, s39
	v_add_co_u32_e32 v2, vcc, s38, v74
	v_writelane_b32 v254, s9, 23
	v_addc_co_u32_e32 v0, vcc, v0, v75, vcc
	v_lshlrev_b64 v[76:77], 2, v[8:9]
	s_lshl_b64 s[68:69], s[94:95], 8
	v_writelane_b32 v254, s94, 24
	buffer_store_dword v2, off, s[0:3], 0 offset:84 ; 4-byte Folded Spill
	buffer_store_dword v0, off, s[0:3], 0 offset:88 ; 4-byte Folded Spill
	v_mov_b32_e32 v0, s39
	v_add_co_u32_e32 v2, vcc, s38, v76
	v_writelane_b32 v254, s95, 25
	v_addc_co_u32_e32 v0, vcc, v0, v77, vcc
	s_lshl_b64 s[62:63], s[96:97], 8
	v_readlane_b32 s95, v254, 5
	v_writelane_b32 v254, s96, 26
	buffer_store_dword v0, off, s[0:3], 0 offset:96 ; 4-byte Folded Spill
	v_add_u32_e32 v0, 0, v18
	v_writelane_b32 v254, s97, 27
	s_mov_b32 s8, s92
	s_movk_i32 s16, 0x100
	s_movk_i32 s33, 0x80
	buffer_store_dword v0, off, s[0:3], 0 offset:100 ; 4-byte Folded Spill
	v_mbcnt_lo_u32_b32 v0, -1, 0
	v_writelane_b32 v254, s8, 28
	v_cmp_gt_u32_e64 s[4:5], 64, v54
	v_cmp_gt_u32_e64 s[58:59], 64, v152
	;; [unrolled: 1-line block ×7, first 2 shown]
	s_mov_b32 s65, 0x42b17218
	s_mov_b32 s75, 0x3fb8aa3b
	;; [unrolled: 1-line block ×3, first 2 shown]
	s_brev_b32 s70, -2
	s_mov_b32 s71, 0x3f200000
	s_mov_b32 s6, 0xc1a00000
	v_mbcnt_hi_u32_b32 v226, -1, v0
	v_mov_b32_e32 v227, 0
	v_add_u32_e32 v228, 0x240, v151
	v_add_u32_e32 v229, 0x480, v151
	;; [unrolled: 1-line block ×24, first 2 shown]
	v_or_b32_e32 v202, 1, v155
	v_or_b32_e32 v144, 2, v155
	v_add_u32_e32 v225, 17, v155
	v_add_u32_e32 v205, 19, v155
	;; [unrolled: 1-line block ×6, first 2 shown]
	v_lshlrev_b32_e32 v78, 4, v1
	v_mov_b32_e32 v209, 0xbd5c1c4e
	v_mov_b32_e32 v210, 0x3e088382
	;; [unrolled: 1-line block ×4, first 2 shown]
	s_mov_b32 s64, 0x5040100
	v_cmp_gt_u32_e64 s[22:23], 46, v155
	v_cmp_gt_u32_e64 s[24:25], 45, v155
	;; [unrolled: 1-line block ×9, first 2 shown]
	v_writelane_b32 v254, s9, 29
	buffer_store_dword v16, off, s[0:3], 0 offset:36 ; 4-byte Folded Spill
	buffer_store_dword v14, off, s[0:3], 0 offset:44 ; 4-byte Folded Spill
	;; [unrolled: 1-line block ×6, first 2 shown]
	s_branch .LBB25_13
.LBB25_12:                              ;   in Loop: Header=BB25_13 Depth=1
	s_or_b64 exec, exec, s[42:43]
	v_readlane_b32 s45, v253, 1
	v_readlane_b32 s8, v253, 12
	s_add_i32 s8, s8, s45
	s_abs_i32 s42, s8
	v_readlane_b32 s43, v253, 31
	s_mul_hi_u32 s43, s42, s43
	v_readlane_b32 s44, v253, 32
	s_mul_i32 s43, s43, s44
	v_readlane_b32 s9, v253, 13
	s_sub_i32 s42, s42, s43
	s_ashr_i32 s9, s8, 31
	s_sub_i32 s43, s42, s44
	s_cmp_ge_u32 s42, s44
	s_cselect_b32 s42, s43, s42
	s_sub_i32 s43, s42, s44
	s_cmp_ge_u32 s42, s44
	s_cselect_b32 s42, s43, s42
	s_xor_b32 s42, s42, s9
	s_sub_i32 s9, s9, s42
	s_add_i32 s44, s8, s9
	v_readlane_b32 s8, v253, 17
	s_sub_i32 s42, s8, s44
	s_min_i32 s7, s45, s42
	v_readlane_b32 s9, v253, 18
	s_mov_b32 s46, s8
	v_writelane_b32 v253, s7, 33
	s_mov_b32 s8, s44
	v_writelane_b32 v253, s8, 12
	s_cmp_gt_i32 s46, s44
	v_writelane_b32 v253, s9, 13
	s_cselect_b64 s[8:9], -1, 0
	s_cmp_le_i32 s45, s42
	s_cselect_b64 s[42:43], -1, 0
	s_and_b64 s[42:43], s[42:43], s[8:9]
	s_mov_b32 s52, 0
	s_and_b64 vcc, exec, s[42:43]
	s_cbranch_vccz .LBB25_689
.LBB25_13:                              ; =>This Loop Header: Depth=1
                                        ;     Child Loop BB25_96 Depth 2
                                        ;     Child Loop BB25_429 Depth 2
	v_readlane_b32 s8, v253, 12
	v_readlane_b32 s9, v253, 13
	s_mov_b32 s42, s8
	s_ashr_i32 s8, s8, 31
	v_readlane_b32 s9, v254, 9
	s_xor_b32 s8, s8, s9
	s_abs_i32 s9, s42
	v_readlane_b32 s42, v254, 11
	s_mul_hi_u32 s42, s9, s42
	v_readlane_b32 s45, v254, 10
	s_mul_i32 s43, s42, s45
	s_sub_i32 s9, s9, s43
	s_add_i32 s43, s42, 1
	s_sub_i32 s44, s9, s45
	s_cmp_ge_u32 s9, s45
	s_cselect_b32 s42, s43, s42
	s_cselect_b32 s9, s44, s9
	s_add_i32 s43, s42, 1
	s_cmp_ge_u32 s9, s45
	s_cselect_b32 s9, s43, s42
	s_xor_b32 s9, s9, s8
	s_sub_i32 s48, s9, s8
	v_readlane_b32 s8, v253, 60
	v_readlane_b32 s9, v253, 61
	s_andn2_b64 vcc, exec, s[8:9]
	s_mov_b64 s[8:9], 0
	v_writelane_b32 v254, s8, 30
	s_ashr_i32 s49, s48, 31
	v_writelane_b32 v254, s9, 31
	s_cbranch_vccnz .LBB25_15
; %bb.14:                               ;   in Loop: Header=BB25_13 Depth=1
	s_abs_i32 s8, s48
	v_readlane_b32 s9, v254, 19
	s_mul_hi_u32 s9, s8, s9
	v_readlane_b32 s42, v254, 18
	s_mul_i32 s9, s9, s42
	s_sub_i32 s8, s8, s9
	s_sub_i32 s9, s8, s42
	s_cmp_ge_u32 s8, s42
	s_cselect_b32 s8, s9, s8
	s_sub_i32 s9, s8, s42
	s_cmp_ge_u32 s8, s42
	s_cselect_b32 s8, s9, s8
	s_xor_b32 s8, s8, s49
	v_readlane_b32 s44, v253, 22
	s_sub_i32 s8, s8, s49
	v_readlane_b32 s45, v253, 23
	s_ashr_i32 s9, s8, 31
	s_mul_i32 s42, s8, s45
	s_mul_hi_u32 s43, s8, s44
	s_add_i32 s42, s43, s42
	s_mul_i32 s9, s9, s44
	v_readlane_b32 s76, v253, 34
	s_add_i32 s42, s42, s9
	s_mul_i32 s8, s8, s44
	v_readlane_b32 s82, v253, 40
	v_readlane_b32 s83, v253, 41
	s_add_u32 s8, s82, s8
	s_addc_u32 s9, s83, s42
	v_writelane_b32 v254, s8, 30
	v_writelane_b32 v254, s9, 31
	v_readlane_b32 s77, v253, 35
	v_readlane_b32 s78, v253, 36
	;; [unrolled: 1-line block ×13, first 2 shown]
.LBB25_15:                              ;   in Loop: Header=BB25_13 Depth=1
	v_readlane_b32 s8, v253, 7
	s_mul_i32 s8, s48, s8
	v_readlane_b32 s42, v253, 12
	s_sub_i32 s8, s42, s8
	v_readlane_b32 s43, v253, 13
	s_ashr_i32 s9, s8, 31
	v_readlane_b32 s42, v254, 12
	s_xor_b32 s9, s9, s42
	s_abs_i32 s42, s8
	v_readlane_b32 s43, v254, 14
	s_mul_hi_u32 s43, s42, s43
	v_readlane_b32 s46, v254, 13
	s_mul_i32 s44, s43, s46
	s_sub_i32 s42, s42, s44
	s_add_i32 s44, s43, 1
	s_sub_i32 s45, s42, s46
	s_cmp_ge_u32 s42, s46
	s_cselect_b32 s43, s44, s43
	s_cselect_b32 s42, s45, s42
	s_add_i32 s44, s43, 1
	s_cmp_ge_u32 s42, s46
	s_cselect_b32 s42, s44, s43
	s_xor_b32 s42, s42, s9
	s_sub_i32 s50, s42, s9
	v_readlane_b32 s9, v253, 6
	s_mul_i32 s9, s50, s9
	s_sub_i32 s9, s8, s9
	s_ashr_i32 s8, s9, 31
	v_readlane_b32 s42, v254, 15
	s_xor_b32 s8, s8, s42
	s_abs_i32 s42, s9
	v_readlane_b32 s43, v254, 17
	s_mul_hi_u32 s43, s42, s43
	v_readlane_b32 s46, v254, 16
	s_mul_i32 s44, s43, s46
	s_sub_i32 s42, s42, s44
	s_add_i32 s44, s43, 1
	s_sub_i32 s45, s42, s46
	s_cmp_ge_u32 s42, s46
	s_cselect_b32 s43, s44, s43
	s_cselect_b32 s42, s45, s42
	s_add_i32 s44, s43, 1
	s_cmp_ge_u32 s42, s46
	s_cselect_b32 s42, s44, s43
	s_xor_b32 s42, s42, s8
	s_sub_i32 s51, s42, s8
	v_readlane_b32 s8, v253, 2
	v_readlane_b32 s42, v254, 1
	s_mul_i32 s8, s50, s8
	v_readlane_b32 s43, v254, 2
	s_add_i32 s8, s8, s51
	s_andn2_b64 vcc, exec, s[42:43]
	v_mov_b32_e32 v80, 1.0
	s_cbranch_vccnz .LBB25_17
; %bb.16:                               ;   in Loop: Header=BB25_13 Depth=1
	s_sub_i32 s42, s8, s72
	s_lshl_b32 s42, s42, 1
	s_add_i32 s44, s8, 1
	s_or_b32 s45, s42, 1
	s_cmp_lt_u32 s8, s72
	v_readlane_b32 s76, v253, 54
	v_readlane_b32 s78, v253, 56
	v_readlane_b32 s79, v253, 57
	s_cselect_b64 vcc, -1, 0
	s_mov_b64 s[54:55], s[78:79]
	s_and_b64 s[42:43], vcc, exec
	v_mov_b32_e32 v1, s55
	v_mov_b32_e32 v2, s54
	s_cselect_b32 s42, s44, s45
	v_cndmask_b32_e32 v18, v1, v2, vcc
	v_cvt_f32_i32_e32 v1, s42
	v_cmp_neq_f32_e32 vcc, 1.0, v18
	s_mov_b32 s42, 0x3f2aaaab
	s_movk_i32 s44, 0x204
	v_cndmask_b32_e32 v19, 1.0, v1, vcc
	v_cmp_eq_f32_e32 vcc, 0, v19
	v_cndmask_b32_e64 v20, |v18|, 1.0, vcc
	v_frexp_mant_f32_e32 v1, v20
	v_cmp_gt_f32_e64 s[42:43], s42, v1
	v_cndmask_b32_e64 v2, 1.0, 2.0, s[42:43]
	v_mul_f32_e32 v1, v1, v2
	v_add_f32_e32 v2, 1.0, v1
	v_rcp_f32_e32 v10, v2
	v_add_f32_e32 v3, -1.0, v2
	v_sub_f32_e32 v5, v1, v3
	v_add_f32_e32 v3, -1.0, v1
	v_mul_f32_e32 v1, v3, v10
	v_mul_f32_e32 v4, v2, v1
	v_fma_f32 v6, v1, v2, -v4
	v_fmac_f32_e32 v6, v1, v5
	v_add_f32_e32 v2, v4, v6
	v_sub_f32_e32 v5, v3, v2
	v_pk_add_f32 v[8:9], v[2:3], v[4:5] neg_lo:[0,1] neg_hi:[0,1]
	v_mov_b32_e32 v7, v2
	v_pk_add_f32 v[2:3], v[8:9], v[6:7] neg_lo:[0,1] neg_hi:[0,1]
	v_add_f32_e32 v2, v2, v3
	v_add_f32_e32 v2, v5, v2
	v_mul_f32_e32 v3, v10, v2
	v_add_f32_e32 v2, v1, v3
	v_sub_f32_e32 v1, v2, v1
	v_sub_f32_e32 v1, v3, v1
	v_mul_f32_e32 v3, v2, v2
	v_fma_f32 v5, v2, v2, -v3
	v_add_f32_e32 v4, v1, v1
	v_fmac_f32_e32 v5, v2, v4
	v_add_f32_e32 v4, v3, v5
	v_mov_b32_e32 v6, 0x3e91f4c4
	v_fmac_f32_e32 v6, 0x3e76c4e1, v4
	v_mov_b32_e32 v7, 0x3ecccdef
	v_fma_f32 v6, v4, v6, v7
	v_sub_f32_e32 v3, v4, v3
	v_sub_f32_e32 v12, v5, v3
	v_mul_f32_e32 v3, v4, v6
	v_fma_f32 v5, v4, v6, -v3
	v_fmac_f32_e32 v5, v12, v6
	v_add_f32_e32 v6, v3, v5
	v_add_f32_e32 v7, 0x3f2aaaaa, v6
	v_sub_f32_e32 v3, v6, v3
	v_sub_f32_e32 v3, v5, v3
	v_add_f32_e32 v5, 0xbf2aaaaa, v7
	v_add_f32_e32 v3, 0x31739010, v3
	v_sub_f32_e32 v5, v6, v5
	v_pk_mul_f32 v[8:9], v[2:3], v[4:5]
	v_fma_f32 v6, v4, v2, -v8
	v_pk_add_f32 v[10:11], v[2:3], v[4:5]
	v_fmac_f32_e32 v6, v4, v1
	v_mov_b32_e32 v9, v11
	v_fmac_f32_e32 v6, v12, v2
	v_pk_add_f32 v[4:5], v[8:9], v[6:7]
	v_sub_f32_e32 v3, v4, v8
	v_sub_f32_e32 v3, v6, v3
	;; [unrolled: 1-line block ×3, first 2 shown]
	v_add_f32_e32 v10, v11, v6
	v_mov_b32_e32 v6, v5
	v_pk_mul_f32 v[6:7], v[4:5], v[6:7]
	v_cvt_f64_f32_e32 v[8:9], v20
	v_frexp_exp_i32_f64_e32 v7, v[8:9]
	v_subbrev_co_u32_e64 v7, s[42:43], 0, v7, s[42:43]
	v_cvt_f32_i32_e32 v7, v7
	v_fma_f32 v8, v4, v5, -v6
	v_fmac_f32_e32 v8, v4, v10
	s_mov_b32 s42, 0x3f317218
	v_mul_f32_e32 v4, 0x3f317218, v7
	v_fmac_f32_e32 v8, v3, v5
	v_fma_f32 v10, v7, s42, -v4
	v_fmac_f32_e32 v10, 0xb102e308, v7
	v_ldexp_f32 v11, v2, 1
	v_add_f32_e32 v5, v6, v8
	v_pk_add_f32 v[2:3], v[4:5], v[10:11]
	v_mov_b32_e32 v12, v5
	v_mov_b32_e32 v13, v3
	;; [unrolled: 1-line block ×3, first 2 shown]
	v_pk_add_f32 v[6:7], v[12:13], v[6:7] neg_lo:[0,1] neg_hi:[0,1]
	v_mov_b32_e32 v9, v5
	v_ldexp_f32 v1, v1, 1
	v_pk_add_f32 v[6:7], v[8:9], v[6:7] neg_lo:[0,1] neg_hi:[0,1]
	v_add_f32_e32 v1, v1, v6
	v_add_f32_e32 v5, v1, v7
	v_pk_add_f32 v[6:7], v[2:3], v[4:5] neg_lo:[0,1] neg_hi:[0,1]
	v_pk_add_f32 v[8:9], v[2:3], v[4:5]
	v_mov_b32_e32 v12, v6
	v_mov_b32_e32 v13, v9
	;; [unrolled: 1-line block ×3, first 2 shown]
	v_pk_add_f32 v[12:13], v[10:11], v[12:13]
	v_mov_b32_e32 v4, v13
	v_pk_add_f32 v[14:15], v[4:5], v[2:3] neg_lo:[0,1] neg_hi:[0,1]
	v_mov_b32_e32 v1, v14
	v_mov_b32_e32 v12, v9
	;; [unrolled: 1-line block ×4, first 2 shown]
	v_pk_add_f32 v[6:7], v[10:11], v[6:7] neg_lo:[0,1] neg_hi:[0,1]
	v_pk_add_f32 v[16:17], v[8:9], v[0:1] neg_lo:[0,1] neg_hi:[0,1]
	;; [unrolled: 1-line block ×3, first 2 shown]
	v_mov_b32_e32 v10, v5
	v_pk_add_f32 v[2:3], v[10:11], v[2:3] neg_lo:[0,1] neg_hi:[0,1]
	v_mov_b32_e32 v16, v6
	v_pk_add_f32 v[8:9], v[16:17], v[2:3]
	v_mov_b32_e32 v10, v9
	v_pk_add_f32 v[10:11], v[8:9], v[10:11]
	v_pk_add_f32 v[4:5], v[4:5], v[10:11]
	v_mov_b32_e32 v7, v13
	v_mov_b32_e32 v9, v4
	v_pk_add_f32 v[12:13], v[8:9], v[6:7] neg_lo:[0,1] neg_hi:[0,1]
	v_mov_b32_e32 v3, v10
	v_sub_f32_e32 v1, v8, v12
	v_pk_add_f32 v[2:3], v[2:3], v[12:13] neg_lo:[0,1] neg_hi:[0,1]
	v_sub_f32_e32 v1, v6, v1
	v_add_f32_e32 v1, v2, v1
	v_add_f32_e32 v1, v1, v3
	;; [unrolled: 1-line block ×3, first 2 shown]
	v_sub_f32_e32 v3, v2, v4
	v_sub_f32_e32 v1, v1, v3
	v_mul_f32_e32 v3, v19, v2
	v_fma_f32 v2, v19, v2, -v3
	v_fmac_f32_e32 v2, v19, v1
	v_add_f32_e32 v1, v3, v2
	v_cmp_class_f32_e64 s[42:43], v3, s44
	v_sub_f32_e32 v4, v1, v3
	v_cndmask_b32_e64 v1, v1, v3, s[42:43]
	v_cmp_eq_f32_e64 s[42:43], s65, v1
	v_mov_b32_e32 v3, 0x37000000
	v_cndmask_b32_e64 v3, 0, v3, s[42:43]
	v_sub_f32_e32 v2, v2, v4
	v_sub_f32_e32 v4, v1, v3
	v_mul_f32_e32 v5, 0x3fb8aa3b, v4
	v_fma_f32 v6, v4, s75, -v5
	v_rndne_f32_e32 v7, v5
	v_fmac_f32_e32 v6, 0x32a5705f, v4
	v_sub_f32_e32 v5, v5, v7
	v_add_f32_e32 v5, v5, v6
	v_exp_f32_e32 v5, v5
	v_cvt_i32_f32_e32 v6, v7
	s_mov_b32 s45, 0x7f800000
	v_cmp_neq_f32_e64 s[42:43], |v1|, s45
	v_cndmask_b32_e64 v1, 0, v2, s[42:43]
	v_ldexp_f32 v2, v5, v6
	v_cmp_ngt_f32_e64 s[42:43], s74, v4
	v_cndmask_b32_e64 v2, 0, v2, s[42:43]
	v_cmp_nlt_f32_e64 s[42:43], s65, v4
	v_add_f32_e32 v1, v3, v1
	v_cndmask_b32_e64 v2, v212, v2, s[42:43]
	v_fma_f32 v1, v2, v1, v2
	v_cmp_class_f32_e64 s[42:43], v2, s44
	v_trunc_f32_e32 v3, v19
	v_cndmask_b32_e64 v1, v1, v2, s[42:43]
	v_cndmask_b32_e64 v2, v18, 1.0, vcc
	v_cmp_eq_f32_e32 vcc, v3, v19
	v_mul_f32_e32 v3, 0.5, v19
	v_trunc_f32_e32 v4, v3
	v_cmp_neq_f32_e64 s[42:43], v4, v3
	s_and_b64 s[42:43], vcc, s[42:43]
	v_cndmask_b32_e64 v3, 1.0, v2, s[42:43]
	v_bfi_b32 v1, s70, v1, v3
	v_mov_b32_e32 v5, 0x7fc00000
	v_cndmask_b32_e32 v3, v5, v1, vcc
	v_cmp_gt_f32_e32 vcc, 0, v2
	v_cndmask_b32_e32 v1, v1, v3, vcc
	v_cmp_eq_f32_e32 vcc, s45, v20
	v_cmp_eq_f32_e64 s[44:45], 0, v2
	v_cmp_gt_f32_e64 s[46:47], 0, v19
	s_xor_b64 s[46:47], s[46:47], s[44:45]
	v_cndmask_b32_e64 v3, v212, 0, s[46:47]
	v_cndmask_b32_e64 v4, 0, v2, s[42:43]
	v_bfi_b32 v3, s70, v3, v4
	s_or_b64 vcc, vcc, s[44:45]
	v_cndmask_b32_e32 v1, v1, v3, vcc
	v_cmp_o_f32_e32 vcc, v2, v2
	v_cndmask_b32_e32 v80, v5, v1, vcc
	v_readlane_b32 s77, v253, 55
.LBB25_17:                              ;   in Loop: Header=BB25_13 Depth=1
	v_readlane_b32 s42, v253, 3
	s_mul_i32 s51, s51, s42
	s_sub_i32 s9, s9, s51
	s_ashr_i32 s42, s9, 31
	v_readlane_b32 s43, v253, 30
	s_xor_b32 s42, s42, s43
	s_abs_i32 s9, s9
	v_readlane_b32 s43, v253, 31
	s_mul_hi_u32 s43, s9, s43
	v_readlane_b32 s46, v253, 32
	s_mul_i32 s44, s43, s46
	s_sub_i32 s9, s9, s44
	s_add_i32 s44, s43, 1
	s_sub_i32 s45, s9, s46
	s_cmp_ge_u32 s9, s46
	s_cselect_b32 s43, s44, s43
	s_cselect_b32 s9, s45, s9
	s_add_i32 s44, s43, 1
	s_cmp_ge_u32 s9, s46
	s_cselect_b32 s9, s44, s43
	s_xor_b32 s9, s9, s42
	v_readlane_b32 s44, v254, 3
	v_readlane_b32 s45, v254, 4
	s_sub_i32 s7, s9, s42
	s_andn2_b64 vcc, exec, s[44:45]
	v_writelane_b32 v254, s7, 32
	s_cbranch_vccnz .LBB25_19
; %bb.18:                               ;   in Loop: Header=BB25_13 Depth=1
	v_readlane_b32 s9, v253, 0
	s_mul_i32 s9, s48, s9
	s_add_i32 s42, s7, s9
	s_ashr_i32 s43, s42, 31
	v_readlane_b32 s76, v253, 34
	s_lshl_b64 s[42:43], s[42:43], 2
	v_readlane_b32 s86, v253, 44
	v_readlane_b32 s87, v253, 45
	s_add_u32 s42, s86, s42
	s_addc_u32 s43, s87, s43
	global_load_dword v1, v227, s[42:43]
	v_readlane_b32 s7, v253, 33
	v_readlane_b32 s77, v253, 35
	;; [unrolled: 1-line block ×14, first 2 shown]
	s_waitcnt vmcnt(0)
	v_readfirstlane_b32 s9, v1
	s_ashr_i32 s42, s9, 31
	s_lshr_b32 s42, s42, 26
	s_add_i32 s9, s9, s42
	s_ashr_i32 s9, s9, 6
	s_min_i32 s7, s7, s9
	v_writelane_b32 v253, s7, 33
	s_branch .LBB25_20
.LBB25_19:                              ;   in Loop: Header=BB25_13 Depth=1
	v_readlane_b32 s76, v253, 34
	v_readlane_b32 s77, v253, 35
	;; [unrolled: 1-line block ×16, first 2 shown]
.LBB25_20:                              ;   in Loop: Header=BB25_13 Depth=1
	v_readlane_b32 s9, v253, 62
	s_mul_i32 s9, s9, s48
	s_add_i32 s9, s8, s9
	s_lshl_b32 s66, s9, 6
	v_readlane_b32 s44, v253, 20
	s_lshl_b64 s[42:43], s[66:67], 3
	v_readlane_b32 s45, v253, 21
	s_add_u32 s7, s88, s42
	s_mul_i32 s9, s48, s45
	s_mul_hi_u32 s42, s48, s44
	s_addc_u32 s66, s89, s43
	s_add_i32 s9, s42, s9
	s_mul_i32 s42, s49, s44
	s_add_i32 s42, s9, s42
	s_mul_i32 s9, s48, s44
	v_readlane_b32 s44, v253, 26
	v_readlane_b32 s47, v253, 29
	v_writelane_b32 v254, s9, 33
	s_add_u32 s9, s80, s9
	v_readlane_b32 s45, v253, 27
	s_mul_i32 s43, s50, s47
	v_writelane_b32 v254, s42, 34
	s_addc_u32 s42, s81, s42
	s_mov_b64 s[80:81], s[44:45]
	s_ashr_i32 s44, s43, 31
	v_writelane_b32 v254, s43, 35
	s_add_u32 s9, s9, s43
	v_writelane_b32 v254, s9, 36
	v_writelane_b32 v254, s44, 37
	s_addc_u32 s9, s42, s44
	v_writelane_b32 v254, s9, 38
	s_ashr_i32 s9, s8, 31
	s_lshl_b64 s[42:43], s[8:9], 2
	s_add_u32 s9, s84, s42
	s_addc_u32 s44, s85, s43
	v_readlane_b32 s42, v253, 63
	v_readlane_b32 s43, v254, 0
	s_and_b64 s[42:43], s[42:43], exec
	s_cselect_b32 s43, 0, s44
	v_readlane_b32 s44, v253, 10
	s_cselect_b32 s42, 0, s9
	v_readlane_b32 s45, v253, 11
	v_writelane_b32 v254, s42, 39
	s_mul_i32 s9, s48, s45
	v_writelane_b32 v254, s43, 40
	s_ashr_i32 s42, s9, 31
	s_add_u32 s9, s76, s9
	s_mul_i32 s8, s8, s44
	s_addc_u32 s42, s77, s42
	s_ashr_i32 s43, s8, 31
	s_add_u32 s8, s9, s8
	v_writelane_b32 v254, s8, 41
	s_addc_u32 s8, s42, s43
	v_writelane_b32 v254, s8, 42
	s_mul_i32 s8, s48, s81
	s_mul_hi_u32 s9, s48, s80
	s_add_i32 s8, s9, s8
	s_mul_i32 s49, s49, s80
	v_readlane_b32 s42, v253, 24
	s_add_i32 s9, s8, s49
	s_mul_i32 s8, s48, s80
	v_readlane_b32 s43, v253, 25
	v_writelane_b32 v254, s8, 43
	s_add_u32 s8, s78, s8
	s_mul_i32 s42, s50, s43
	v_writelane_b32 v254, s9, 44
	s_addc_u32 s9, s79, s9
	s_ashr_i32 s43, s42, 31
	v_writelane_b32 v254, s42, 45
	s_add_u32 s8, s8, s42
	v_writelane_b32 v254, s8, 46
	v_writelane_b32 v254, s43, 47
	s_addc_u32 s8, s9, s43
	v_writelane_b32 v254, s8, 48
	s_cmp_lg_u32 s52, 0
	v_writelane_b32 v254, s66, 49
	v_readlane_b32 s46, v253, 28
                                        ; implicit-def: $vgpr255 : SGPR spill to VGPR lane
	s_cbranch_scc0 .LBB25_166
; %bb.21:                               ;   in Loop: Header=BB25_13 Depth=1
	v_readlane_b32 s8, v254, 32
	s_lshl_b32 s42, s8, 6
	v_readlane_b32 s44, v253, 50
	v_add_u32_e32 v125, s42, v148
	v_readlane_b32 s45, v253, 51
	s_mov_b32 s8, s44
	v_cmp_gt_i32_e64 s[44:45], s8, v125
	v_writelane_b32 v255, s44, 22
	v_writelane_b32 v255, s45, 23
	v_cmp_le_i32_e32 vcc, s8, v125
	v_readlane_b32 s46, v253, 52
	v_readlane_b32 s47, v253, 53
	s_and_saveexec_b64 s[8:9], vcc
	s_xor_b64 s[8:9], exec, s[8:9]
	s_cbranch_execz .LBB25_23
; %bb.22:                               ;   in Loop: Header=BB25_13 Depth=1
	buffer_load_dword v1, off, s[0:3], 0 offset:20 ; 4-byte Folded Reload
	s_waitcnt vmcnt(0)
	ds_write_b32 v1, v227
.LBB25_23:                              ;   in Loop: Header=BB25_13 Depth=1
	s_or_saveexec_b64 s[8:9], s[8:9]
	v_readlane_b32 s53, v254, 36
	v_readlane_b32 s56, v254, 38
	v_readlane_b32 s57, v254, 46
	v_readlane_b32 s76, v254, 48
	v_readlane_b32 s48, v254, 41
	v_readlane_b32 s49, v254, 42
	s_xor_b64 exec, exec, s[8:9]
	s_cbranch_execz .LBB25_25
; %bb.24:                               ;   in Loop: Header=BB25_13 Depth=1
	v_mad_u64_u32 v[2:3], s[44:45], v125, s95, v[54:55]
	v_ashrrev_i32_e32 v3, 31, v2
	v_lshlrev_b64 v[2:3], 3, v[2:3]
	v_mov_b32_e32 v1, s49
	v_add_co_u32_e32 v2, vcc, s48, v2
	v_addc_co_u32_e32 v3, vcc, v1, v3, vcc
	global_load_dwordx2 v[2:3], v[2:3], off
	s_waitcnt vmcnt(0)
	v_cvt_f16_f32_e32 v1, v2
	v_cvt_f16_f32_e32 v2, v3
	v_pack_b32_f16 v1, v1, v2
	buffer_load_dword v2, off, s[0:3], 0 offset:20 ; 4-byte Folded Reload
	v_pk_mul_f16 v1, v149, v1
	s_waitcnt vmcnt(0)
	ds_write_b32 v2, v1
.LBB25_25:                              ;   in Loop: Header=BB25_13 Depth=1
	s_or_b64 exec, exec, s[8:9]
	v_add_u32_e32 v1, 4, v148
	v_readlane_b32 s44, v253, 50
	v_add_u32_e32 v124, s42, v1
	v_readlane_b32 s45, v253, 51
	s_mov_b32 s8, s44
	v_cmp_gt_i32_e64 s[44:45], s8, v124
	v_writelane_b32 v255, s44, 24
	v_writelane_b32 v255, s45, 25
	v_cmp_le_i32_e32 vcc, s8, v124
	v_readlane_b32 s46, v253, 52
	v_readlane_b32 s47, v253, 53
	s_and_saveexec_b64 s[8:9], vcc
	s_xor_b64 s[8:9], exec, s[8:9]
	s_cbranch_execz .LBB25_27
; %bb.26:                               ;   in Loop: Header=BB25_13 Depth=1
	ds_write_b32 v252, v227
.LBB25_27:                              ;   in Loop: Header=BB25_13 Depth=1
	s_andn2_saveexec_b64 s[8:9], s[8:9]
	s_cbranch_execz .LBB25_29
; %bb.28:                               ;   in Loop: Header=BB25_13 Depth=1
	v_mad_u64_u32 v[2:3], s[44:45], v124, s95, v[54:55]
	v_ashrrev_i32_e32 v3, 31, v2
	v_lshlrev_b64 v[2:3], 3, v[2:3]
	v_mov_b32_e32 v1, s49
	v_add_co_u32_e32 v2, vcc, s48, v2
	v_addc_co_u32_e32 v3, vcc, v1, v3, vcc
	global_load_dwordx2 v[2:3], v[2:3], off
	s_waitcnt vmcnt(0)
	v_cvt_f16_f32_e32 v1, v2
	v_cvt_f16_f32_e32 v2, v3
	v_pack_b32_f16 v1, v1, v2
	v_pk_mul_f16 v1, v149, v1
	ds_write_b32 v252, v1
.LBB25_29:                              ;   in Loop: Header=BB25_13 Depth=1
	s_or_b64 exec, exec, s[8:9]
	v_add_u32_e32 v1, 8, v148
	v_readlane_b32 s44, v253, 50
	v_add_u32_e32 v123, s42, v1
	v_readlane_b32 s45, v253, 51
	s_mov_b32 s8, s44
	v_cmp_gt_i32_e64 s[44:45], s8, v123
	v_writelane_b32 v255, s44, 26
	v_writelane_b32 v255, s45, 27
	v_cmp_le_i32_e32 vcc, s8, v123
	v_readlane_b32 s46, v253, 52
	v_readlane_b32 s47, v253, 53
	s_and_saveexec_b64 s[8:9], vcc
	s_xor_b64 s[8:9], exec, s[8:9]
	s_cbranch_execz .LBB25_31
; %bb.30:                               ;   in Loop: Header=BB25_13 Depth=1
	ds_write_b32 v208, v227
.LBB25_31:                              ;   in Loop: Header=BB25_13 Depth=1
	s_andn2_saveexec_b64 s[8:9], s[8:9]
	s_cbranch_execz .LBB25_33
; %bb.32:                               ;   in Loop: Header=BB25_13 Depth=1
	v_mad_u64_u32 v[2:3], s[44:45], v123, s95, v[54:55]
	v_ashrrev_i32_e32 v3, 31, v2
	v_lshlrev_b64 v[2:3], 3, v[2:3]
	v_mov_b32_e32 v1, s49
	v_add_co_u32_e32 v2, vcc, s48, v2
	v_addc_co_u32_e32 v3, vcc, v1, v3, vcc
	global_load_dwordx2 v[2:3], v[2:3], off
	s_waitcnt vmcnt(0)
	v_cvt_f16_f32_e32 v1, v2
	v_cvt_f16_f32_e32 v2, v3
	v_pack_b32_f16 v1, v1, v2
	v_pk_mul_f16 v1, v149, v1
	ds_write_b32 v208, v1
.LBB25_33:                              ;   in Loop: Header=BB25_13 Depth=1
	;; [unrolled: 35-line block ×3, first 2 shown]
	s_or_b64 exec, exec, s[8:9]
	v_add_u32_e32 v1, 16, v148
	v_readlane_b32 s44, v253, 50
	v_add_u32_e32 v121, s42, v1
	v_readlane_b32 s45, v253, 51
	s_mov_b32 s8, s44
	v_cmp_gt_i32_e64 s[44:45], s8, v121
	v_writelane_b32 v255, s44, 30
	v_writelane_b32 v255, s45, 31
	v_cmp_le_i32_e32 vcc, s8, v121
	v_readlane_b32 s46, v253, 52
	v_readlane_b32 s47, v253, 53
	s_and_saveexec_b64 s[8:9], vcc
	s_xor_b64 s[8:9], exec, s[8:9]
	s_cbranch_execz .LBB25_39
; %bb.38:                               ;   in Loop: Header=BB25_13 Depth=1
	ds_write_b32 v204, v227 offset:1088
.LBB25_39:                              ;   in Loop: Header=BB25_13 Depth=1
	s_andn2_saveexec_b64 s[8:9], s[8:9]
	s_cbranch_execz .LBB25_41
; %bb.40:                               ;   in Loop: Header=BB25_13 Depth=1
	v_mad_u64_u32 v[2:3], s[44:45], v121, s95, v[54:55]
	v_ashrrev_i32_e32 v3, 31, v2
	v_lshlrev_b64 v[2:3], 3, v[2:3]
	v_mov_b32_e32 v1, s49
	v_add_co_u32_e32 v2, vcc, s48, v2
	v_addc_co_u32_e32 v3, vcc, v1, v3, vcc
	global_load_dwordx2 v[2:3], v[2:3], off
	s_waitcnt vmcnt(0)
	v_cvt_f16_f32_e32 v1, v2
	v_cvt_f16_f32_e32 v2, v3
	v_pack_b32_f16 v1, v1, v2
	v_pk_mul_f16 v1, v149, v1
	ds_write_b32 v204, v1 offset:1088
.LBB25_41:                              ;   in Loop: Header=BB25_13 Depth=1
	s_or_b64 exec, exec, s[8:9]
	v_add_u32_e32 v1, 20, v148
	v_readlane_b32 s44, v253, 50
	v_add_u32_e32 v120, s42, v1
	v_readlane_b32 s45, v253, 51
	s_mov_b32 s8, s44
	v_cmp_gt_i32_e64 s[44:45], s8, v120
	v_writelane_b32 v255, s44, 32
	v_writelane_b32 v255, s45, 33
	v_cmp_le_i32_e32 vcc, s8, v120
	v_readlane_b32 s46, v253, 52
	v_readlane_b32 s47, v253, 53
	s_and_saveexec_b64 s[8:9], vcc
	s_xor_b64 s[8:9], exec, s[8:9]
	s_cbranch_execz .LBB25_43
; %bb.42:                               ;   in Loop: Header=BB25_13 Depth=1
	ds_write_b32 v204, v227 offset:2176
.LBB25_43:                              ;   in Loop: Header=BB25_13 Depth=1
	s_andn2_saveexec_b64 s[8:9], s[8:9]
	s_cbranch_execz .LBB25_45
; %bb.44:                               ;   in Loop: Header=BB25_13 Depth=1
	v_mad_u64_u32 v[2:3], s[44:45], v120, s95, v[54:55]
	v_ashrrev_i32_e32 v3, 31, v2
	v_lshlrev_b64 v[2:3], 3, v[2:3]
	v_mov_b32_e32 v1, s49
	v_add_co_u32_e32 v2, vcc, s48, v2
	v_addc_co_u32_e32 v3, vcc, v1, v3, vcc
	global_load_dwordx2 v[2:3], v[2:3], off
	s_waitcnt vmcnt(0)
	v_cvt_f16_f32_e32 v1, v2
	v_cvt_f16_f32_e32 v2, v3
	v_pack_b32_f16 v1, v1, v2
	v_pk_mul_f16 v1, v149, v1
	ds_write_b32 v204, v1 offset:2176
.LBB25_45:                              ;   in Loop: Header=BB25_13 Depth=1
	;; [unrolled: 35-line block ×11, first 2 shown]
	s_or_b64 exec, exec, s[8:9]
	v_add_u32_e32 v2, 60, v148
	v_readlane_b32 s44, v253, 50
	v_add_u32_e32 v214, s42, v2
	s_mov_b32 s8, s44
	v_cmp_gt_i32_e64 s[42:43], s8, v214
	v_writelane_b32 v255, s42, 52
	v_writelane_b32 v255, s43, 53
	v_cmp_le_i32_e32 vcc, s8, v214
	v_readlane_b32 s45, v253, 51
	v_readlane_b32 s46, v253, 52
	;; [unrolled: 1-line block ×3, first 2 shown]
	s_and_saveexec_b64 s[8:9], vcc
	s_xor_b64 s[8:9], exec, s[8:9]
	s_cbranch_execz .LBB25_83
; %bb.82:                               ;   in Loop: Header=BB25_13 Depth=1
	ds_write_b32 v204, v227 offset:13056
.LBB25_83:                              ;   in Loop: Header=BB25_13 Depth=1
	s_andn2_saveexec_b64 s[8:9], s[8:9]
	s_cbranch_execz .LBB25_85
; %bb.84:                               ;   in Loop: Header=BB25_13 Depth=1
	v_mad_u64_u32 v[2:3], s[42:43], v214, s95, v[54:55]
	v_ashrrev_i32_e32 v3, 31, v2
	v_lshlrev_b64 v[2:3], 3, v[2:3]
	v_mov_b32_e32 v4, s49
	v_add_co_u32_e32 v2, vcc, s48, v2
	v_addc_co_u32_e32 v3, vcc, v4, v3, vcc
	global_load_dwordx2 v[2:3], v[2:3], off
	s_waitcnt vmcnt(0)
	v_cvt_f16_f32_e32 v2, v2
	v_cvt_f16_f32_e32 v3, v3
	v_pack_b32_f16 v2, v2, v3
	v_pk_mul_f16 v2, v149, v2
	ds_write_b32 v204, v2 offset:13056
.LBB25_85:                              ;   in Loop: Header=BB25_13 Depth=1
	s_or_b64 exec, exec, s[8:9]
	s_waitcnt lgkmcnt(0)
	s_barrier
	ds_read2_b64 v[14:17], v150 offset1:4
	ds_read2_b64 v[10:13], v150 offset0:8 offset1:12
	ds_read2_b64 v[6:9], v150 offset0:16 offset1:20
	ds_read2_b64 v[2:5], v150 offset0:24 offset1:28
	v_readlane_b32 s8, v253, 33
	s_add_i32 s46, s8, -1
	s_cmp_le_i32 s46, s52
	v_mov_b32_e32 v126, 0
	s_waitcnt lgkmcnt(0)
	s_barrier
	s_cbranch_scc1 .LBB25_167
; %bb.86:                               ;   in Loop: Header=BB25_13 Depth=1
	v_readlane_b32 s42, v254, 30
	v_readlane_b32 s43, v254, 31
	v_lshlrev_b32_e32 v18, 1, v54
	v_mov_b32_e32 v19, s43
	v_add_co_u32_e32 v60, vcc, s42, v18
	v_readlane_b32 s54, v253, 15
	v_and_b32_e32 v50, 64, v226
	v_addc_co_u32_e32 v61, vcc, 0, v19, vcc
	v_mul_hi_u32 v18, s54, v125
	v_mul_hi_u32 v20, s54, v124
	;; [unrolled: 1-line block ×16, first 2 shown]
	v_add_u32_e32 v50, 64, v50
	v_xor_b32_e32 v51, 32, v226
	v_readlane_b32 s55, v253, 16
	v_add_u32_e32 v18, v125, v18
	v_readlane_b32 s48, v253, 50
	v_add_u32_e32 v20, v124, v20
	v_add_u32_e32 v22, v123, v22
	;; [unrolled: 1-line block ×15, first 2 shown]
	v_cmp_lt_i32_e32 vcc, v51, v50
	v_lshrrev_b32_e32 v18, s55, v18
	s_mov_b32 s44, s48
	v_lshrrev_b32_e32 v20, s55, v20
	v_lshrrev_b32_e32 v22, s55, v22
	;; [unrolled: 1-line block ×15, first 2 shown]
	v_cndmask_b32_e32 v51, v226, v51, vcc
	v_mul_lo_u32 v18, v18, s44
	v_mul_lo_u32 v20, v20, s44
	;; [unrolled: 1-line block ×16, first 2 shown]
	v_lshlrev_b32_e32 v130, 2, v51
	v_xor_b32_e32 v51, 16, v226
	v_sub_u32_e32 v18, v125, v18
	v_sub_u32_e32 v20, v124, v20
	;; [unrolled: 1-line block ×16, first 2 shown]
	v_cmp_lt_i32_e32 vcc, v51, v50
	s_cmp_lg_u64 s[42:43], 0
	v_mad_i64_i32 v[18:19], s[42:43], v18, s92, 0
	v_mad_i64_i32 v[20:21], s[42:43], v20, s92, 0
	;; [unrolled: 1-line block ×16, first 2 shown]
	v_cndmask_b32_e32 v50, v226, v51, vcc
	s_cselect_b64 s[8:9], -1, 0
	v_mov_b32_e32 v139, 0
	v_lshlrev_b32_e32 v131, 2, v50
	v_mov_b32_e32 v82, v80
	v_mov_b32_e32 v83, v80
	s_lshl_b32 s42, s52, 6
	v_mov_b32_e32 v146, 0
	v_mov_b32_e32 v147, 0xfeffffff
	v_lshlrev_b64 v[84:85], 1, v[18:19]
	v_lshlrev_b64 v[86:87], 1, v[20:21]
	;; [unrolled: 1-line block ×16, first 2 shown]
	v_mov_b32_e32 v143, 0
	v_mov_b32_e32 v142, 0
	;; [unrolled: 1-line block ×15, first 2 shown]
	v_readlane_b32 s49, v253, 51
	v_readlane_b32 s50, v253, 52
	;; [unrolled: 1-line block ×3, first 2 shown]
	s_andn2_b64 vcc, exec, s[8:9]
	s_ashr_i32 s43, s42, 31
	s_cbranch_vccnz .LBB25_96
.LBB25_87:                              ;   in Loop: Header=BB25_13 Depth=1
                                        ; implicit-def: $sgpr47
	s_mov_b64 s[44:45], exec
	v_readlane_b32 s48, v254, 6
	v_readlane_b32 s49, v254, 7
	s_and_b64 s[48:49], s[44:45], s[48:49]
	s_xor_b64 s[44:45], s[48:49], s[44:45]
	s_mov_b64 exec, s[48:49]
	s_cbranch_execz .LBB25_89
; %bb.88:                               ;   in Loop: Header=BB25_13 Depth=1
	ds_write_b16 v151, v227 offset:17408
	ds_write_b16 v228, v227 offset:17408
	;; [unrolled: 1-line block ×4, first 2 shown]
	s_mov_b32 s47, 0
.LBB25_89:                              ;   in Loop: Header=BB25_13 Depth=1
	s_or_saveexec_b64 s[44:45], s[44:45]
	s_lshl_b64 s[48:49], s[42:43], 1
	v_mov_b32_e32 v19, s49
	v_add_co_u32_e32 v18, vcc, s48, v60
	v_addc_co_u32_e32 v19, vcc, v61, v19, vcc
	v_mov_b32_e32 v20, s47
	v_mov_b32_e32 v21, s47
	;; [unrolled: 1-line block ×4, first 2 shown]
	s_xor_b64 exec, exec, s[44:45]
	s_cbranch_execz .LBB25_91
; %bb.90:                               ;   in Loop: Header=BB25_13 Depth=1
	v_add_co_u32_e32 v20, vcc, v18, v84
	v_addc_co_u32_e32 v21, vcc, v19, v85, vcc
	flat_load_ushort v22, v[20:21]
	v_add_co_u32_e32 v20, vcc, v18, v86
	v_addc_co_u32_e32 v21, vcc, v19, v87, vcc
	flat_load_ushort v23, v[20:21]
	;; [unrolled: 3-line block ×4, first 2 shown]
	s_waitcnt vmcnt(0) lgkmcnt(0)
	ds_write_b16 v151, v22 offset:17408
	ds_write_b16 v228, v23 offset:17408
	;; [unrolled: 1-line block ×4, first 2 shown]
	v_add_co_u32_e32 v20, vcc, v18, v92
	v_addc_co_u32_e32 v21, vcc, v19, v93, vcc
	v_add_co_u32_e32 v22, vcc, v18, v94
	v_addc_co_u32_e32 v23, vcc, v19, v95, vcc
	flat_load_ushort v20, v[20:21]
	s_nop 0
	flat_load_ushort v21, v[22:23]
	v_add_co_u32_e32 v22, vcc, v18, v96
	v_addc_co_u32_e32 v23, vcc, v19, v97, vcc
	v_add_co_u32_e32 v24, vcc, v18, v98
	v_addc_co_u32_e32 v25, vcc, v19, v99, vcc
	flat_load_ushort v22, v[22:23]
	s_nop 0
	flat_load_ushort v23, v[24:25]
.LBB25_91:                              ;   in Loop: Header=BB25_13 Depth=1
	s_or_b64 exec, exec, s[44:45]
	s_waitcnt vmcnt(0) lgkmcnt(0)
	ds_write_b16 v231, v20 offset:17408
	ds_write_b16 v232, v21 offset:17408
	;; [unrolled: 1-line block ×4, first 2 shown]
                                        ; implicit-def: $sgpr43
	s_mov_b64 s[44:45], exec
	v_readlane_b32 s48, v254, 6
	v_readlane_b32 s49, v254, 7
	s_and_b64 s[48:49], s[44:45], s[48:49]
	s_xor_b64 s[44:45], s[48:49], s[44:45]
	s_mov_b64 exec, s[48:49]
	s_cbranch_execz .LBB25_93
; %bb.92:                               ;   in Loop: Header=BB25_13 Depth=1
	ds_write_b16 v235, v227 offset:17408
	ds_write_b16 v236, v227 offset:17408
	ds_write_b16 v237, v227 offset:17408
	ds_write_b16 v238, v227 offset:17408
	s_mov_b32 s43, 0
                                        ; implicit-def: $vgpr18
                                        ; implicit-def: $vgpr19
.LBB25_93:                              ;   in Loop: Header=BB25_13 Depth=1
	s_or_saveexec_b64 s[44:45], s[44:45]
	v_mov_b32_e32 v20, s43
	v_mov_b32_e32 v21, s43
	;; [unrolled: 1-line block ×4, first 2 shown]
	s_xor_b64 exec, exec, s[44:45]
	s_cbranch_execz .LBB25_95
; %bb.94:                               ;   in Loop: Header=BB25_13 Depth=1
	v_add_co_u32_e32 v20, vcc, v18, v100
	v_addc_co_u32_e32 v21, vcc, v19, v101, vcc
	flat_load_ushort v22, v[20:21]
	v_add_co_u32_e32 v20, vcc, v18, v102
	v_addc_co_u32_e32 v21, vcc, v19, v103, vcc
	flat_load_ushort v23, v[20:21]
	;; [unrolled: 3-line block ×4, first 2 shown]
	s_waitcnt vmcnt(0) lgkmcnt(0)
	ds_write_b16 v235, v22 offset:17408
	ds_write_b16 v236, v23 offset:17408
	;; [unrolled: 1-line block ×4, first 2 shown]
	v_add_co_u32_e32 v20, vcc, v18, v108
	v_addc_co_u32_e32 v21, vcc, v19, v109, vcc
	v_add_co_u32_e32 v22, vcc, v18, v110
	v_addc_co_u32_e32 v23, vcc, v19, v111, vcc
	flat_load_ushort v20, v[20:21]
	s_nop 0
	flat_load_ushort v21, v[22:23]
	v_add_co_u32_e32 v22, vcc, v18, v112
	v_addc_co_u32_e32 v23, vcc, v19, v113, vcc
	v_add_co_u32_e32 v18, vcc, v18, v114
	v_addc_co_u32_e32 v19, vcc, v19, v115, vcc
	flat_load_ushort v22, v[22:23]
	s_nop 0
	flat_load_ushort v23, v[18:19]
.LBB25_95:                              ;   in Loop: Header=BB25_13 Depth=1
	s_or_b64 exec, exec, s[44:45]
	s_waitcnt vmcnt(0) lgkmcnt(0)
	ds_write_b16 v239, v20 offset:17408
	ds_write_b16 v240, v21 offset:17408
	;; [unrolled: 1-line block ×4, first 2 shown]
.LBB25_96:                              ;   Parent Loop BB25_13 Depth=1
                                        ; =>  This Inner Loop Header: Depth=2
	s_mul_hi_i32 s45, s42, s96
	s_mul_i32 s44, s42, s96
	s_lshl_b64 s[44:45], s[44:45], 2
	s_add_u32 s43, s57, s44
	s_addc_u32 s44, s76, s45
	v_add_co_u32_e32 v18, vcc, s43, v70
	v_mov_b32_e32 v19, s44
	v_addc_co_u32_e32 v19, vcc, v19, v71, vcc
	v_lshlrev_b32_e32 v145, 2, v58
	v_add_co_u32_e32 v18, vcc, v18, v145
	s_mov_b64 s[48:49], src_private_base
	s_mov_b32 s45, 0
	v_addc_co_u32_e32 v19, vcc, 0, v19, vcc
	v_mov_b32_e32 v22, s49
	v_mov_b32_e32 v23, s45
	buffer_store_dword v227, off, s[0:3], 0
	buffer_store_dword v227, off, s[0:3], 0 offset:4
	buffer_store_dword v227, off, s[0:3], 0 offset:8
	;; [unrolled: 1-line block ×3, first 2 shown]
	v_cndmask_b32_e64 v19, v22, v19, s[58:59]
	v_cndmask_b32_e64 v18, v23, v18, s[58:59]
	flat_load_dwordx4 v[18:21], v[18:19]
	v_add_u32_e32 v30, 0x1000, v154
	v_add_u32_e32 v34, 0x2000, v154
	;; [unrolled: 1-line block ×3, first 2 shown]
	s_waitcnt vmcnt(0) lgkmcnt(0)
	ds_write_b128 v153, v[18:21]
	v_add_co_u32_e32 v18, vcc, s43, v72
	v_mov_b32_e32 v19, s44
	v_addc_co_u32_e32 v19, vcc, v19, v73, vcc
	v_add_co_u32_e32 v18, vcc, v18, v145
	v_addc_co_u32_e32 v19, vcc, 0, v19, vcc
	v_cndmask_b32_e64 v19, v22, v19, s[10:11]
	v_cndmask_b32_e64 v18, v23, v18, s[10:11]
	flat_load_dwordx4 v[18:21], v[18:19]
	s_waitcnt vmcnt(0) lgkmcnt(0)
	ds_write_b128 v244, v[18:21]
	v_add_co_u32_e32 v18, vcc, s43, v74
	v_mov_b32_e32 v19, s44
	v_addc_co_u32_e32 v19, vcc, v19, v75, vcc
	v_add_co_u32_e32 v18, vcc, v18, v145
	v_addc_co_u32_e32 v19, vcc, 0, v19, vcc
	v_cndmask_b32_e64 v19, v22, v19, s[12:13]
	v_cndmask_b32_e64 v18, v23, v18, s[12:13]
	flat_load_dwordx4 v[18:21], v[18:19]
	;; [unrolled: 10-line block ×3, first 2 shown]
	s_waitcnt vmcnt(0) lgkmcnt(0)
	ds_write_b128 v248, v[18:21]
	s_waitcnt lgkmcnt(0)
	s_barrier
	ds_read2_b64 v[18:21], v154 offset1:4
	s_waitcnt lgkmcnt(0)
	v_mfma_f32_16x16x16f16 v[22:25], v[18:19], v[14:15], 0
	v_mfma_f32_16x16x16f16 v[18:21], v[20:21], v[16:17], v[22:25]
	s_nop 7
	s_nop 1
	ds_read2_b64 v[22:25], v154 offset0:8 offset1:12
	s_waitcnt lgkmcnt(0)
	v_mfma_f32_16x16x16f16 v[18:21], v[22:23], v[10:11], v[18:21]
	v_mfma_f32_16x16x16f16 v[18:21], v[24:25], v[12:13], v[18:21]
	ds_read2_b64 v[22:25], v154 offset0:16 offset1:20
	s_waitcnt lgkmcnt(0)
	v_mfma_f32_16x16x16f16 v[18:21], v[22:23], v[6:7], v[18:21]
	v_mfma_f32_16x16x16f16 v[18:21], v[24:25], v[8:9], v[18:21]
	;; [unrolled: 4-line block ×3, first 2 shown]
	ds_read2_b64 v[22:25], v30 offset0:32 offset1:36
	s_waitcnt lgkmcnt(0)
	v_mfma_f32_16x16x16f16 v[26:29], v[22:23], v[14:15], 0
	s_nop 7
	v_cmp_nlt_f32_e64 s[44:45], |v18|, s71
	v_mfma_f32_16x16x16f16 v[22:25], v[24:25], v[16:17], v[26:29]
	s_nop 6
	ds_read2_b64 v[26:29], v30 offset0:40 offset1:44
	s_waitcnt lgkmcnt(0)
	v_mfma_f32_16x16x16f16 v[22:25], v[26:27], v[10:11], v[22:25]
	v_mfma_f32_16x16x16f16 v[22:25], v[28:29], v[12:13], v[22:25]
	ds_read2_b64 v[26:29], v30 offset0:48 offset1:52
	s_waitcnt lgkmcnt(0)
	v_mfma_f32_16x16x16f16 v[22:25], v[26:27], v[6:7], v[22:25]
	v_mfma_f32_16x16x16f16 v[22:25], v[28:29], v[8:9], v[22:25]
	;; [unrolled: 4-line block ×4, first 2 shown]
	s_nop 7
	s_nop 1
	ds_read2_b64 v[30:33], v34 offset0:72 offset1:76
	s_waitcnt lgkmcnt(0)
	v_mfma_f32_16x16x16f16 v[26:29], v[30:31], v[10:11], v[26:29]
	v_mfma_f32_16x16x16f16 v[26:29], v[32:33], v[12:13], v[26:29]
	ds_read2_b64 v[30:33], v34 offset0:80 offset1:84
	s_waitcnt lgkmcnt(0)
	v_mfma_f32_16x16x16f16 v[26:29], v[30:31], v[6:7], v[26:29]
	v_mfma_f32_16x16x16f16 v[26:29], v[32:33], v[8:9], v[26:29]
	;; [unrolled: 4-line block ×4, first 2 shown]
	s_nop 7
	s_nop 1
	ds_read2_b64 v[34:37], v38 offset0:104 offset1:108
	s_waitcnt lgkmcnt(0)
	v_mfma_f32_16x16x16f16 v[30:33], v[34:35], v[10:11], v[30:33]
	v_mfma_f32_16x16x16f16 v[30:33], v[36:37], v[12:13], v[30:33]
	ds_read2_b64 v[34:37], v38 offset0:112 offset1:116
	s_waitcnt lgkmcnt(0)
	v_mfma_f32_16x16x16f16 v[30:33], v[34:35], v[6:7], v[30:33]
	v_mfma_f32_16x16x16f16 v[30:33], v[36:37], v[8:9], v[30:33]
	ds_read2_b64 v[34:37], v38 offset0:120 offset1:124
	s_waitcnt lgkmcnt(0)
	s_barrier
	v_mfma_f32_16x16x16f16 v[30:33], v[34:35], v[2:3], v[30:33]
	v_mfma_f32_16x16x16f16 v[30:33], v[36:37], v[4:5], v[30:33]
                                        ; implicit-def: $vgpr37
	s_and_saveexec_b64 s[48:49], s[44:45]
	s_xor_b64 s[44:45], exec, s[48:49]
	s_cbranch_execz .LBB25_98
; %bb.97:                               ;   in Loop: Header=BB25_96 Depth=2
	v_add_f32_e64 v34, |v18|, |v18|
	v_mul_f32_e32 v35, 0x3fb8aa3b, v34
	v_rndne_f32_e32 v36, v35
	v_sub_f32_e32 v37, v35, v36
	v_fma_f32 v35, v34, s75, -v35
	v_fmac_f32_e32 v35, 0x32a5705f, v34
	v_add_f32_e32 v35, v37, v35
	v_cvt_i32_f32_e32 v36, v36
	v_exp_f32_e32 v35, v35
	v_cmp_ngt_f32_e32 vcc, s74, v34
	v_ldexp_f32 v35, v35, v36
	v_cndmask_b32_e32 v35, 0, v35, vcc
	v_cmp_nlt_f32_e32 vcc, s65, v34
	v_cndmask_b32_e32 v34, v212, v35, vcc
	v_add_f32_e32 v34, 1.0, v34
	v_rcp_f32_e32 v34, v34
	v_fma_f32 v37, v34, -2.0, 1.0
.LBB25_98:                              ;   in Loop: Header=BB25_96 Depth=2
	s_andn2_saveexec_b64 s[44:45], s[44:45]
; %bb.99:                               ;   in Loop: Header=BB25_96 Depth=2
	v_mul_f32_e32 v34, v18, v18
	v_mov_b32_e32 v35, 0x3ca908c9
	v_fmac_f32_e32 v35, 0xbbbac73d, v34
	v_fma_f32 v35, v34, v35, v209
	v_fma_f32 v35, v34, v35, v210
	;; [unrolled: 1-line block ×3, first 2 shown]
	v_mul_f32_e64 v35, |v18|, v35
	v_fma_f32 v37, v34, v35, |v18|
; %bb.100:                              ;   in Loop: Header=BB25_96 Depth=2
	s_or_b64 exec, exec, s[44:45]
	v_cmp_nlt_f32_e64 s[44:45], |v19|, s71
                                        ; implicit-def: $vgpr38
	s_and_saveexec_b64 s[48:49], s[44:45]
	s_xor_b64 s[44:45], exec, s[48:49]
	s_cbranch_execz .LBB25_102
; %bb.101:                              ;   in Loop: Header=BB25_96 Depth=2
	v_add_f32_e64 v34, |v19|, |v19|
	v_mul_f32_e32 v35, 0x3fb8aa3b, v34
	v_rndne_f32_e32 v36, v35
	v_sub_f32_e32 v38, v35, v36
	v_fma_f32 v35, v34, s75, -v35
	v_fmac_f32_e32 v35, 0x32a5705f, v34
	v_add_f32_e32 v35, v38, v35
	v_cvt_i32_f32_e32 v36, v36
	v_exp_f32_e32 v35, v35
	v_cmp_ngt_f32_e32 vcc, s74, v34
	v_ldexp_f32 v35, v35, v36
	v_cndmask_b32_e32 v35, 0, v35, vcc
	v_cmp_nlt_f32_e32 vcc, s65, v34
	v_cndmask_b32_e32 v34, v212, v35, vcc
	v_add_f32_e32 v34, 1.0, v34
	v_rcp_f32_e32 v34, v34
	v_fma_f32 v38, v34, -2.0, 1.0
.LBB25_102:                             ;   in Loop: Header=BB25_96 Depth=2
	s_andn2_saveexec_b64 s[44:45], s[44:45]
; %bb.103:                              ;   in Loop: Header=BB25_96 Depth=2
	v_mul_f32_e32 v34, v19, v19
	v_mov_b32_e32 v35, 0x3ca908c9
	v_fmac_f32_e32 v35, 0xbbbac73d, v34
	v_fma_f32 v35, v34, v35, v209
	v_fma_f32 v35, v34, v35, v210
	;; [unrolled: 1-line block ×3, first 2 shown]
	v_mul_f32_e64 v35, |v19|, v35
	v_fma_f32 v38, v34, v35, |v19|
; %bb.104:                              ;   in Loop: Header=BB25_96 Depth=2
	s_or_b64 exec, exec, s[44:45]
	v_cmp_nlt_f32_e64 s[44:45], |v20|, s71
                                        ; implicit-def: $vgpr39
	s_and_saveexec_b64 s[48:49], s[44:45]
	s_xor_b64 s[44:45], exec, s[48:49]
	s_cbranch_execz .LBB25_106
; %bb.105:                              ;   in Loop: Header=BB25_96 Depth=2
	v_add_f32_e64 v34, |v20|, |v20|
	v_mul_f32_e32 v35, 0x3fb8aa3b, v34
	v_rndne_f32_e32 v36, v35
	v_sub_f32_e32 v39, v35, v36
	v_fma_f32 v35, v34, s75, -v35
	v_fmac_f32_e32 v35, 0x32a5705f, v34
	v_add_f32_e32 v35, v39, v35
	v_cvt_i32_f32_e32 v36, v36
	v_exp_f32_e32 v35, v35
	v_cmp_ngt_f32_e32 vcc, s74, v34
	v_ldexp_f32 v35, v35, v36
	v_cndmask_b32_e32 v35, 0, v35, vcc
	v_cmp_nlt_f32_e32 vcc, s65, v34
	v_cndmask_b32_e32 v34, v212, v35, vcc
	v_add_f32_e32 v34, 1.0, v34
	v_rcp_f32_e32 v34, v34
	v_fma_f32 v39, v34, -2.0, 1.0
.LBB25_106:                             ;   in Loop: Header=BB25_96 Depth=2
	s_andn2_saveexec_b64 s[44:45], s[44:45]
; %bb.107:                              ;   in Loop: Header=BB25_96 Depth=2
	v_mul_f32_e32 v34, v20, v20
	v_mov_b32_e32 v35, 0x3ca908c9
	v_fmac_f32_e32 v35, 0xbbbac73d, v34
	v_fma_f32 v35, v34, v35, v209
	v_fma_f32 v35, v34, v35, v210
	v_fma_f32 v35, v34, v35, v211
	v_mul_f32_e64 v35, |v20|, v35
	v_fma_f32 v39, v34, v35, |v20|
; %bb.108:                              ;   in Loop: Header=BB25_96 Depth=2
	s_or_b64 exec, exec, s[44:45]
	v_cmp_nlt_f32_e64 s[44:45], |v21|, s71
                                        ; implicit-def: $vgpr40
	s_and_saveexec_b64 s[48:49], s[44:45]
	s_xor_b64 s[44:45], exec, s[48:49]
	s_cbranch_execz .LBB25_110
; %bb.109:                              ;   in Loop: Header=BB25_96 Depth=2
	v_add_f32_e64 v34, |v21|, |v21|
	v_mul_f32_e32 v35, 0x3fb8aa3b, v34
	v_rndne_f32_e32 v36, v35
	v_sub_f32_e32 v40, v35, v36
	v_fma_f32 v35, v34, s75, -v35
	v_fmac_f32_e32 v35, 0x32a5705f, v34
	v_add_f32_e32 v35, v40, v35
	v_cvt_i32_f32_e32 v36, v36
	v_exp_f32_e32 v35, v35
	v_cmp_ngt_f32_e32 vcc, s74, v34
	v_ldexp_f32 v35, v35, v36
	v_cndmask_b32_e32 v35, 0, v35, vcc
	v_cmp_nlt_f32_e32 vcc, s65, v34
	v_cndmask_b32_e32 v34, v212, v35, vcc
	v_add_f32_e32 v34, 1.0, v34
	v_rcp_f32_e32 v34, v34
	v_fma_f32 v40, v34, -2.0, 1.0
.LBB25_110:                             ;   in Loop: Header=BB25_96 Depth=2
	s_andn2_saveexec_b64 s[44:45], s[44:45]
; %bb.111:                              ;   in Loop: Header=BB25_96 Depth=2
	v_mul_f32_e32 v34, v21, v21
	v_mov_b32_e32 v35, 0x3ca908c9
	v_fmac_f32_e32 v35, 0xbbbac73d, v34
	v_fma_f32 v35, v34, v35, v209
	v_fma_f32 v35, v34, v35, v210
	;; [unrolled: 1-line block ×3, first 2 shown]
	v_mul_f32_e64 v35, |v21|, v35
	v_fma_f32 v40, v34, v35, |v21|
; %bb.112:                              ;   in Loop: Header=BB25_96 Depth=2
	s_or_b64 exec, exec, s[44:45]
	v_cmp_nlt_f32_e64 s[44:45], |v22|, s71
                                        ; implicit-def: $vgpr41
	s_and_saveexec_b64 s[48:49], s[44:45]
	s_xor_b64 s[44:45], exec, s[48:49]
	s_cbranch_execz .LBB25_114
; %bb.113:                              ;   in Loop: Header=BB25_96 Depth=2
	v_add_f32_e64 v34, |v22|, |v22|
	v_mul_f32_e32 v35, 0x3fb8aa3b, v34
	v_rndne_f32_e32 v36, v35
	v_sub_f32_e32 v41, v35, v36
	v_fma_f32 v35, v34, s75, -v35
	v_fmac_f32_e32 v35, 0x32a5705f, v34
	v_add_f32_e32 v35, v41, v35
	v_cvt_i32_f32_e32 v36, v36
	v_exp_f32_e32 v35, v35
	v_cmp_ngt_f32_e32 vcc, s74, v34
	v_ldexp_f32 v35, v35, v36
	v_cndmask_b32_e32 v35, 0, v35, vcc
	v_cmp_nlt_f32_e32 vcc, s65, v34
	v_cndmask_b32_e32 v34, v212, v35, vcc
	v_add_f32_e32 v34, 1.0, v34
	v_rcp_f32_e32 v34, v34
	v_fma_f32 v41, v34, -2.0, 1.0
.LBB25_114:                             ;   in Loop: Header=BB25_96 Depth=2
	s_andn2_saveexec_b64 s[44:45], s[44:45]
; %bb.115:                              ;   in Loop: Header=BB25_96 Depth=2
	v_mul_f32_e32 v34, v22, v22
	v_mov_b32_e32 v35, 0x3ca908c9
	v_fmac_f32_e32 v35, 0xbbbac73d, v34
	v_fma_f32 v35, v34, v35, v209
	v_fma_f32 v35, v34, v35, v210
	;; [unrolled: 1-line block ×3, first 2 shown]
	v_mul_f32_e64 v35, |v22|, v35
	v_fma_f32 v41, v34, v35, |v22|
; %bb.116:                              ;   in Loop: Header=BB25_96 Depth=2
	s_or_b64 exec, exec, s[44:45]
	v_cmp_nlt_f32_e64 s[44:45], |v23|, s71
                                        ; implicit-def: $vgpr47
	s_and_saveexec_b64 s[48:49], s[44:45]
	s_xor_b64 s[44:45], exec, s[48:49]
	s_cbranch_execz .LBB25_118
; %bb.117:                              ;   in Loop: Header=BB25_96 Depth=2
	v_add_f32_e64 v34, |v23|, |v23|
	v_mul_f32_e32 v35, 0x3fb8aa3b, v34
	v_rndne_f32_e32 v36, v35
	v_sub_f32_e32 v42, v35, v36
	v_fma_f32 v35, v34, s75, -v35
	v_fmac_f32_e32 v35, 0x32a5705f, v34
	v_add_f32_e32 v35, v42, v35
	v_cvt_i32_f32_e32 v36, v36
	v_exp_f32_e32 v35, v35
	v_cmp_ngt_f32_e32 vcc, s74, v34
	v_ldexp_f32 v35, v35, v36
	v_cndmask_b32_e32 v35, 0, v35, vcc
	v_cmp_nlt_f32_e32 vcc, s65, v34
	v_cndmask_b32_e32 v34, v212, v35, vcc
	v_add_f32_e32 v34, 1.0, v34
	v_rcp_f32_e32 v34, v34
	v_fma_f32 v47, v34, -2.0, 1.0
.LBB25_118:                             ;   in Loop: Header=BB25_96 Depth=2
	s_andn2_saveexec_b64 s[44:45], s[44:45]
; %bb.119:                              ;   in Loop: Header=BB25_96 Depth=2
	v_mul_f32_e32 v34, v23, v23
	v_mov_b32_e32 v35, 0x3ca908c9
	v_fmac_f32_e32 v35, 0xbbbac73d, v34
	v_fma_f32 v35, v34, v35, v209
	v_fma_f32 v35, v34, v35, v210
	v_fma_f32 v35, v34, v35, v211
	v_mul_f32_e64 v35, |v23|, v35
	v_fma_f32 v47, v34, v35, |v23|
; %bb.120:                              ;   in Loop: Header=BB25_96 Depth=2
	s_or_b64 exec, exec, s[44:45]
	v_cmp_nlt_f32_e64 s[44:45], |v24|, s71
                                        ; implicit-def: $vgpr48
	s_and_saveexec_b64 s[48:49], s[44:45]
	s_xor_b64 s[44:45], exec, s[48:49]
	s_cbranch_execz .LBB25_122
; %bb.121:                              ;   in Loop: Header=BB25_96 Depth=2
	v_add_f32_e64 v34, |v24|, |v24|
	v_mul_f32_e32 v35, 0x3fb8aa3b, v34
	v_rndne_f32_e32 v36, v35
	v_sub_f32_e32 v42, v35, v36
	v_fma_f32 v35, v34, s75, -v35
	v_fmac_f32_e32 v35, 0x32a5705f, v34
	v_add_f32_e32 v35, v42, v35
	v_cvt_i32_f32_e32 v36, v36
	v_exp_f32_e32 v35, v35
	v_cmp_ngt_f32_e32 vcc, s74, v34
	v_ldexp_f32 v35, v35, v36
	v_cndmask_b32_e32 v35, 0, v35, vcc
	v_cmp_nlt_f32_e32 vcc, s65, v34
	v_cndmask_b32_e32 v34, v212, v35, vcc
	v_add_f32_e32 v34, 1.0, v34
	v_rcp_f32_e32 v34, v34
	v_fma_f32 v48, v34, -2.0, 1.0
.LBB25_122:                             ;   in Loop: Header=BB25_96 Depth=2
	s_andn2_saveexec_b64 s[44:45], s[44:45]
; %bb.123:                              ;   in Loop: Header=BB25_96 Depth=2
	v_mul_f32_e32 v34, v24, v24
	v_mov_b32_e32 v35, 0x3ca908c9
	v_fmac_f32_e32 v35, 0xbbbac73d, v34
	v_fma_f32 v35, v34, v35, v209
	v_fma_f32 v35, v34, v35, v210
	;; [unrolled: 1-line block ×3, first 2 shown]
	v_mul_f32_e64 v35, |v24|, v35
	v_fma_f32 v48, v34, v35, |v24|
; %bb.124:                              ;   in Loop: Header=BB25_96 Depth=2
	s_or_b64 exec, exec, s[44:45]
	v_cmp_nlt_f32_e64 s[44:45], |v25|, s71
                                        ; implicit-def: $vgpr49
	s_and_saveexec_b64 s[48:49], s[44:45]
	s_xor_b64 s[44:45], exec, s[48:49]
	s_cbranch_execz .LBB25_126
; %bb.125:                              ;   in Loop: Header=BB25_96 Depth=2
	v_add_f32_e64 v34, |v25|, |v25|
	v_mul_f32_e32 v35, 0x3fb8aa3b, v34
	v_rndne_f32_e32 v36, v35
	v_sub_f32_e32 v42, v35, v36
	v_fma_f32 v35, v34, s75, -v35
	v_fmac_f32_e32 v35, 0x32a5705f, v34
	v_add_f32_e32 v35, v42, v35
	v_cvt_i32_f32_e32 v36, v36
	v_exp_f32_e32 v35, v35
	v_cmp_ngt_f32_e32 vcc, s74, v34
	v_ldexp_f32 v35, v35, v36
	v_cndmask_b32_e32 v35, 0, v35, vcc
	v_cmp_nlt_f32_e32 vcc, s65, v34
	v_cndmask_b32_e32 v34, v212, v35, vcc
	v_add_f32_e32 v34, 1.0, v34
	v_rcp_f32_e32 v34, v34
	v_fma_f32 v49, v34, -2.0, 1.0
.LBB25_126:                             ;   in Loop: Header=BB25_96 Depth=2
	s_andn2_saveexec_b64 s[44:45], s[44:45]
; %bb.127:                              ;   in Loop: Header=BB25_96 Depth=2
	v_mul_f32_e32 v34, v25, v25
	v_mov_b32_e32 v35, 0x3ca908c9
	v_fmac_f32_e32 v35, 0xbbbac73d, v34
	v_fma_f32 v35, v34, v35, v209
	v_fma_f32 v35, v34, v35, v210
	;; [unrolled: 1-line block ×3, first 2 shown]
	v_mul_f32_e64 v35, |v25|, v35
	v_fma_f32 v49, v34, v35, |v25|
; %bb.128:                              ;   in Loop: Header=BB25_96 Depth=2
	s_or_b64 exec, exec, s[44:45]
	v_cmp_nlt_f32_e64 s[44:45], |v26|, s71
                                        ; implicit-def: $vgpr42
	s_and_saveexec_b64 s[48:49], s[44:45]
	s_xor_b64 s[44:45], exec, s[48:49]
	s_cbranch_execz .LBB25_130
; %bb.129:                              ;   in Loop: Header=BB25_96 Depth=2
	v_add_f32_e64 v34, |v26|, |v26|
	v_mul_f32_e32 v35, 0x3fb8aa3b, v34
	v_rndne_f32_e32 v36, v35
	v_sub_f32_e32 v42, v35, v36
	v_fma_f32 v35, v34, s75, -v35
	v_fmac_f32_e32 v35, 0x32a5705f, v34
	v_add_f32_e32 v35, v42, v35
	v_cvt_i32_f32_e32 v36, v36
	v_exp_f32_e32 v35, v35
	v_cmp_ngt_f32_e32 vcc, s74, v34
	v_ldexp_f32 v35, v35, v36
	v_cndmask_b32_e32 v35, 0, v35, vcc
	v_cmp_nlt_f32_e32 vcc, s65, v34
	v_cndmask_b32_e32 v34, v212, v35, vcc
	v_add_f32_e32 v34, 1.0, v34
	v_rcp_f32_e32 v34, v34
	v_fma_f32 v42, v34, -2.0, 1.0
.LBB25_130:                             ;   in Loop: Header=BB25_96 Depth=2
	s_andn2_saveexec_b64 s[44:45], s[44:45]
; %bb.131:                              ;   in Loop: Header=BB25_96 Depth=2
	v_mul_f32_e32 v34, v26, v26
	v_mov_b32_e32 v35, 0x3ca908c9
	v_fmac_f32_e32 v35, 0xbbbac73d, v34
	v_fma_f32 v35, v34, v35, v209
	v_fma_f32 v35, v34, v35, v210
	;; [unrolled: 1-line block ×3, first 2 shown]
	v_mul_f32_e64 v35, |v26|, v35
	v_fma_f32 v42, v34, v35, |v26|
; %bb.132:                              ;   in Loop: Header=BB25_96 Depth=2
	s_or_b64 exec, exec, s[44:45]
	v_cmp_nlt_f32_e64 s[44:45], |v27|, s71
                                        ; implicit-def: $vgpr43
	s_and_saveexec_b64 s[48:49], s[44:45]
	s_xor_b64 s[44:45], exec, s[48:49]
	s_cbranch_execz .LBB25_134
; %bb.133:                              ;   in Loop: Header=BB25_96 Depth=2
	v_add_f32_e64 v34, |v27|, |v27|
	v_mul_f32_e32 v35, 0x3fb8aa3b, v34
	v_rndne_f32_e32 v36, v35
	v_sub_f32_e32 v43, v35, v36
	v_fma_f32 v35, v34, s75, -v35
	v_fmac_f32_e32 v35, 0x32a5705f, v34
	v_add_f32_e32 v35, v43, v35
	v_cvt_i32_f32_e32 v36, v36
	v_exp_f32_e32 v35, v35
	v_cmp_ngt_f32_e32 vcc, s74, v34
	v_ldexp_f32 v35, v35, v36
	v_cndmask_b32_e32 v35, 0, v35, vcc
	v_cmp_nlt_f32_e32 vcc, s65, v34
	v_cndmask_b32_e32 v34, v212, v35, vcc
	v_add_f32_e32 v34, 1.0, v34
	v_rcp_f32_e32 v34, v34
	v_fma_f32 v43, v34, -2.0, 1.0
.LBB25_134:                             ;   in Loop: Header=BB25_96 Depth=2
	s_andn2_saveexec_b64 s[44:45], s[44:45]
; %bb.135:                              ;   in Loop: Header=BB25_96 Depth=2
	v_mul_f32_e32 v34, v27, v27
	v_mov_b32_e32 v35, 0x3ca908c9
	v_fmac_f32_e32 v35, 0xbbbac73d, v34
	v_fma_f32 v35, v34, v35, v209
	v_fma_f32 v35, v34, v35, v210
	;; [unrolled: 1-line block ×3, first 2 shown]
	v_mul_f32_e64 v35, |v27|, v35
	v_fma_f32 v43, v34, v35, |v27|
; %bb.136:                              ;   in Loop: Header=BB25_96 Depth=2
	s_or_b64 exec, exec, s[44:45]
	v_cmp_nlt_f32_e64 s[44:45], |v28|, s71
                                        ; implicit-def: $vgpr44
	s_and_saveexec_b64 s[48:49], s[44:45]
	s_xor_b64 s[44:45], exec, s[48:49]
	s_cbranch_execz .LBB25_138
; %bb.137:                              ;   in Loop: Header=BB25_96 Depth=2
	v_add_f32_e64 v34, |v28|, |v28|
	v_mul_f32_e32 v35, 0x3fb8aa3b, v34
	v_rndne_f32_e32 v36, v35
	v_sub_f32_e32 v44, v35, v36
	v_fma_f32 v35, v34, s75, -v35
	v_fmac_f32_e32 v35, 0x32a5705f, v34
	v_add_f32_e32 v35, v44, v35
	v_cvt_i32_f32_e32 v36, v36
	v_exp_f32_e32 v35, v35
	v_cmp_ngt_f32_e32 vcc, s74, v34
	v_ldexp_f32 v35, v35, v36
	v_cndmask_b32_e32 v35, 0, v35, vcc
	v_cmp_nlt_f32_e32 vcc, s65, v34
	v_cndmask_b32_e32 v34, v212, v35, vcc
	v_add_f32_e32 v34, 1.0, v34
	v_rcp_f32_e32 v34, v34
	v_fma_f32 v44, v34, -2.0, 1.0
.LBB25_138:                             ;   in Loop: Header=BB25_96 Depth=2
	s_andn2_saveexec_b64 s[44:45], s[44:45]
; %bb.139:                              ;   in Loop: Header=BB25_96 Depth=2
	v_mul_f32_e32 v34, v28, v28
	v_mov_b32_e32 v35, 0x3ca908c9
	v_fmac_f32_e32 v35, 0xbbbac73d, v34
	v_fma_f32 v35, v34, v35, v209
	v_fma_f32 v35, v34, v35, v210
	;; [unrolled: 1-line block ×3, first 2 shown]
	v_mul_f32_e64 v35, |v28|, v35
	v_fma_f32 v44, v34, v35, |v28|
; %bb.140:                              ;   in Loop: Header=BB25_96 Depth=2
	s_or_b64 exec, exec, s[44:45]
	v_cmp_nlt_f32_e64 s[44:45], |v29|, s71
                                        ; implicit-def: $vgpr45
	s_and_saveexec_b64 s[48:49], s[44:45]
	s_xor_b64 s[44:45], exec, s[48:49]
	s_cbranch_execz .LBB25_142
; %bb.141:                              ;   in Loop: Header=BB25_96 Depth=2
	v_add_f32_e64 v34, |v29|, |v29|
	v_mul_f32_e32 v35, 0x3fb8aa3b, v34
	v_rndne_f32_e32 v36, v35
	v_sub_f32_e32 v45, v35, v36
	v_fma_f32 v35, v34, s75, -v35
	v_fmac_f32_e32 v35, 0x32a5705f, v34
	v_add_f32_e32 v35, v45, v35
	v_cvt_i32_f32_e32 v36, v36
	v_exp_f32_e32 v35, v35
	v_cmp_ngt_f32_e32 vcc, s74, v34
	v_ldexp_f32 v35, v35, v36
	v_cndmask_b32_e32 v35, 0, v35, vcc
	v_cmp_nlt_f32_e32 vcc, s65, v34
	v_cndmask_b32_e32 v34, v212, v35, vcc
	v_add_f32_e32 v34, 1.0, v34
	v_rcp_f32_e32 v34, v34
	v_fma_f32 v45, v34, -2.0, 1.0
.LBB25_142:                             ;   in Loop: Header=BB25_96 Depth=2
	s_andn2_saveexec_b64 s[44:45], s[44:45]
; %bb.143:                              ;   in Loop: Header=BB25_96 Depth=2
	v_mul_f32_e32 v34, v29, v29
	v_mov_b32_e32 v35, 0x3ca908c9
	v_fmac_f32_e32 v35, 0xbbbac73d, v34
	v_fma_f32 v35, v34, v35, v209
	v_fma_f32 v35, v34, v35, v210
	v_fma_f32 v35, v34, v35, v211
	v_mul_f32_e64 v35, |v29|, v35
	v_fma_f32 v45, v34, v35, |v29|
; %bb.144:                              ;   in Loop: Header=BB25_96 Depth=2
	s_or_b64 exec, exec, s[44:45]
	v_cmp_nlt_f32_e64 s[44:45], |v30|, s71
                                        ; implicit-def: $vgpr34
	s_and_saveexec_b64 s[48:49], s[44:45]
	s_xor_b64 s[44:45], exec, s[48:49]
	s_cbranch_execz .LBB25_146
; %bb.145:                              ;   in Loop: Header=BB25_96 Depth=2
	v_add_f32_e64 v34, |v30|, |v30|
	v_mul_f32_e32 v35, 0x3fb8aa3b, v34
	v_rndne_f32_e32 v36, v35
	v_sub_f32_e32 v46, v35, v36
	v_fma_f32 v35, v34, s75, -v35
	v_fmac_f32_e32 v35, 0x32a5705f, v34
	v_add_f32_e32 v35, v46, v35
	v_cvt_i32_f32_e32 v36, v36
	v_exp_f32_e32 v35, v35
	v_cmp_ngt_f32_e32 vcc, s74, v34
	v_ldexp_f32 v35, v35, v36
	v_cndmask_b32_e32 v35, 0, v35, vcc
	v_cmp_nlt_f32_e32 vcc, s65, v34
	v_cndmask_b32_e32 v34, v212, v35, vcc
	v_add_f32_e32 v34, 1.0, v34
	v_rcp_f32_e32 v34, v34
	v_fma_f32 v34, v34, -2.0, 1.0
.LBB25_146:                             ;   in Loop: Header=BB25_96 Depth=2
	s_andn2_saveexec_b64 s[44:45], s[44:45]
; %bb.147:                              ;   in Loop: Header=BB25_96 Depth=2
	v_mul_f32_e32 v34, v30, v30
	v_mov_b32_e32 v35, 0x3ca908c9
	v_fmac_f32_e32 v35, 0xbbbac73d, v34
	v_fma_f32 v35, v34, v35, v209
	v_fma_f32 v35, v34, v35, v210
	;; [unrolled: 1-line block ×3, first 2 shown]
	v_mul_f32_e64 v35, |v30|, v35
	v_fma_f32 v34, v34, v35, |v30|
; %bb.148:                              ;   in Loop: Header=BB25_96 Depth=2
	s_or_b64 exec, exec, s[44:45]
	v_cmp_nlt_f32_e64 s[44:45], |v31|, s71
                                        ; implicit-def: $vgpr35
	s_and_saveexec_b64 s[48:49], s[44:45]
	s_xor_b64 s[44:45], exec, s[48:49]
	s_cbranch_execz .LBB25_150
; %bb.149:                              ;   in Loop: Header=BB25_96 Depth=2
	v_add_f32_e64 v35, |v31|, |v31|
	v_mul_f32_e32 v36, 0x3fb8aa3b, v35
	v_rndne_f32_e32 v46, v36
	v_sub_f32_e32 v50, v36, v46
	v_fma_f32 v36, v35, s75, -v36
	v_fmac_f32_e32 v36, 0x32a5705f, v35
	v_add_f32_e32 v36, v50, v36
	v_cvt_i32_f32_e32 v46, v46
	v_exp_f32_e32 v36, v36
	v_cmp_ngt_f32_e32 vcc, s74, v35
	v_ldexp_f32 v36, v36, v46
	v_cndmask_b32_e32 v36, 0, v36, vcc
	v_cmp_nlt_f32_e32 vcc, s65, v35
	v_cndmask_b32_e32 v35, v212, v36, vcc
	v_add_f32_e32 v35, 1.0, v35
	v_rcp_f32_e32 v35, v35
	v_fma_f32 v35, v35, -2.0, 1.0
.LBB25_150:                             ;   in Loop: Header=BB25_96 Depth=2
	s_andn2_saveexec_b64 s[44:45], s[44:45]
; %bb.151:                              ;   in Loop: Header=BB25_96 Depth=2
	v_mul_f32_e32 v35, v31, v31
	v_mov_b32_e32 v36, 0x3ca908c9
	v_fmac_f32_e32 v36, 0xbbbac73d, v35
	v_fma_f32 v36, v35, v36, v209
	v_fma_f32 v36, v35, v36, v210
	;; [unrolled: 1-line block ×3, first 2 shown]
	v_mul_f32_e64 v36, |v31|, v36
	v_fma_f32 v35, v35, v36, |v31|
; %bb.152:                              ;   in Loop: Header=BB25_96 Depth=2
	s_or_b64 exec, exec, s[44:45]
	v_cmp_nlt_f32_e64 s[44:45], |v32|, s71
                                        ; implicit-def: $vgpr36
	s_and_saveexec_b64 s[48:49], s[44:45]
	s_xor_b64 s[44:45], exec, s[48:49]
	s_cbranch_execz .LBB25_154
; %bb.153:                              ;   in Loop: Header=BB25_96 Depth=2
	v_add_f32_e64 v36, |v32|, |v32|
	v_mul_f32_e32 v46, 0x3fb8aa3b, v36
	v_rndne_f32_e32 v50, v46
	v_sub_f32_e32 v51, v46, v50
	v_fma_f32 v46, v36, s75, -v46
	v_fmac_f32_e32 v46, 0x32a5705f, v36
	v_add_f32_e32 v46, v51, v46
	v_cvt_i32_f32_e32 v50, v50
	v_exp_f32_e32 v46, v46
	v_cmp_ngt_f32_e32 vcc, s74, v36
	v_ldexp_f32 v46, v46, v50
	v_cndmask_b32_e32 v46, 0, v46, vcc
	v_cmp_nlt_f32_e32 vcc, s65, v36
	v_cndmask_b32_e32 v36, v212, v46, vcc
	v_add_f32_e32 v36, 1.0, v36
	v_rcp_f32_e32 v36, v36
	v_fma_f32 v36, v36, -2.0, 1.0
.LBB25_154:                             ;   in Loop: Header=BB25_96 Depth=2
	s_andn2_saveexec_b64 s[44:45], s[44:45]
; %bb.155:                              ;   in Loop: Header=BB25_96 Depth=2
	v_mul_f32_e32 v36, v32, v32
	v_mov_b32_e32 v46, 0x3ca908c9
	v_fmac_f32_e32 v46, 0xbbbac73d, v36
	v_fma_f32 v46, v36, v46, v209
	v_fma_f32 v46, v36, v46, v210
	;; [unrolled: 1-line block ×3, first 2 shown]
	v_mul_f32_e64 v46, |v32|, v46
	v_fma_f32 v36, v36, v46, |v32|
; %bb.156:                              ;   in Loop: Header=BB25_96 Depth=2
	s_or_b64 exec, exec, s[44:45]
	v_cmp_nlt_f32_e64 s[44:45], |v33|, s71
                                        ; implicit-def: $vgpr81
	s_and_saveexec_b64 s[48:49], s[44:45]
	s_xor_b64 s[44:45], exec, s[48:49]
	s_cbranch_execz .LBB25_158
; %bb.157:                              ;   in Loop: Header=BB25_96 Depth=2
	v_add_f32_e64 v46, |v33|, |v33|
	v_mul_f32_e32 v50, 0x3fb8aa3b, v46
	v_rndne_f32_e32 v51, v50
	v_sub_f32_e32 v52, v50, v51
	v_fma_f32 v50, v46, s75, -v50
	v_fmac_f32_e32 v50, 0x32a5705f, v46
	v_add_f32_e32 v50, v52, v50
	v_cvt_i32_f32_e32 v51, v51
	v_exp_f32_e32 v50, v50
	v_cmp_ngt_f32_e32 vcc, s74, v46
	v_ldexp_f32 v50, v50, v51
	v_cndmask_b32_e32 v50, 0, v50, vcc
	v_cmp_nlt_f32_e32 vcc, s65, v46
	v_cndmask_b32_e32 v46, v212, v50, vcc
	v_add_f32_e32 v46, 1.0, v46
	v_rcp_f32_e32 v46, v46
	v_fma_f32 v81, v46, -2.0, 1.0
.LBB25_158:                             ;   in Loop: Header=BB25_96 Depth=2
	s_andn2_saveexec_b64 s[44:45], s[44:45]
; %bb.159:                              ;   in Loop: Header=BB25_96 Depth=2
	v_mul_f32_e32 v46, v33, v33
	v_mov_b32_e32 v50, 0x3ca908c9
	v_fmac_f32_e32 v50, 0xbbbac73d, v46
	v_fma_f32 v50, v46, v50, v209
	v_fma_f32 v50, v46, v50, v210
	;; [unrolled: 1-line block ×3, first 2 shown]
	v_mul_f32_e64 v50, |v33|, v50
	v_fma_f32 v81, v46, v50, |v33|
; %bb.160:                              ;   in Loop: Header=BB25_96 Depth=2
	s_or_b64 exec, exec, s[44:45]
	v_bfi_b32 v18, s70, v37, v18
	v_bfi_b32 v26, s70, v42, v26
	;; [unrolled: 1-line block ×3, first 2 shown]
	v_mul_f32_e32 v50, s73, v18
	v_bfi_b32 v18, s70, v38, v19
	v_bfi_b32 v30, s70, v34, v30
	v_mul_f32_e32 v42, s73, v26
	v_bfi_b32 v26, s70, v43, v27
	v_mul_f32_e32 v46, s73, v22
	;; [unrolled: 2-line block ×12, first 2 shown]
	v_mul_f32_e32 v45, s73, v26
	v_mul_f32_e32 v49, s73, v22
	;; [unrolled: 1-line block ×3, first 2 shown]
	s_and_b64 vcc, exec, s[8:9]
	s_cbranch_vccz .LBB25_165
; %bb.161:                              ;   in Loop: Header=BB25_96 Depth=2
	v_add_u32_e32 v18, 0x4400, v158
	v_add_u32_e32 v20, 0x4400, v160
	ds_read_b32 v22, v156 offset:17408
	ds_read_b32 v24, v179 offset:17408
	ds_read2_b32 v[18:19], v18 offset1:1
	ds_read2_b32 v[20:21], v20 offset1:1
	v_mov_b32_e32 v81, v80
	s_waitcnt lgkmcnt(2)
	v_cvt_f32_f16_sdwa v25, v24 dst_sel:DWORD dst_unused:UNUSED_PAD src0_sel:WORD_1
	s_waitcnt lgkmcnt(1)
	v_cvt_f32_f16_e32 v26, v18
	v_cvt_f32_f16_sdwa v27, v18 dst_sel:DWORD dst_unused:UNUSED_PAD src0_sel:WORD_1
	v_add_u32_e32 v18, 0x4400, v180
	v_cvt_f32_f16_e32 v28, v19
	v_cvt_f32_f16_sdwa v29, v19 dst_sel:DWORD dst_unused:UNUSED_PAD src0_sel:WORD_1
	ds_read2_b32 v[18:19], v18 offset1:1
	v_cvt_f32_f16_sdwa v23, v22 dst_sel:DWORD dst_unused:UNUSED_PAD src0_sel:WORD_1
	v_cvt_f32_f16_e32 v22, v22
	v_cvt_f32_f16_e32 v24, v24
	v_pk_fma_f32 v[30:31], v[80:81], v[28:29], v[48:49]
	s_waitcnt lgkmcnt(0)
	v_cvt_f32_f16_e32 v32, v18
	v_pk_fma_f32 v[38:39], v[82:83], v[22:23], v[50:51]
	v_cvt_f32_f16_e32 v22, v20
	v_cvt_f32_f16_sdwa v23, v20 dst_sel:DWORD dst_unused:UNUSED_PAD src0_sel:WORD_1
	v_cvt_f32_f16_e32 v20, v21
	v_cvt_f32_f16_sdwa v21, v21 dst_sel:DWORD dst_unused:UNUSED_PAD src0_sel:WORD_1
	;; [unrolled: 2-line block ×3, first 2 shown]
	v_cvt_f32_f16_sdwa v33, v18 dst_sel:DWORD dst_unused:UNUSED_PAD src0_sel:WORD_1
	v_pk_fma_f32 v[40:41], v[80:81], v[24:25], v[52:53]
	v_pk_fma_f32 v[28:29], v[82:83], v[26:27], v[46:47]
	;; [unrolled: 1-line block ×6, first 2 shown]
	s_cbranch_execnz .LBB25_163
.LBB25_162:                             ;   in Loop: Header=BB25_96 Depth=2
	v_pk_mov_b32 v[18:19], v[34:35], v[34:35] op_sel:[0,1]
	v_pk_mov_b32 v[24:25], v[42:43], v[42:43] op_sel:[0,1]
	;; [unrolled: 1-line block ×8, first 2 shown]
.LBB25_163:                             ;   in Loop: Header=BB25_96 Depth=2
	v_add_f32_e32 v22, 0x40051340, v38
	v_max_f32_e32 v23, v147, v147
	v_max_f32_e32 v22, v23, v22
	v_cndmask_b32_e64 v22, v147, v22, s[16:17]
	v_add_f32_e32 v23, 0x40051340, v39
	v_max_f32_e32 v22, v22, v22
	v_max_f32_e32 v22, v22, v23
	v_cndmask_b32_e64 v22, v147, v22, s[16:17]
	;; [unrolled: 4-line block ×16, first 2 shown]
	ds_bpermute_b32 v23, v130, v22
	v_max_f32_e32 v22, v22, v22
	v_cndmask_b32_e64 v29, v29, v29, s[18:19]
	v_cndmask_b32_e64 v30, v30, v30, s[18:19]
	;; [unrolled: 1-line block ×3, first 2 shown]
	s_waitcnt lgkmcnt(0)
	v_max_f32_e32 v23, v23, v23
	v_max_f32_e32 v22, v22, v23
	ds_bpermute_b32 v23, v131, v22
	v_cndmask_b32_e64 v25, v25, v25, s[26:27]
	v_cndmask_b32_e64 v26, v26, v26, s[26:27]
	;; [unrolled: 1-line block ×4, first 2 shown]
	s_waitcnt lgkmcnt(0)
	v_max_f32_e32 v23, v23, v23
	v_max_f32_e32 v34, v22, v23
	v_sub_f32_e32 v22, v38, v34
	v_mul_f32_e32 v23, 0x3fb8aa3b, v22
	v_fma_f32 v32, v22, s75, -v23
	v_rndne_f32_e32 v33, v23
	v_fmac_f32_e32 v32, 0x32a5705f, v22
	v_sub_f32_e32 v23, v23, v33
	v_add_f32_e32 v23, v23, v32
	v_exp_f32_e32 v23, v23
	v_cvt_i32_f32_e32 v32, v33
	v_cmp_ngt_f32_e32 vcc, s74, v22
	v_sub_f32_e32 v28, v28, v34
	v_sub_f32_e32 v24, v24, v34
	v_ldexp_f32 v23, v23, v32
	v_cndmask_b32_e32 v23, 0, v23, vcc
	v_cmp_nlt_f32_e32 vcc, s65, v22
	v_cndmask_b32_e32 v32, v212, v23, vcc
	v_sub_f32_e32 v23, v39, v34
	v_mul_f32_e32 v33, 0x3fb8aa3b, v23
	v_fma_f32 v35, v23, s75, -v33
	v_rndne_f32_e32 v36, v33
	v_fmac_f32_e32 v35, 0x32a5705f, v23
	v_sub_f32_e32 v33, v33, v36
	v_add_f32_e32 v33, v33, v35
	v_exp_f32_e32 v33, v33
	v_cvt_i32_f32_e32 v35, v36
	v_cmp_ngt_f32_e32 vcc, s74, v23
	v_cndmask_b32_e64 v36, v40, v40, s[16:17]
	v_cndmask_b32_e64 v22, 0, v32, s[16:17]
	v_ldexp_f32 v33, v33, v35
	v_cndmask_b32_e32 v33, 0, v33, vcc
	v_cmp_nlt_f32_e32 vcc, s65, v23
	v_cndmask_b32_e32 v33, v212, v33, vcc
	v_mov_b32_e32 v23, s67
	v_cndmask_b32_e64 v50, v23, v33, s[16:17]
	v_sub_f32_e32 v23, v36, v34
	v_add_f32_e32 v32, v32, v33
	v_mul_f32_e32 v33, 0x3fb8aa3b, v23
	v_fma_f32 v36, v23, s75, -v33
	v_rndne_f32_e32 v37, v33
	v_fmac_f32_e32 v36, 0x32a5705f, v23
	v_sub_f32_e32 v33, v33, v37
	v_add_f32_e32 v33, v33, v36
	v_exp_f32_e32 v33, v33
	v_cvt_i32_f32_e32 v36, v37
	v_cmp_ngt_f32_e32 vcc, s74, v23
	v_cndmask_b32_e64 v35, v41, v41, s[16:17]
	v_sub_f32_e32 v18, v18, v34
	v_ldexp_f32 v33, v33, v36
	v_cndmask_b32_e32 v33, 0, v33, vcc
	v_cmp_nlt_f32_e32 vcc, s65, v23
	v_cndmask_b32_e32 v23, v212, v33, vcc
	v_add_f32_e32 v33, v32, v23
	v_mov_b32_e32 v32, s67
	v_cndmask_b32_e64 v51, v32, v23, s[16:17]
	v_sub_f32_e32 v23, v35, v34
	v_mul_f32_e32 v32, 0x3fb8aa3b, v23
	v_fma_f32 v35, v23, s75, -v32
	v_rndne_f32_e32 v36, v32
	v_fmac_f32_e32 v35, 0x32a5705f, v23
	v_sub_f32_e32 v32, v32, v36
	v_add_f32_e32 v32, v32, v35
	v_exp_f32_e32 v32, v32
	v_cvt_i32_f32_e32 v35, v36
	v_cmp_ngt_f32_e32 vcc, s74, v23
	v_sub_f32_e32 v19, v19, v34
	v_cndmask_b32_e64 v20, v20, v20, s[4:5]
	v_ldexp_f32 v32, v32, v35
	v_cndmask_b32_e32 v32, 0, v32, vcc
	v_cmp_nlt_f32_e32 vcc, s65, v23
	v_cndmask_b32_e32 v32, v212, v32, vcc
	v_mov_b32_e32 v23, s67
	v_add_f32_e32 v33, v33, v32
	v_cndmask_b32_e64 v52, v23, v32, s[16:17]
	v_mul_f32_e32 v32, 0x3fb8aa3b, v28
	v_cndmask_b32_e64 v23, 0, v33, s[16:17]
	v_fma_f32 v33, v28, s75, -v32
	v_rndne_f32_e32 v35, v32
	v_fmac_f32_e32 v33, 0x32a5705f, v28
	v_sub_f32_e32 v32, v32, v35
	v_add_f32_e32 v32, v32, v33
	v_exp_f32_e32 v32, v32
	v_cvt_i32_f32_e32 v33, v35
	v_cmp_ngt_f32_e32 vcc, s74, v28
	v_cndmask_b32_e64 v21, v21, v21, s[4:5]
	s_mul_hi_i32 s45, s42, s94
	v_ldexp_f32 v32, v32, v33
	v_cndmask_b32_e32 v32, 0, v32, vcc
	v_cmp_nlt_f32_e32 vcc, s65, v28
	v_cndmask_b32_e32 v32, v212, v32, vcc
	v_add_f32_e32 v33, v32, v23
	v_mov_b32_e32 v28, s67
	v_cndmask_b32_e64 v53, v28, v32, s[18:19]
	v_cndmask_b32_e64 v28, v23, v33, s[18:19]
	v_sub_f32_e32 v23, v29, v34
	v_mul_f32_e32 v29, 0x3fb8aa3b, v23
	v_fma_f32 v32, v23, s75, -v29
	v_rndne_f32_e32 v33, v29
	v_fmac_f32_e32 v32, 0x32a5705f, v23
	v_sub_f32_e32 v29, v29, v33
	v_add_f32_e32 v29, v29, v32
	v_exp_f32_e32 v29, v29
	v_cvt_i32_f32_e32 v32, v33
	v_cmp_ngt_f32_e32 vcc, s74, v23
	s_mul_i32 s44, s42, s94
	s_lshl_b64 s[44:45], s[44:45], 2
	v_ldexp_f32 v29, v29, v32
	v_cndmask_b32_e32 v29, 0, v29, vcc
	v_cmp_nlt_f32_e32 vcc, s65, v23
	v_cndmask_b32_e32 v29, v212, v29, vcc
	v_add_f32_e32 v32, v29, v28
	v_mov_b32_e32 v23, s67
	v_cndmask_b32_e64 v29, v23, v29, s[20:21]
	v_cndmask_b32_e64 v23, v28, v32, s[20:21]
	v_sub_f32_e32 v28, v30, v34
	v_mul_f32_e32 v30, 0x3fb8aa3b, v28
	v_fma_f32 v32, v28, s75, -v30
	v_rndne_f32_e32 v33, v30
	v_fmac_f32_e32 v32, 0x32a5705f, v28
	v_sub_f32_e32 v30, v30, v33
	v_add_f32_e32 v30, v30, v32
	v_exp_f32_e32 v30, v30
	v_cvt_i32_f32_e32 v32, v33
	v_cmp_ngt_f32_e32 vcc, s74, v28
	s_add_u32 s43, s53, s44
	s_addc_u32 s44, s56, s45
	v_ldexp_f32 v30, v30, v32
	v_cndmask_b32_e32 v30, 0, v30, vcc
	v_cmp_nlt_f32_e32 vcc, s65, v28
	v_cndmask_b32_e32 v30, v212, v30, vcc
	v_add_f32_e32 v32, v30, v23
	v_mov_b32_e32 v28, s67
	v_cndmask_b32_e64 v28, v28, v30, s[22:23]
	v_cndmask_b32_e64 v30, v23, v32, s[22:23]
	v_sub_f32_e32 v23, v31, v34
	v_mul_f32_e32 v31, 0x3fb8aa3b, v23
	v_fma_f32 v32, v23, s75, -v31
	v_rndne_f32_e32 v33, v31
	v_fmac_f32_e32 v32, 0x32a5705f, v23
	v_sub_f32_e32 v31, v31, v33
	v_add_f32_e32 v31, v31, v32
	v_exp_f32_e32 v31, v31
	v_cvt_i32_f32_e32 v32, v33
	v_cmp_ngt_f32_e32 vcc, s74, v23
	s_mov_b64 s[48:49], src_private_base
	s_mov_b32 s45, 0
	v_ldexp_f32 v31, v31, v32
	v_cndmask_b32_e32 v31, 0, v31, vcc
	v_cmp_nlt_f32_e32 vcc, s65, v23
	v_cndmask_b32_e32 v31, v212, v31, vcc
	v_add_f32_e32 v32, v31, v30
	v_mov_b32_e32 v23, s67
	v_cndmask_b32_e64 v31, v23, v31, s[24:25]
	v_cndmask_b32_e64 v23, v30, v32, s[24:25]
	v_mul_f32_e32 v30, 0x3fb8aa3b, v24
	v_fma_f32 v32, v24, s75, -v30
	v_rndne_f32_e32 v33, v30
	v_fmac_f32_e32 v32, 0x32a5705f, v24
	v_sub_f32_e32 v30, v30, v33
	v_add_f32_e32 v30, v30, v32
	v_exp_f32_e32 v30, v30
	v_cvt_i32_f32_e32 v32, v33
	v_cmp_ngt_f32_e32 vcc, s74, v24
	buffer_store_dword v227, off, s[0:3], 0
	buffer_store_dword v227, off, s[0:3], 0 offset:4
	buffer_store_dword v227, off, s[0:3], 0 offset:8
	;; [unrolled: 1-line block ×3, first 2 shown]
	s_add_i32 s52, s52, 1
	v_ldexp_f32 v30, v30, v32
	v_cndmask_b32_e32 v30, 0, v30, vcc
	v_cmp_nlt_f32_e32 vcc, s65, v24
	v_cndmask_b32_e32 v30, v212, v30, vcc
	v_add_f32_e32 v32, v30, v23
	v_mov_b32_e32 v24, s67
	v_cndmask_b32_e64 v30, v24, v30, s[26:27]
	v_cndmask_b32_e64 v24, v23, v32, s[26:27]
	v_sub_f32_e32 v23, v25, v34
	v_mul_f32_e32 v25, 0x3fb8aa3b, v23
	v_fma_f32 v32, v23, s75, -v25
	v_rndne_f32_e32 v33, v25
	v_fmac_f32_e32 v32, 0x32a5705f, v23
	v_sub_f32_e32 v25, v25, v33
	v_add_f32_e32 v25, v25, v32
	v_exp_f32_e32 v25, v25
	v_cvt_i32_f32_e32 v32, v33
	v_cmp_ngt_f32_e32 vcc, s74, v23
	s_add_i32 s42, s42, 64
	s_cmp_lt_i32 s52, s46
	v_ldexp_f32 v25, v25, v32
	v_cndmask_b32_e32 v25, 0, v25, vcc
	v_cmp_nlt_f32_e32 vcc, s65, v23
	v_cndmask_b32_e32 v25, v212, v25, vcc
	v_add_f32_e32 v32, v25, v24
	v_mov_b32_e32 v23, s67
	v_cndmask_b32_e64 v81, v23, v25, s[28:29]
	v_cndmask_b32_e64 v23, v24, v32, s[28:29]
	v_sub_f32_e32 v24, v26, v34
	v_mul_f32_e32 v25, 0x3fb8aa3b, v24
	v_fma_f32 v26, v24, s75, -v25
	v_rndne_f32_e32 v32, v25
	v_fmac_f32_e32 v26, 0x32a5705f, v24
	v_sub_f32_e32 v25, v25, v32
	v_add_f32_e32 v25, v25, v26
	v_exp_f32_e32 v25, v25
	v_cvt_i32_f32_e32 v26, v32
	v_cmp_ngt_f32_e32 vcc, s74, v24
	v_ldexp_f32 v25, v25, v26
	v_cndmask_b32_e32 v25, 0, v25, vcc
	v_cmp_nlt_f32_e32 vcc, s65, v24
	v_cndmask_b32_e32 v25, v212, v25, vcc
	v_add_f32_e32 v26, v25, v23
	v_mov_b32_e32 v24, s67
	v_cndmask_b32_e64 v200, v24, v25, s[30:31]
	v_cndmask_b32_e64 v24, v23, v26, s[30:31]
	v_sub_f32_e32 v23, v27, v34
	v_mul_f32_e32 v25, 0x3fb8aa3b, v23
	v_fma_f32 v26, v23, s75, -v25
	v_rndne_f32_e32 v27, v25
	v_fmac_f32_e32 v26, 0x32a5705f, v23
	v_sub_f32_e32 v25, v25, v27
	v_add_f32_e32 v25, v25, v26
	v_exp_f32_e32 v25, v25
	v_cvt_i32_f32_e32 v26, v27
	v_cmp_ngt_f32_e32 vcc, s74, v23
	v_ldexp_f32 v25, v25, v26
	v_cndmask_b32_e32 v25, 0, v25, vcc
	v_cmp_nlt_f32_e32 vcc, s65, v23
	v_cndmask_b32_e32 v25, v212, v25, vcc
	v_add_f32_e32 v26, v25, v24
	v_mov_b32_e32 v23, s67
	v_cndmask_b32_e64 v27, v23, v25, s[34:35]
	v_cndmask_b32_e64 v23, v24, v26, s[34:35]
	v_mul_f32_e32 v24, 0x3fb8aa3b, v18
	v_fma_f32 v25, v18, s75, -v24
	v_rndne_f32_e32 v26, v24
	v_fmac_f32_e32 v25, 0x32a5705f, v18
	v_sub_f32_e32 v24, v24, v26
	v_add_f32_e32 v24, v24, v25
	v_exp_f32_e32 v24, v24
	v_cvt_i32_f32_e32 v25, v26
	v_cmp_ngt_f32_e32 vcc, s74, v18
	v_ldexp_f32 v24, v24, v25
	v_cndmask_b32_e32 v24, 0, v24, vcc
	v_cmp_nlt_f32_e32 vcc, s65, v18
	v_cndmask_b32_e32 v24, v212, v24, vcc
	v_add_f32_e32 v25, v24, v23
	v_mov_b32_e32 v18, s67
	v_cndmask_b32_e64 v26, v18, v24, s[4:5]
	v_cndmask_b32_e64 v18, v23, v25, s[4:5]
	;; [unrolled: 17-line block ×3, first 2 shown]
	v_sub_f32_e32 v18, v20, v34
	v_mul_f32_e32 v20, 0x3fb8aa3b, v18
	v_fma_f32 v23, v18, s75, -v20
	v_rndne_f32_e32 v24, v20
	v_fmac_f32_e32 v23, 0x32a5705f, v18
	v_sub_f32_e32 v20, v20, v24
	v_add_f32_e32 v20, v20, v23
	v_exp_f32_e32 v20, v20
	v_cvt_i32_f32_e32 v23, v24
	v_cmp_ngt_f32_e32 vcc, s74, v18
	v_ldexp_f32 v20, v20, v23
	v_cndmask_b32_e32 v20, 0, v20, vcc
	v_cmp_nlt_f32_e32 vcc, s65, v18
	v_cndmask_b32_e32 v20, v212, v20, vcc
	v_add_f32_e32 v23, v20, v19
	v_mov_b32_e32 v18, s67
	v_cndmask_b32_e64 v213, v18, v20, s[38:39]
	v_cndmask_b32_e64 v18, v19, v23, s[38:39]
	v_sub_f32_e32 v19, v21, v34
	v_mul_f32_e32 v20, 0x3fb8aa3b, v19
	v_fma_f32 v21, v19, s75, -v20
	v_rndne_f32_e32 v23, v20
	v_fmac_f32_e32 v21, 0x32a5705f, v19
	v_sub_f32_e32 v20, v20, v23
	v_add_f32_e32 v20, v20, v21
	v_exp_f32_e32 v20, v20
	v_cvt_i32_f32_e32 v21, v23
	v_cmp_ngt_f32_e32 vcc, s74, v19
	v_ldexp_f32 v20, v20, v21
	v_cndmask_b32_e32 v20, 0, v20, vcc
	v_cmp_nlt_f32_e32 vcc, s65, v19
	v_cndmask_b32_e32 v20, v212, v20, vcc
	v_add_f32_e32 v21, v20, v18
	v_mov_b32_e32 v19, s67
	v_cndmask_b32_e64 v35, v18, v21, s[40:41]
	v_sub_f32_e32 v18, v147, v34
	v_cndmask_b32_e64 v19, v19, v20, s[40:41]
	v_mul_f32_e32 v20, 0x3fb8aa3b, v18
	v_fma_f32 v21, v18, s75, -v20
	v_rndne_f32_e32 v23, v20
	v_fmac_f32_e32 v21, 0x32a5705f, v18
	v_sub_f32_e32 v20, v20, v23
	v_add_f32_e32 v20, v20, v21
	v_exp_f32_e32 v20, v20
	v_cvt_i32_f32_e32 v21, v23
	v_cmp_ngt_f32_e32 vcc, s74, v18
	v_cvt_f16_f32_e32 v19, v19
	v_ldexp_f32 v20, v20, v21
	v_cndmask_b32_e32 v20, 0, v20, vcc
	v_cmp_nlt_f32_e32 vcc, s65, v18
	v_cndmask_b32_e32 v20, v212, v20, vcc
	v_cmp_le_f32_e32 vcc, s6, v18
	v_cndmask_b32_e32 v18, 0, v20, vcc
	v_fmac_f32_e32 v35, v146, v18
	v_cvt_f16_f32_e32 v18, v18
	v_cvt_f16_f32_e32 v20, v50
	;; [unrolled: 1-line block ×3, first 2 shown]
	v_mov_b32_e32 v27, s44
	v_pk_mul_f16 v49, v18, v127 op_sel_hi:[0,1]
	v_pk_mul_f16 v48, v18, v126 op_sel_hi:[0,1]
	;; [unrolled: 1-line block ×16, first 2 shown]
	v_cvt_f16_f32_e32 v18, v22
	v_pack_b32_f16 v24, v18, v20
	v_cvt_f16_f32_e32 v18, v51
	v_cvt_f16_f32_e32 v20, v52
	v_mov_b32_e32 v52, s49
	v_pack_b32_f16 v25, v18, v20
	v_cvt_f16_f32_e32 v18, v53
	v_cvt_f16_f32_e32 v20, v29
	v_mov_b32_e32 v53, s45
	v_pack_b32_f16 v22, v18, v20
	v_cvt_f16_f32_e32 v18, v28
	v_cvt_f16_f32_e32 v20, v31
	v_pack_b32_f16 v23, v18, v20
	v_cvt_f16_f32_e32 v18, v30
	v_cvt_f16_f32_e32 v20, v81
	v_pack_b32_f16 v20, v18, v20
	v_cvt_f16_f32_e32 v18, v200
	v_pack_b32_f16 v21, v18, v21
	v_cvt_f16_f32_e32 v18, v26
	v_cvt_f16_f32_e32 v26, v201
	v_pack_b32_f16 v18, v18, v26
	v_cvt_f16_f32_e32 v26, v213
	v_pack_b32_f16 v19, v26, v19
	v_add_co_u32_e32 v26, vcc, s43, v62
	v_addc_co_u32_e32 v27, vcc, v27, v63, vcc
	v_add_co_u32_e32 v26, vcc, v26, v145
	v_addc_co_u32_e32 v27, vcc, 0, v27, vcc
	v_cndmask_b32_e64 v51, v52, v27, s[58:59]
	v_cndmask_b32_e64 v50, v53, v26, s[58:59]
	v_add_co_u32_e32 v26, vcc, s43, v64
	v_mov_b32_e32 v27, s44
	v_addc_co_u32_e32 v27, vcc, v27, v65, vcc
	v_add_co_u32_e32 v26, vcc, v26, v145
	v_addc_co_u32_e32 v27, vcc, 0, v27, vcc
	v_cndmask_b32_e64 v31, v52, v27, s[10:11]
	v_cndmask_b32_e64 v30, v53, v26, s[10:11]
	v_add_co_u32_e32 v26, vcc, s43, v66
	v_mov_b32_e32 v27, s44
	;; [unrolled: 7-line block ×3, first 2 shown]
	v_addc_co_u32_e32 v27, vcc, v27, v69, vcc
	v_add_co_u32_e32 v26, vcc, v26, v145
	v_addc_co_u32_e32 v27, vcc, 0, v27, vcc
	v_cndmask_b32_e64 v27, v52, v27, s[14:15]
	v_cndmask_b32_e64 v26, v53, v26, s[14:15]
	flat_load_dwordx4 v[50:53], v[50:51]
	s_waitcnt vmcnt(0) lgkmcnt(0)
	ds_write_b128 v153, v[50:53]
	flat_load_dwordx4 v[50:53], v[30:31]
	s_waitcnt vmcnt(0) lgkmcnt(0)
	ds_write_b128 v244, v[50:53]
	;; [unrolled: 3-line block ×4, first 2 shown]
	s_waitcnt lgkmcnt(0)
	s_barrier
	ds_read_u16 v30, v183 offset:544
	v_cvt_f32_f16_e32 v28, v48
	v_cvt_f32_f16_sdwa v29, v48 dst_sel:DWORD dst_unused:UNUSED_PAD src0_sel:WORD_1
	ds_read_u16 v31, v184
	ds_read_u16 v48, v184 offset:32
	v_cvt_f32_f16_e32 v26, v49
	v_cvt_f32_f16_sdwa v27, v49 dst_sel:DWORD dst_unused:UNUSED_PAD src0_sel:WORD_1
	s_waitcnt lgkmcnt(1)
	v_perm_b32 v31, v31, v30, s64
	ds_read_u16 v30, v185
	ds_read_u16 v49, v185 offset:32
	ds_read_u16 v50, v181 offset:272
	;; [unrolled: 1-line block ×3, first 2 shown]
	s_waitcnt lgkmcnt(1)
	v_perm_b32 v30, v50, v30, s64
	s_nop 1
	v_mfma_f32_16x16x16f16 v[26:29], v[30:31], v[24:25], v[26:29]
	ds_read_u16 v30, v185 offset:4352
	ds_read_u16 v50, v181 offset:4624
	ds_read_u16 v31, v161 offset:544
	ds_read_u16 v52, v184 offset:4352
	s_waitcnt lgkmcnt(2)
	v_perm_b32 v30, v50, v30, s64
	s_waitcnt lgkmcnt(0)
	v_perm_b32 v31, v52, v31, s64
	s_nop 2
	v_cvt_f16_f32_e32 v26, v26
	v_cvt_f16_f32_e32 v27, v27
	v_cvt_f16_f32_e32 v28, v28
	v_cvt_f16_f32_e32 v29, v29
	v_cvt_f32_f16_e32 v26, v26
	v_cvt_f32_f16_e32 v27, v27
	v_cvt_f32_f16_e32 v28, v28
	v_cvt_f32_f16_e32 v29, v29
	s_nop 1
	v_mfma_f32_16x16x16f16 v[26:29], v[30:31], v[22:23], v[26:29]
	ds_read_u16 v30, v185 offset:8704
	ds_read_u16 v50, v181 offset:8976
	ds_read_u16 v31, v162 offset:544
	ds_read_u16 v52, v184 offset:8704
	s_waitcnt lgkmcnt(2)
	v_perm_b32 v30, v50, v30, s64
	s_waitcnt lgkmcnt(0)
	v_perm_b32 v31, v52, v31, s64
	s_nop 2
	v_cvt_f16_f32_e32 v26, v26
	v_cvt_f16_f32_e32 v27, v27
	v_cvt_f16_f32_e32 v28, v28
	v_cvt_f16_f32_e32 v29, v29
	v_cvt_f32_f16_e32 v26, v26
	v_cvt_f32_f16_e32 v27, v27
	v_cvt_f32_f16_e32 v28, v28
	v_cvt_f32_f16_e32 v29, v29
	;; [unrolled: 19-line block ×3, first 2 shown]
	s_nop 1
	v_mfma_f32_16x16x16f16 v[26:29], v[30:31], v[18:19], v[26:29]
	ds_read_u16 v30, v186 offset:544
	s_waitcnt lgkmcnt(0)
	v_perm_b32 v31, v48, v30, s64
	v_perm_b32 v30, v51, v49, s64
	s_nop 6
	v_cvt_f16_f32_e32 v26, v26
	v_cvt_f16_f32_e32 v27, v27
	;; [unrolled: 1-line block ×4, first 2 shown]
	v_pack_b32_f16 v127, v26, v27
	v_cvt_f32_f16_e32 v26, v47
	v_pack_b32_f16 v126, v28, v29
	v_cvt_f32_f16_sdwa v27, v47 dst_sel:DWORD dst_unused:UNUSED_PAD src0_sel:WORD_1
	v_cvt_f32_f16_e32 v28, v46
	v_cvt_f32_f16_sdwa v29, v46 dst_sel:DWORD dst_unused:UNUSED_PAD src0_sel:WORD_1
	s_nop 1
	v_mfma_f32_16x16x16f16 v[26:29], v[30:31], v[24:25], v[26:29]
	ds_read_u16 v30, v185 offset:4384
	ds_read_u16 v46, v181 offset:4656
	ds_read_u16 v31, v164 offset:544
	ds_read_u16 v47, v184 offset:4384
	s_waitcnt lgkmcnt(2)
	v_perm_b32 v30, v46, v30, s64
	s_waitcnt lgkmcnt(0)
	v_perm_b32 v31, v47, v31, s64
	s_nop 2
	v_cvt_f16_f32_e32 v26, v26
	v_cvt_f16_f32_e32 v27, v27
	v_cvt_f16_f32_e32 v28, v28
	v_cvt_f16_f32_e32 v29, v29
	v_cvt_f32_f16_e32 v26, v26
	v_cvt_f32_f16_e32 v27, v27
	v_cvt_f32_f16_e32 v28, v28
	v_cvt_f32_f16_e32 v29, v29
	s_nop 1
	v_mfma_f32_16x16x16f16 v[26:29], v[30:31], v[22:23], v[26:29]
	ds_read_u16 v30, v185 offset:8736
	ds_read_u16 v46, v181 offset:9008
	ds_read_u16 v31, v165 offset:544
	ds_read_u16 v47, v184 offset:8736
	s_waitcnt lgkmcnt(2)
	v_perm_b32 v30, v46, v30, s64
	s_waitcnt lgkmcnt(0)
	v_perm_b32 v31, v47, v31, s64
	s_nop 2
	v_cvt_f16_f32_e32 v26, v26
	v_cvt_f16_f32_e32 v27, v27
	v_cvt_f16_f32_e32 v28, v28
	v_cvt_f16_f32_e32 v29, v29
	v_cvt_f32_f16_e32 v26, v26
	v_cvt_f32_f16_e32 v27, v27
	v_cvt_f32_f16_e32 v28, v28
	v_cvt_f32_f16_e32 v29, v29
	;; [unrolled: 19-line block ×3, first 2 shown]
	s_nop 1
	v_mfma_f32_16x16x16f16 v[26:29], v[30:31], v[18:19], v[26:29]
	ds_read_u16 v30, v185 offset:64
	ds_read_u16 v46, v181 offset:336
	;; [unrolled: 1-line block ×4, first 2 shown]
	s_waitcnt lgkmcnt(2)
	v_perm_b32 v30, v46, v30, s64
	s_waitcnt lgkmcnt(0)
	v_perm_b32 v31, v47, v31, s64
	s_nop 2
	v_cvt_f16_f32_e32 v26, v26
	v_cvt_f16_f32_e32 v27, v27
	;; [unrolled: 1-line block ×4, first 2 shown]
	v_pack_b32_f16 v129, v26, v27
	v_cvt_f32_f16_e32 v26, v45
	v_pack_b32_f16 v128, v28, v29
	v_cvt_f32_f16_sdwa v27, v45 dst_sel:DWORD dst_unused:UNUSED_PAD src0_sel:WORD_1
	v_cvt_f32_f16_e32 v28, v44
	v_cvt_f32_f16_sdwa v29, v44 dst_sel:DWORD dst_unused:UNUSED_PAD src0_sel:WORD_1
	s_nop 1
	v_mfma_f32_16x16x16f16 v[26:29], v[30:31], v[24:25], v[26:29]
	ds_read_u16 v30, v185 offset:4416
	ds_read_u16 v44, v181 offset:4688
	ds_read_u16 v31, v167 offset:544
	ds_read_u16 v45, v184 offset:4416
	s_waitcnt lgkmcnt(2)
	v_perm_b32 v30, v44, v30, s64
	s_waitcnt lgkmcnt(0)
	v_perm_b32 v31, v45, v31, s64
	s_nop 2
	v_cvt_f16_f32_e32 v26, v26
	v_cvt_f16_f32_e32 v27, v27
	v_cvt_f16_f32_e32 v28, v28
	v_cvt_f16_f32_e32 v29, v29
	v_cvt_f32_f16_e32 v26, v26
	v_cvt_f32_f16_e32 v27, v27
	v_cvt_f32_f16_e32 v28, v28
	v_cvt_f32_f16_e32 v29, v29
	s_nop 1
	v_mfma_f32_16x16x16f16 v[26:29], v[30:31], v[22:23], v[26:29]
	ds_read_u16 v30, v185 offset:8768
	ds_read_u16 v44, v181 offset:9040
	ds_read_u16 v31, v168 offset:544
	ds_read_u16 v45, v184 offset:8768
	s_waitcnt lgkmcnt(2)
	v_perm_b32 v30, v44, v30, s64
	s_waitcnt lgkmcnt(0)
	v_perm_b32 v31, v45, v31, s64
	s_nop 2
	v_cvt_f16_f32_e32 v26, v26
	v_cvt_f16_f32_e32 v27, v27
	v_cvt_f16_f32_e32 v28, v28
	v_cvt_f16_f32_e32 v29, v29
	v_cvt_f32_f16_e32 v26, v26
	v_cvt_f32_f16_e32 v27, v27
	v_cvt_f32_f16_e32 v28, v28
	v_cvt_f32_f16_e32 v29, v29
	;; [unrolled: 19-line block ×3, first 2 shown]
	s_nop 1
	v_mfma_f32_16x16x16f16 v[26:29], v[30:31], v[18:19], v[26:29]
	ds_read_u16 v30, v185 offset:96
	ds_read_u16 v44, v181 offset:368
	;; [unrolled: 1-line block ×4, first 2 shown]
	s_waitcnt lgkmcnt(2)
	v_perm_b32 v30, v44, v30, s64
	s_waitcnt lgkmcnt(0)
	v_perm_b32 v31, v45, v31, s64
	s_nop 2
	v_cvt_f16_f32_e32 v26, v26
	v_cvt_f16_f32_e32 v27, v27
	;; [unrolled: 1-line block ×4, first 2 shown]
	v_pack_b32_f16 v133, v26, v27
	v_cvt_f32_f16_e32 v26, v43
	v_pack_b32_f16 v132, v28, v29
	v_cvt_f32_f16_sdwa v27, v43 dst_sel:DWORD dst_unused:UNUSED_PAD src0_sel:WORD_1
	v_cvt_f32_f16_e32 v28, v42
	v_cvt_f32_f16_sdwa v29, v42 dst_sel:DWORD dst_unused:UNUSED_PAD src0_sel:WORD_1
	s_nop 1
	v_mfma_f32_16x16x16f16 v[26:29], v[30:31], v[24:25], v[26:29]
	ds_read_u16 v30, v185 offset:4448
	ds_read_u16 v42, v181 offset:4720
	ds_read_u16 v31, v171 offset:544
	ds_read_u16 v43, v184 offset:4448
	s_waitcnt lgkmcnt(2)
	v_perm_b32 v30, v42, v30, s64
	s_waitcnt lgkmcnt(0)
	v_perm_b32 v31, v43, v31, s64
	s_nop 2
	v_cvt_f16_f32_e32 v26, v26
	v_cvt_f16_f32_e32 v27, v27
	v_cvt_f16_f32_e32 v28, v28
	v_cvt_f16_f32_e32 v29, v29
	v_cvt_f32_f16_e32 v26, v26
	v_cvt_f32_f16_e32 v27, v27
	v_cvt_f32_f16_e32 v28, v28
	v_cvt_f32_f16_e32 v29, v29
	s_nop 1
	v_mfma_f32_16x16x16f16 v[26:29], v[30:31], v[22:23], v[26:29]
	ds_read_u16 v30, v185 offset:8800
	ds_read_u16 v42, v181 offset:9072
	ds_read_u16 v31, v173 offset:544
	ds_read_u16 v43, v184 offset:8800
	s_waitcnt lgkmcnt(2)
	v_perm_b32 v30, v42, v30, s64
	s_waitcnt lgkmcnt(0)
	v_perm_b32 v31, v43, v31, s64
	s_nop 2
	v_cvt_f16_f32_e32 v26, v26
	v_cvt_f16_f32_e32 v27, v27
	v_cvt_f16_f32_e32 v28, v28
	v_cvt_f16_f32_e32 v29, v29
	v_cvt_f32_f16_e32 v26, v26
	v_cvt_f32_f16_e32 v27, v27
	v_cvt_f32_f16_e32 v28, v28
	v_cvt_f32_f16_e32 v29, v29
	;; [unrolled: 19-line block ×3, first 2 shown]
	s_nop 1
	v_mfma_f32_16x16x16f16 v[26:29], v[30:31], v[18:19], v[26:29]
	ds_read_u16 v30, v185 offset:128
	ds_read_u16 v42, v181 offset:400
	;; [unrolled: 1-line block ×4, first 2 shown]
	s_waitcnt lgkmcnt(2)
	v_perm_b32 v30, v42, v30, s64
	s_waitcnt lgkmcnt(0)
	v_perm_b32 v31, v43, v31, s64
	s_nop 2
	v_cvt_f16_f32_e32 v26, v26
	v_cvt_f16_f32_e32 v27, v27
	;; [unrolled: 1-line block ×4, first 2 shown]
	v_pack_b32_f16 v136, v26, v27
	v_cvt_f32_f16_e32 v26, v41
	v_pack_b32_f16 v134, v28, v29
	v_cvt_f32_f16_sdwa v27, v41 dst_sel:DWORD dst_unused:UNUSED_PAD src0_sel:WORD_1
	v_cvt_f32_f16_e32 v28, v40
	v_cvt_f32_f16_sdwa v29, v40 dst_sel:DWORD dst_unused:UNUSED_PAD src0_sel:WORD_1
	s_nop 1
	v_mfma_f32_16x16x16f16 v[26:29], v[30:31], v[24:25], v[26:29]
	ds_read_u16 v30, v185 offset:4480
	ds_read_u16 v40, v181 offset:4752
	ds_read_u16 v31, v176 offset:544
	ds_read_u16 v41, v184 offset:4480
	s_waitcnt lgkmcnt(2)
	v_perm_b32 v30, v40, v30, s64
	s_waitcnt lgkmcnt(0)
	v_perm_b32 v31, v41, v31, s64
	s_nop 2
	v_cvt_f16_f32_e32 v26, v26
	v_cvt_f16_f32_e32 v27, v27
	v_cvt_f16_f32_e32 v28, v28
	v_cvt_f16_f32_e32 v29, v29
	v_cvt_f32_f16_e32 v26, v26
	v_cvt_f32_f16_e32 v27, v27
	v_cvt_f32_f16_e32 v28, v28
	v_cvt_f32_f16_e32 v29, v29
	s_nop 1
	v_mfma_f32_16x16x16f16 v[26:29], v[30:31], v[22:23], v[26:29]
	ds_read_u16 v30, v185 offset:8832
	ds_read_u16 v40, v181 offset:9104
	ds_read_u16 v31, v177 offset:544
	ds_read_u16 v41, v184 offset:8832
	s_waitcnt lgkmcnt(2)
	v_perm_b32 v30, v40, v30, s64
	s_waitcnt lgkmcnt(0)
	v_perm_b32 v31, v41, v31, s64
	s_nop 2
	v_cvt_f16_f32_e32 v26, v26
	v_cvt_f16_f32_e32 v27, v27
	v_cvt_f16_f32_e32 v28, v28
	v_cvt_f16_f32_e32 v29, v29
	v_cvt_f32_f16_e32 v26, v26
	v_cvt_f32_f16_e32 v27, v27
	v_cvt_f32_f16_e32 v28, v28
	v_cvt_f32_f16_e32 v29, v29
	;; [unrolled: 19-line block ×3, first 2 shown]
	s_nop 1
	v_mfma_f32_16x16x16f16 v[26:29], v[30:31], v[18:19], v[26:29]
	ds_read_u16 v30, v185 offset:160
	ds_read_u16 v40, v181 offset:432
	;; [unrolled: 1-line block ×4, first 2 shown]
	s_waitcnt lgkmcnt(2)
	v_perm_b32 v30, v40, v30, s64
	s_waitcnt lgkmcnt(0)
	v_perm_b32 v31, v41, v31, s64
	s_nop 2
	v_cvt_f16_f32_e32 v26, v26
	v_cvt_f16_f32_e32 v27, v27
	;; [unrolled: 1-line block ×4, first 2 shown]
	v_pack_b32_f16 v138, v26, v27
	v_cvt_f32_f16_e32 v26, v39
	v_pack_b32_f16 v137, v28, v29
	v_cvt_f32_f16_sdwa v27, v39 dst_sel:DWORD dst_unused:UNUSED_PAD src0_sel:WORD_1
	v_cvt_f32_f16_e32 v28, v38
	v_cvt_f32_f16_sdwa v29, v38 dst_sel:DWORD dst_unused:UNUSED_PAD src0_sel:WORD_1
	s_nop 1
	v_mfma_f32_16x16x16f16 v[26:29], v[30:31], v[24:25], v[26:29]
	ds_read_u16 v30, v185 offset:4512
	ds_read_u16 v38, v181 offset:4784
	ds_read_u16 v31, v189 offset:544
	ds_read_u16 v39, v184 offset:4512
	s_waitcnt lgkmcnt(2)
	v_perm_b32 v30, v38, v30, s64
	s_waitcnt lgkmcnt(0)
	v_perm_b32 v31, v39, v31, s64
	s_nop 2
	v_cvt_f16_f32_e32 v26, v26
	v_cvt_f16_f32_e32 v27, v27
	v_cvt_f16_f32_e32 v28, v28
	v_cvt_f16_f32_e32 v29, v29
	v_cvt_f32_f16_e32 v26, v26
	v_cvt_f32_f16_e32 v27, v27
	v_cvt_f32_f16_e32 v28, v28
	v_cvt_f32_f16_e32 v29, v29
	s_nop 1
	v_mfma_f32_16x16x16f16 v[26:29], v[30:31], v[22:23], v[26:29]
	ds_read_u16 v30, v185 offset:8864
	ds_read_u16 v38, v181 offset:9136
	ds_read_u16 v31, v190 offset:544
	ds_read_u16 v39, v184 offset:8864
	s_waitcnt lgkmcnt(2)
	v_perm_b32 v30, v38, v30, s64
	s_waitcnt lgkmcnt(0)
	v_perm_b32 v31, v39, v31, s64
	s_nop 2
	v_cvt_f16_f32_e32 v26, v26
	v_cvt_f16_f32_e32 v27, v27
	v_cvt_f16_f32_e32 v28, v28
	v_cvt_f16_f32_e32 v29, v29
	v_cvt_f32_f16_e32 v26, v26
	v_cvt_f32_f16_e32 v27, v27
	v_cvt_f32_f16_e32 v28, v28
	v_cvt_f32_f16_e32 v29, v29
	;; [unrolled: 19-line block ×3, first 2 shown]
	s_nop 1
	v_mfma_f32_16x16x16f16 v[26:29], v[30:31], v[18:19], v[26:29]
	ds_read_u16 v30, v185 offset:192
	ds_read_u16 v38, v181 offset:464
	;; [unrolled: 1-line block ×4, first 2 shown]
	s_waitcnt lgkmcnt(2)
	v_perm_b32 v30, v38, v30, s64
	s_waitcnt lgkmcnt(0)
	v_perm_b32 v31, v39, v31, s64
	s_nop 2
	v_cvt_f16_f32_e32 v26, v26
	v_cvt_f16_f32_e32 v27, v27
	;; [unrolled: 1-line block ×4, first 2 shown]
	v_pack_b32_f16 v141, v26, v27
	v_cvt_f32_f16_e32 v26, v37
	v_pack_b32_f16 v140, v28, v29
	v_cvt_f32_f16_sdwa v27, v37 dst_sel:DWORD dst_unused:UNUSED_PAD src0_sel:WORD_1
	v_cvt_f32_f16_e32 v28, v36
	v_cvt_f32_f16_sdwa v29, v36 dst_sel:DWORD dst_unused:UNUSED_PAD src0_sel:WORD_1
	s_nop 1
	v_mfma_f32_16x16x16f16 v[26:29], v[30:31], v[24:25], v[26:29]
	ds_read_u16 v30, v185 offset:4544
	ds_read_u16 v36, v181 offset:4816
	ds_read_u16 v31, v193 offset:544
	ds_read_u16 v37, v184 offset:4544
	s_waitcnt lgkmcnt(2)
	v_perm_b32 v30, v36, v30, s64
	s_waitcnt lgkmcnt(0)
	v_perm_b32 v31, v37, v31, s64
	s_nop 2
	v_cvt_f16_f32_e32 v26, v26
	v_cvt_f16_f32_e32 v27, v27
	v_cvt_f16_f32_e32 v28, v28
	v_cvt_f16_f32_e32 v29, v29
	v_cvt_f32_f16_e32 v26, v26
	v_cvt_f32_f16_e32 v27, v27
	v_cvt_f32_f16_e32 v28, v28
	v_cvt_f32_f16_e32 v29, v29
	s_nop 1
	v_mfma_f32_16x16x16f16 v[26:29], v[30:31], v[22:23], v[26:29]
	ds_read_u16 v30, v185 offset:8896
	ds_read_u16 v36, v181 offset:9168
	ds_read_u16 v31, v194 offset:544
	ds_read_u16 v37, v184 offset:8896
	s_waitcnt lgkmcnt(2)
	v_perm_b32 v30, v36, v30, s64
	s_waitcnt lgkmcnt(0)
	v_perm_b32 v31, v37, v31, s64
	s_nop 2
	v_cvt_f16_f32_e32 v26, v26
	v_cvt_f16_f32_e32 v27, v27
	v_cvt_f16_f32_e32 v28, v28
	v_cvt_f16_f32_e32 v29, v29
	v_cvt_f32_f16_e32 v26, v26
	v_cvt_f32_f16_e32 v27, v27
	v_cvt_f32_f16_e32 v28, v28
	v_cvt_f32_f16_e32 v29, v29
	;; [unrolled: 19-line block ×3, first 2 shown]
	s_nop 1
	v_mfma_f32_16x16x16f16 v[26:29], v[30:31], v[18:19], v[26:29]
	ds_read_u16 v30, v185 offset:224
	ds_read_u16 v36, v181 offset:496
	ds_read_u16 v31, v196 offset:544
	ds_read_u16 v37, v184 offset:224
	s_waitcnt lgkmcnt(2)
	v_perm_b32 v30, v36, v30, s64
	s_waitcnt lgkmcnt(0)
	v_perm_b32 v31, v37, v31, s64
	s_nop 2
	v_cvt_f16_f32_e32 v26, v26
	v_cvt_f16_f32_e32 v27, v27
	;; [unrolled: 1-line block ×4, first 2 shown]
	v_pack_b32_f16 v142, v26, v27
	v_cvt_f32_f16_e32 v26, v33
	v_pack_b32_f16 v135, v28, v29
	v_cvt_f32_f16_sdwa v27, v33 dst_sel:DWORD dst_unused:UNUSED_PAD src0_sel:WORD_1
	v_cvt_f32_f16_e32 v28, v32
	v_cvt_f32_f16_sdwa v29, v32 dst_sel:DWORD dst_unused:UNUSED_PAD src0_sel:WORD_1
	s_nop 1
	v_mfma_f32_16x16x16f16 v[24:27], v[30:31], v[24:25], v[26:29]
	s_nop 6
	ds_read_u16 v28, v185 offset:4576
	ds_read_u16 v30, v181 offset:4848
	;; [unrolled: 1-line block ×4, first 2 shown]
	s_waitcnt lgkmcnt(2)
	v_perm_b32 v28, v30, v28, s64
	s_waitcnt lgkmcnt(0)
	v_perm_b32 v29, v31, v29, s64
	v_cvt_f16_f32_e32 v24, v24
	v_cvt_f16_f32_e32 v25, v25
	;; [unrolled: 1-line block ×4, first 2 shown]
	v_cvt_f32_f16_e32 v24, v24
	v_cvt_f32_f16_e32 v25, v25
	;; [unrolled: 1-line block ×4, first 2 shown]
	s_nop 1
	v_mfma_f32_16x16x16f16 v[22:25], v[28:29], v[22:23], v[24:27]
	s_nop 6
	ds_read_u16 v26, v185 offset:8928
	ds_read_u16 v28, v181 offset:9200
	;; [unrolled: 1-line block ×4, first 2 shown]
	s_waitcnt lgkmcnt(2)
	v_perm_b32 v26, v28, v26, s64
	s_waitcnt lgkmcnt(0)
	v_perm_b32 v27, v29, v27, s64
	v_cvt_f16_f32_e32 v22, v22
	v_cvt_f16_f32_e32 v23, v23
	;; [unrolled: 1-line block ×4, first 2 shown]
	v_cvt_f32_f16_e32 v22, v22
	v_cvt_f32_f16_e32 v23, v23
	;; [unrolled: 1-line block ×4, first 2 shown]
	s_nop 1
	v_mfma_f32_16x16x16f16 v[24:27], v[26:27], v[20:21], v[22:25]
	s_nop 7
	s_nop 2
	v_cvt_f16_f32_e32 v23, v24
	v_cvt_f16_f32_e32 v24, v25
	;; [unrolled: 1-line block ×4, first 2 shown]
	ds_read_u16 v20, v185 offset:13280
	ds_read_u16 v21, v181 offset:13552
	;; [unrolled: 1-line block ×4, first 2 shown]
	v_cvt_f32_f16_e32 v28, v23
	v_cvt_f32_f16_e32 v29, v24
	;; [unrolled: 1-line block ×4, first 2 shown]
	s_waitcnt lgkmcnt(0)
	v_perm_b32 v23, v27, v22, s64
	v_perm_b32 v22, v21, v20, s64
	s_barrier
	s_nop 0
	v_mfma_f32_16x16x16f16 v[18:21], v[22:23], v[18:19], v[28:31]
	s_nop 7
	s_nop 2
	v_cvt_f16_f32_e32 v18, v18
	v_cvt_f16_f32_e32 v19, v19
	v_cvt_f16_f32_e32 v20, v20
	v_cvt_f16_f32_e32 v21, v21
	v_pack_b32_f16 v139, v18, v19
	v_pack_b32_f16 v143, v20, v21
	s_cbranch_scc0 .LBB25_168
; %bb.164:                              ;   in Loop: Header=BB25_96 Depth=2
	v_mov_b32_e32 v146, v35
	v_mov_b32_e32 v147, v34
	s_andn2_b64 vcc, exec, s[8:9]
	s_ashr_i32 s43, s42, 31
	s_cbranch_vccz .LBB25_87
	s_branch .LBB25_96
.LBB25_165:                             ;   in Loop: Header=BB25_96 Depth=2
                                        ; implicit-def: $vgpr38_vgpr39_vgpr40_vgpr41
                                        ; implicit-def: $vgpr28_vgpr29_vgpr30_vgpr31
                                        ; implicit-def: $vgpr24_vgpr25_vgpr26_vgpr27
                                        ; implicit-def: $vgpr18_vgpr19_vgpr20_vgpr21
	s_branch .LBB25_162
.LBB25_166:                             ;   in Loop: Header=BB25_13 Depth=1
	s_mov_b64 s[90:91], 0
                                        ; implicit-def: $vgpr2_vgpr3
                                        ; implicit-def: $vgpr214
	s_cbranch_execnz .LBB25_354
	s_branch .LBB25_687
.LBB25_167:                             ;   in Loop: Header=BB25_13 Depth=1
	v_mov_b32_e32 v35, 0
	v_mov_b32_e32 v34, 0xfeffffff
	v_mov_b32_e32 v127, 0
	v_mov_b32_e32 v128, 0
	v_mov_b32_e32 v129, 0
	v_mov_b32_e32 v132, 0
	v_mov_b32_e32 v133, 0
	v_mov_b32_e32 v134, 0
	v_mov_b32_e32 v136, 0
	v_mov_b32_e32 v137, 0
	v_mov_b32_e32 v138, 0
	v_mov_b32_e32 v140, 0
	v_mov_b32_e32 v141, 0
	v_mov_b32_e32 v135, 0
	v_mov_b32_e32 v142, 0
	v_mov_b32_e32 v143, 0
	v_mov_b32_e32 v139, 0
.LBB25_168:                             ;   in Loop: Header=BB25_13 Depth=1
	v_readlane_b32 s44, v253, 50
	v_readlane_b32 s45, v253, 51
	s_mov_b32 s56, s44
	s_lshl_b32 s60, s52, 6
	v_readlane_b32 s8, v253, 4
	v_readlane_b32 s44, v254, 30
	s_sub_i32 s66, s8, s60
	v_readlane_b32 s45, v254, 31
	s_cmp_lg_u64 s[44:45], 0
	s_cselect_b64 s[42:43], -1, 0
	s_ashr_i32 s61, s60, 31
	s_cmp_eq_u64 s[44:45], 0
	v_readlane_b32 s46, v253, 52
	v_readlane_b32 s47, v253, 53
	;; [unrolled: 1-line block ×3, first 2 shown]
	s_cbranch_scc1 .LBB25_186
; %bb.169:                              ;   in Loop: Header=BB25_13 Depth=1
	s_lshl_b64 s[8:9], s[60:61], 1
	s_add_u32 s46, s44, s8
	s_addc_u32 s47, s45, s9
	v_cmp_le_i32_e32 vcc, s66, v54
                                        ; implicit-def: $sgpr48
	s_and_saveexec_b64 s[8:9], vcc
	s_xor_b64 s[8:9], exec, s[8:9]
	s_cbranch_execz .LBB25_171
; %bb.170:                              ;   in Loop: Header=BB25_13 Depth=1
	ds_write_b16 v151, v227 offset:17408
	ds_write_b16 v228, v227 offset:17408
	s_mov_b32 s48, 0
.LBB25_171:                             ;   in Loop: Header=BB25_13 Depth=1
	s_or_saveexec_b64 s[44:45], s[8:9]
	v_lshlrev_b32_e32 v18, 1, v54
	v_mov_b32_e32 v19, s47
	v_add_co_u32_e64 v18, s[8:9], s46, v18
	v_addc_co_u32_e64 v19, s[8:9], 0, v19, s[8:9]
	v_mov_b32_e32 v20, s48
	v_mov_b32_e32 v21, s48
	s_xor_b64 exec, exec, s[44:45]
	s_cbranch_execz .LBB25_173
; %bb.172:                              ;   in Loop: Header=BB25_13 Depth=1
	v_readlane_b32 s46, v253, 15
	v_mul_hi_u32 v20, s46, v125
	v_readlane_b32 s47, v253, 16
	v_add_u32_e32 v20, v125, v20
	v_lshrrev_b32_e32 v20, s47, v20
	v_mul_lo_u32 v20, v20, s56
	v_sub_u32_e32 v20, v125, v20
	v_mad_i64_i32 v[20:21], s[8:9], v20, s92, 0
	v_lshlrev_b64 v[20:21], 1, v[20:21]
	v_add_co_u32_e64 v20, s[8:9], v18, v20
	v_addc_co_u32_e64 v21, s[8:9], v19, v21, s[8:9]
	flat_load_ushort v22, v[20:21]
	v_mul_hi_u32 v20, s46, v124
	v_add_u32_e32 v20, v124, v20
	v_lshrrev_b32_e32 v20, s47, v20
	v_mul_lo_u32 v20, v20, s56
	v_sub_u32_e32 v20, v124, v20
	v_mad_i64_i32 v[20:21], s[8:9], v20, s92, 0
	v_lshlrev_b64 v[20:21], 1, v[20:21]
	v_add_co_u32_e64 v20, s[8:9], v18, v20
	v_addc_co_u32_e64 v21, s[8:9], v19, v21, s[8:9]
	flat_load_ushort v20, v[20:21]
	s_waitcnt vmcnt(0) lgkmcnt(0)
	ds_write_b16 v151, v22 offset:17408
	ds_write_b16 v228, v20 offset:17408
	v_mul_hi_u32 v20, s46, v123
	v_add_u32_e32 v20, v123, v20
	v_lshrrev_b32_e32 v20, s47, v20
	v_mul_lo_u32 v20, v20, s56
	v_sub_u32_e32 v20, v123, v20
	v_mad_i64_i32 v[20:21], s[8:9], v20, s92, 0
	v_lshlrev_b64 v[20:21], 1, v[20:21]
	v_add_co_u32_e64 v20, s[8:9], v18, v20
	v_addc_co_u32_e64 v21, s[8:9], v19, v21, s[8:9]
	flat_load_ushort v20, v[20:21]
	v_mul_hi_u32 v21, s46, v122
	v_add_u32_e32 v21, v122, v21
	v_lshrrev_b32_e32 v21, s47, v21
	v_mul_lo_u32 v21, v21, s56
	v_sub_u32_e32 v21, v122, v21
	v_mad_i64_i32 v[22:23], s[8:9], v21, s92, 0
	v_lshlrev_b64 v[22:23], 1, v[22:23]
	v_add_co_u32_e64 v22, s[8:9], v18, v22
	v_addc_co_u32_e64 v23, s[8:9], v19, v23, s[8:9]
	flat_load_ushort v21, v[22:23]
.LBB25_173:                             ;   in Loop: Header=BB25_13 Depth=1
	s_or_b64 exec, exec, s[44:45]
	s_waitcnt vmcnt(0) lgkmcnt(0)
	ds_write_b16 v229, v20 offset:17408
	ds_write_b16 v230, v21 offset:17408
                                        ; implicit-def: $sgpr46
	s_and_saveexec_b64 s[8:9], vcc
	s_xor_b64 s[8:9], exec, s[8:9]
	s_cbranch_execz .LBB25_175
; %bb.174:                              ;   in Loop: Header=BB25_13 Depth=1
	ds_write_b16 v231, v227 offset:17408
	ds_write_b16 v232, v227 offset:17408
	s_mov_b32 s46, 0
.LBB25_175:                             ;   in Loop: Header=BB25_13 Depth=1
	s_or_saveexec_b64 s[44:45], s[8:9]
	v_mov_b32_e32 v20, s46
	v_mov_b32_e32 v21, s46
	s_xor_b64 exec, exec, s[44:45]
	s_cbranch_execz .LBB25_177
; %bb.176:                              ;   in Loop: Header=BB25_13 Depth=1
	v_readlane_b32 s46, v253, 15
	v_mul_hi_u32 v20, s46, v121
	v_readlane_b32 s47, v253, 16
	v_add_u32_e32 v20, v121, v20
	v_lshrrev_b32_e32 v20, s47, v20
	v_mul_lo_u32 v20, v20, s56
	v_sub_u32_e32 v20, v121, v20
	v_mad_i64_i32 v[20:21], s[8:9], v20, s92, 0
	v_lshlrev_b64 v[20:21], 1, v[20:21]
	v_add_co_u32_e64 v20, s[8:9], v18, v20
	v_addc_co_u32_e64 v21, s[8:9], v19, v21, s[8:9]
	flat_load_ushort v22, v[20:21]
	v_mul_hi_u32 v20, s46, v120
	v_add_u32_e32 v20, v120, v20
	v_lshrrev_b32_e32 v20, s47, v20
	v_mul_lo_u32 v20, v20, s56
	v_sub_u32_e32 v20, v120, v20
	v_mad_i64_i32 v[20:21], s[8:9], v20, s92, 0
	v_lshlrev_b64 v[20:21], 1, v[20:21]
	v_add_co_u32_e64 v20, s[8:9], v18, v20
	v_addc_co_u32_e64 v21, s[8:9], v19, v21, s[8:9]
	flat_load_ushort v20, v[20:21]
	s_waitcnt vmcnt(0) lgkmcnt(0)
	ds_write_b16 v231, v22 offset:17408
	ds_write_b16 v232, v20 offset:17408
	v_mul_hi_u32 v20, s46, v119
	v_add_u32_e32 v20, v119, v20
	v_lshrrev_b32_e32 v20, s47, v20
	v_mul_lo_u32 v20, v20, s56
	v_sub_u32_e32 v20, v119, v20
	v_mad_i64_i32 v[20:21], s[8:9], v20, s92, 0
	v_lshlrev_b64 v[20:21], 1, v[20:21]
	v_add_co_u32_e64 v20, s[8:9], v18, v20
	v_addc_co_u32_e64 v21, s[8:9], v19, v21, s[8:9]
	flat_load_ushort v20, v[20:21]
	v_mul_hi_u32 v21, s46, v118
	v_add_u32_e32 v21, v118, v21
	v_lshrrev_b32_e32 v21, s47, v21
	v_mul_lo_u32 v21, v21, s56
	v_sub_u32_e32 v21, v118, v21
	v_mad_i64_i32 v[22:23], s[8:9], v21, s92, 0
	v_lshlrev_b64 v[22:23], 1, v[22:23]
	v_add_co_u32_e64 v22, s[8:9], v18, v22
	v_addc_co_u32_e64 v23, s[8:9], v19, v23, s[8:9]
	flat_load_ushort v21, v[22:23]
.LBB25_177:                             ;   in Loop: Header=BB25_13 Depth=1
	s_or_b64 exec, exec, s[44:45]
	s_waitcnt vmcnt(0) lgkmcnt(0)
	ds_write_b16 v233, v20 offset:17408
	ds_write_b16 v234, v21 offset:17408
                                        ; implicit-def: $sgpr46
	s_and_saveexec_b64 s[8:9], vcc
	s_xor_b64 s[8:9], exec, s[8:9]
	s_cbranch_execz .LBB25_179
; %bb.178:                              ;   in Loop: Header=BB25_13 Depth=1
	ds_write_b16 v235, v227 offset:17408
	ds_write_b16 v236, v227 offset:17408
	s_mov_b32 s46, 0
.LBB25_179:                             ;   in Loop: Header=BB25_13 Depth=1
	s_or_saveexec_b64 s[44:45], s[8:9]
	v_mov_b32_e32 v20, s46
	v_mov_b32_e32 v21, s46
	s_xor_b64 exec, exec, s[44:45]
	s_cbranch_execz .LBB25_181
; %bb.180:                              ;   in Loop: Header=BB25_13 Depth=1
	v_readlane_b32 s46, v253, 15
	v_mul_hi_u32 v20, s46, v117
	v_readlane_b32 s47, v253, 16
	v_add_u32_e32 v20, v117, v20
	v_lshrrev_b32_e32 v20, s47, v20
	v_mul_lo_u32 v20, v20, s56
	v_sub_u32_e32 v20, v117, v20
	v_mad_i64_i32 v[20:21], s[8:9], v20, s92, 0
	v_lshlrev_b64 v[20:21], 1, v[20:21]
	v_add_co_u32_e64 v20, s[8:9], v18, v20
	v_addc_co_u32_e64 v21, s[8:9], v19, v21, s[8:9]
	flat_load_ushort v22, v[20:21]
	v_mul_hi_u32 v20, s46, v116
	v_add_u32_e32 v20, v116, v20
	v_lshrrev_b32_e32 v20, s47, v20
	v_mul_lo_u32 v20, v20, s56
	v_sub_u32_e32 v20, v116, v20
	v_mad_i64_i32 v[20:21], s[8:9], v20, s92, 0
	v_lshlrev_b64 v[20:21], 1, v[20:21]
	v_add_co_u32_e64 v20, s[8:9], v18, v20
	v_addc_co_u32_e64 v21, s[8:9], v19, v21, s[8:9]
	flat_load_ushort v20, v[20:21]
	s_waitcnt vmcnt(0) lgkmcnt(0)
	ds_write_b16 v235, v22 offset:17408
	ds_write_b16 v236, v20 offset:17408
	v_mul_hi_u32 v20, s46, v79
	v_add_u32_e32 v20, v79, v20
	v_lshrrev_b32_e32 v20, s47, v20
	v_mul_lo_u32 v20, v20, s56
	v_sub_u32_e32 v20, v79, v20
	v_mad_i64_i32 v[20:21], s[8:9], v20, s92, 0
	v_lshlrev_b64 v[20:21], 1, v[20:21]
	v_add_co_u32_e64 v20, s[8:9], v18, v20
	v_addc_co_u32_e64 v21, s[8:9], v19, v21, s[8:9]
	flat_load_ushort v20, v[20:21]
	v_mul_hi_u32 v21, s46, v59
	v_add_u32_e32 v21, v59, v21
	v_lshrrev_b32_e32 v21, s47, v21
	v_mul_lo_u32 v21, v21, s56
	v_sub_u32_e32 v21, v59, v21
	v_mad_i64_i32 v[22:23], s[8:9], v21, s92, 0
	v_lshlrev_b64 v[22:23], 1, v[22:23]
	v_add_co_u32_e64 v22, s[8:9], v18, v22
	v_addc_co_u32_e64 v23, s[8:9], v19, v23, s[8:9]
	flat_load_ushort v21, v[22:23]
.LBB25_181:                             ;   in Loop: Header=BB25_13 Depth=1
	s_or_b64 exec, exec, s[44:45]
	s_waitcnt vmcnt(0) lgkmcnt(0)
	ds_write_b16 v237, v20 offset:17408
	ds_write_b16 v238, v21 offset:17408
                                        ; implicit-def: $sgpr44
	s_and_saveexec_b64 s[8:9], vcc
	s_xor_b64 s[8:9], exec, s[8:9]
	s_cbranch_execz .LBB25_183
; %bb.182:                              ;   in Loop: Header=BB25_13 Depth=1
	ds_write_b16 v239, v227 offset:17408
	ds_write_b16 v240, v227 offset:17408
	s_mov_b32 s44, 0
                                        ; implicit-def: $vgpr18
                                        ; implicit-def: $vgpr19
.LBB25_183:                             ;   in Loop: Header=BB25_13 Depth=1
	s_or_saveexec_b64 s[8:9], s[8:9]
	v_mov_b32_e32 v20, s44
	v_mov_b32_e32 v21, s44
	s_xor_b64 exec, exec, s[8:9]
	s_cbranch_execz .LBB25_185
; %bb.184:                              ;   in Loop: Header=BB25_13 Depth=1
	v_readlane_b32 s46, v253, 15
	v_mul_hi_u32 v20, s46, v57
	v_readlane_b32 s47, v253, 16
	v_add_u32_e32 v20, v57, v20
	v_lshrrev_b32_e32 v20, s47, v20
	v_mul_lo_u32 v20, v20, s56
	v_sub_u32_e32 v20, v57, v20
	v_mad_i64_i32 v[20:21], s[44:45], v20, s92, 0
	v_lshlrev_b64 v[20:21], 1, v[20:21]
	v_add_co_u32_e32 v20, vcc, v18, v20
	v_addc_co_u32_e32 v21, vcc, v19, v21, vcc
	flat_load_ushort v22, v[20:21]
	v_mul_hi_u32 v20, s46, v55
	v_add_u32_e32 v20, v55, v20
	v_lshrrev_b32_e32 v20, s47, v20
	v_mul_lo_u32 v20, v20, s56
	v_sub_u32_e32 v20, v55, v20
	v_mad_i64_i32 v[20:21], s[44:45], v20, s92, 0
	v_lshlrev_b64 v[20:21], 1, v[20:21]
	v_add_co_u32_e32 v20, vcc, v18, v20
	v_addc_co_u32_e32 v21, vcc, v19, v21, vcc
	flat_load_ushort v20, v[20:21]
	s_waitcnt vmcnt(0) lgkmcnt(0)
	ds_write_b16 v239, v22 offset:17408
	ds_write_b16 v240, v20 offset:17408
	v_mul_hi_u32 v20, s46, v1
	v_add_u32_e32 v20, v1, v20
	v_lshrrev_b32_e32 v20, s47, v20
	v_mul_lo_u32 v20, v20, s56
	v_sub_u32_e32 v20, v1, v20
	v_mad_i64_i32 v[20:21], s[44:45], v20, s92, 0
	v_lshlrev_b64 v[20:21], 1, v[20:21]
	v_add_co_u32_e32 v20, vcc, v18, v20
	v_addc_co_u32_e32 v21, vcc, v19, v21, vcc
	flat_load_ushort v20, v[20:21]
	v_mul_hi_u32 v21, s46, v214
	v_add_u32_e32 v21, v214, v21
	v_lshrrev_b32_e32 v21, s47, v21
	v_mul_lo_u32 v21, v21, s56
	v_sub_u32_e32 v21, v214, v21
	v_mad_i64_i32 v[22:23], s[44:45], v21, s92, 0
	v_lshlrev_b64 v[22:23], 1, v[22:23]
	v_add_co_u32_e32 v18, vcc, v18, v22
	v_addc_co_u32_e32 v19, vcc, v19, v23, vcc
	flat_load_ushort v21, v[18:19]
.LBB25_185:                             ;   in Loop: Header=BB25_13 Depth=1
	s_or_b64 exec, exec, s[8:9]
	s_waitcnt vmcnt(0) lgkmcnt(0)
	ds_write_b16 v241, v20 offset:17408
	ds_write_b16 v242, v21 offset:17408
.LBB25_186:                             ;   in Loop: Header=BB25_13 Depth=1
	s_mul_hi_i32 s9, s60, s96
	s_mul_i32 s8, s60, s96
	s_lshl_b64 s[8:9], s[8:9], 2
	s_add_u32 s8, s57, s8
	s_addc_u32 s9, s76, s9
	v_mov_b32_e32 v18, s9
	v_add_co_u32_e32 v19, vcc, s8, v70
	v_addc_co_u32_e32 v18, vcc, v18, v71, vcc
	v_lshlrev_b32_e32 v36, 2, v58
	s_mov_b64 s[44:45], src_private_base
	v_add_co_u32_e32 v20, vcc, v19, v36
	s_mov_b32 s44, 0
	v_addc_co_u32_e32 v18, vcc, 0, v18, vcc
	v_mov_b32_e32 v24, s45
	v_cmp_gt_i32_e64 s[76:77], s66, v152
	v_mov_b32_e32 v25, s44
	buffer_store_dword v227, off, s[0:3], 0
	buffer_store_dword v227, off, s[0:3], 0 offset:4
	buffer_store_dword v227, off, s[0:3], 0 offset:8
	;; [unrolled: 1-line block ×3, first 2 shown]
	v_cndmask_b32_e64 v19, v24, v18, s[76:77]
	v_cndmask_b32_e64 v18, v25, v20, s[76:77]
	flat_load_dwordx4 v[18:21], v[18:19]
	v_mov_b32_e32 v22, s9
	v_add_co_u32_e32 v23, vcc, s8, v72
	v_addc_co_u32_e32 v22, vcc, v22, v73, vcc
	v_add_co_u32_e32 v26, vcc, v23, v36
	v_add_u32_e32 v23, 16, v152
	v_addc_co_u32_e32 v22, vcc, 0, v22, vcc
	v_cmp_gt_i32_e64 s[78:79], s66, v23
	v_cndmask_b32_e64 v23, v24, v22, s[78:79]
	v_cndmask_b32_e64 v22, v25, v26, s[78:79]
	v_add_u32_e32 v37, 0x1000, v154
	v_add_u32_e32 v60, 0x2000, v154
	;; [unrolled: 1-line block ×3, first 2 shown]
	s_waitcnt vmcnt(0) lgkmcnt(0)
	ds_write_b128 v153, v[18:21]
	flat_load_dwordx4 v[18:21], v[22:23]
	v_mov_b32_e32 v22, s9
	v_add_co_u32_e32 v23, vcc, s8, v74
	v_addc_co_u32_e32 v22, vcc, v22, v75, vcc
	v_add_co_u32_e32 v26, vcc, v23, v36
	v_add_u32_e32 v23, 32, v152
	v_addc_co_u32_e32 v22, vcc, 0, v22, vcc
	v_cmp_gt_i32_e64 s[80:81], s66, v23
	v_cndmask_b32_e64 v23, v24, v22, s[80:81]
	v_cndmask_b32_e64 v22, v25, v26, s[80:81]
	s_waitcnt vmcnt(0) lgkmcnt(0)
	ds_write_b128 v244, v[18:21]
	flat_load_dwordx4 v[18:21], v[22:23]
	v_mov_b32_e32 v22, s9
	v_add_co_u32_e32 v23, vcc, s8, v76
	v_addc_co_u32_e32 v22, vcc, v22, v77, vcc
	v_add_co_u32_e32 v26, vcc, v23, v36
	v_add_u32_e32 v23, 48, v152
	v_addc_co_u32_e32 v22, vcc, 0, v22, vcc
	v_cmp_gt_i32_e64 s[82:83], s66, v23
	v_cndmask_b32_e64 v23, v24, v22, s[82:83]
	v_cndmask_b32_e64 v22, v25, v26, s[82:83]
	s_waitcnt vmcnt(0) lgkmcnt(0)
	ds_write_b128 v246, v[18:21]
	flat_load_dwordx4 v[18:21], v[22:23]
	s_waitcnt vmcnt(0) lgkmcnt(0)
	ds_write_b128 v248, v[18:21]
	s_waitcnt lgkmcnt(0)
	s_barrier
	ds_read2_b64 v[18:21], v154 offset1:4
	ds_read2_b64 v[26:29], v37 offset0:32 offset1:36
	ds_read2_b64 v[38:41], v60 offset0:64 offset1:68
	;; [unrolled: 1-line block ×3, first 2 shown]
	s_waitcnt lgkmcnt(3)
	v_mfma_f32_16x16x16f16 v[22:25], v[18:19], v[14:15], 0
	s_waitcnt lgkmcnt(2)
	v_mfma_f32_16x16x16f16 v[30:33], v[26:27], v[14:15], 0
	;; [unrolled: 2-line block ×4, first 2 shown]
	v_mfma_f32_16x16x16f16 v[18:21], v[20:21], v[16:17], v[22:25]
	v_mfma_f32_16x16x16f16 v[22:25], v[28:29], v[16:17], v[30:33]
	v_mfma_f32_16x16x16f16 v[26:29], v[40:41], v[16:17], v[42:45]
	s_nop 5
	ds_read2_b64 v[30:33], v154 offset0:8 offset1:12
	ds_read2_b64 v[38:41], v37 offset0:40 offset1:44
	v_mfma_f32_16x16x16f16 v[14:17], v[48:49], v[16:17], v[50:53]
	ds_read2_b64 v[42:45], v60 offset0:72 offset1:76
	ds_read2_b64 v[46:49], v61 offset0:104 offset1:108
	s_waitcnt lgkmcnt(3)
	v_mfma_f32_16x16x16f16 v[18:21], v[30:31], v[10:11], v[18:21]
	s_waitcnt lgkmcnt(2)
	v_mfma_f32_16x16x16f16 v[22:25], v[38:39], v[10:11], v[22:25]
	;; [unrolled: 2-line block ×4, first 2 shown]
	v_mfma_f32_16x16x16f16 v[18:21], v[32:33], v[12:13], v[18:21]
	ds_read2_b64 v[30:33], v37 offset0:48 offset1:52
	v_mfma_f32_16x16x16f16 v[22:25], v[40:41], v[12:13], v[22:25]
	ds_read2_b64 v[38:41], v60 offset0:80 offset1:84
	;; [unrolled: 2-line block ×3, first 2 shown]
	v_mfma_f32_16x16x16f16 v[10:13], v[48:49], v[12:13], v[14:17]
	s_nop 6
	ds_read2_b64 v[14:17], v154 offset0:16 offset1:20
	s_waitcnt lgkmcnt(0)
	v_mfma_f32_16x16x16f16 v[18:21], v[14:15], v[6:7], v[18:21]
	v_mfma_f32_16x16x16f16 v[22:25], v[30:31], v[6:7], v[22:25]
	;; [unrolled: 1-line block ×6, first 2 shown]
	ds_read2_b64 v[30:33], v60 offset0:88 offset1:92
	v_mfma_f32_16x16x16f16 v[22:25], v[40:41], v[8:9], v[26:29]
	ds_read2_b64 v[38:41], v61 offset0:120 offset1:124
	v_mfma_f32_16x16x16f16 v[6:9], v[44:45], v[8:9], v[10:13]
	s_nop 4
	ds_read2_b64 v[26:29], v37 offset0:56 offset1:60
	s_nop 0
	ds_read2_b64 v[10:13], v154 offset0:24 offset1:28
	s_waitcnt lgkmcnt(0)
	v_mfma_f32_16x16x16f16 v[14:17], v[10:11], v[2:3], v[14:17]
	s_barrier
	v_mfma_f32_16x16x16f16 v[18:21], v[26:27], v[2:3], v[18:21]
	v_mfma_f32_16x16x16f16 v[22:25], v[30:31], v[2:3], v[22:25]
	;; [unrolled: 1-line block ×5, first 2 shown]
	s_nop 7
	s_nop 1
	v_cmp_nlt_f32_e64 s[8:9], |v6|, s71
                                        ; implicit-def: $vgpr21
	v_mfma_f32_16x16x16f16 v[14:17], v[32:33], v[4:5], v[22:25]
	v_mfma_f32_16x16x16f16 v[2:5], v[40:41], v[4:5], v[42:45]
	s_and_saveexec_b64 s[44:45], s[8:9]
	s_xor_b64 s[8:9], exec, s[44:45]
	s_cbranch_execz .LBB25_188
; %bb.187:                              ;   in Loop: Header=BB25_13 Depth=1
	v_add_f32_e64 v18, |v6|, |v6|
	v_mul_f32_e32 v19, 0x3fb8aa3b, v18
	v_rndne_f32_e32 v20, v19
	v_sub_f32_e32 v21, v19, v20
	v_fma_f32 v19, v18, s75, -v19
	v_fmac_f32_e32 v19, 0x32a5705f, v18
	v_add_f32_e32 v19, v21, v19
	v_cvt_i32_f32_e32 v20, v20
	v_exp_f32_e32 v19, v19
	v_cmp_ngt_f32_e32 vcc, s74, v18
	v_ldexp_f32 v19, v19, v20
	v_cndmask_b32_e32 v19, 0, v19, vcc
	v_cmp_nlt_f32_e32 vcc, s65, v18
	v_cndmask_b32_e32 v18, v212, v19, vcc
	v_add_f32_e32 v18, 1.0, v18
	v_rcp_f32_e32 v18, v18
	v_fma_f32 v21, v18, -2.0, 1.0
.LBB25_188:                             ;   in Loop: Header=BB25_13 Depth=1
	s_andn2_saveexec_b64 s[8:9], s[8:9]
; %bb.189:                              ;   in Loop: Header=BB25_13 Depth=1
	v_mul_f32_e32 v18, v6, v6
	v_mov_b32_e32 v19, 0x3ca908c9
	v_fmac_f32_e32 v19, 0xbbbac73d, v18
	v_fma_f32 v19, v18, v19, v209
	v_fma_f32 v19, v18, v19, v210
	;; [unrolled: 1-line block ×3, first 2 shown]
	v_mul_f32_e64 v19, |v6|, v19
	v_fma_f32 v21, v18, v19, |v6|
; %bb.190:                              ;   in Loop: Header=BB25_13 Depth=1
	s_or_b64 exec, exec, s[8:9]
	v_cmp_nlt_f32_e64 s[8:9], |v7|, s71
                                        ; implicit-def: $vgpr31
	s_and_saveexec_b64 s[44:45], s[8:9]
	s_xor_b64 s[8:9], exec, s[44:45]
	s_cbranch_execz .LBB25_192
; %bb.191:                              ;   in Loop: Header=BB25_13 Depth=1
	v_add_f32_e64 v18, |v7|, |v7|
	v_mul_f32_e32 v19, 0x3fb8aa3b, v18
	v_rndne_f32_e32 v20, v19
	v_sub_f32_e32 v22, v19, v20
	v_fma_f32 v19, v18, s75, -v19
	v_fmac_f32_e32 v19, 0x32a5705f, v18
	v_add_f32_e32 v19, v22, v19
	v_cvt_i32_f32_e32 v20, v20
	v_exp_f32_e32 v19, v19
	v_cmp_ngt_f32_e32 vcc, s74, v18
	v_ldexp_f32 v19, v19, v20
	v_cndmask_b32_e32 v19, 0, v19, vcc
	v_cmp_nlt_f32_e32 vcc, s65, v18
	v_cndmask_b32_e32 v18, v212, v19, vcc
	v_add_f32_e32 v18, 1.0, v18
	v_rcp_f32_e32 v18, v18
	v_fma_f32 v31, v18, -2.0, 1.0
.LBB25_192:                             ;   in Loop: Header=BB25_13 Depth=1
	s_andn2_saveexec_b64 s[8:9], s[8:9]
; %bb.193:                              ;   in Loop: Header=BB25_13 Depth=1
	v_mul_f32_e32 v18, v7, v7
	v_mov_b32_e32 v19, 0x3ca908c9
	v_fmac_f32_e32 v19, 0xbbbac73d, v18
	v_fma_f32 v19, v18, v19, v209
	v_fma_f32 v19, v18, v19, v210
	;; [unrolled: 1-line block ×3, first 2 shown]
	v_mul_f32_e64 v19, |v7|, v19
	v_fma_f32 v31, v18, v19, |v7|
; %bb.194:                              ;   in Loop: Header=BB25_13 Depth=1
	s_or_b64 exec, exec, s[8:9]
	v_cmp_nlt_f32_e64 s[8:9], |v8|, s71
                                        ; implicit-def: $vgpr32
	s_and_saveexec_b64 s[44:45], s[8:9]
	s_xor_b64 s[8:9], exec, s[44:45]
	s_cbranch_execz .LBB25_196
; %bb.195:                              ;   in Loop: Header=BB25_13 Depth=1
	v_add_f32_e64 v18, |v8|, |v8|
	v_mul_f32_e32 v19, 0x3fb8aa3b, v18
	v_rndne_f32_e32 v20, v19
	v_sub_f32_e32 v22, v19, v20
	v_fma_f32 v19, v18, s75, -v19
	v_fmac_f32_e32 v19, 0x32a5705f, v18
	v_add_f32_e32 v19, v22, v19
	v_cvt_i32_f32_e32 v20, v20
	v_exp_f32_e32 v19, v19
	v_cmp_ngt_f32_e32 vcc, s74, v18
	v_ldexp_f32 v19, v19, v20
	v_cndmask_b32_e32 v19, 0, v19, vcc
	v_cmp_nlt_f32_e32 vcc, s65, v18
	v_cndmask_b32_e32 v18, v212, v19, vcc
	v_add_f32_e32 v18, 1.0, v18
	v_rcp_f32_e32 v18, v18
	v_fma_f32 v32, v18, -2.0, 1.0
.LBB25_196:                             ;   in Loop: Header=BB25_13 Depth=1
	s_andn2_saveexec_b64 s[8:9], s[8:9]
; %bb.197:                              ;   in Loop: Header=BB25_13 Depth=1
	v_mul_f32_e32 v18, v8, v8
	v_mov_b32_e32 v19, 0x3ca908c9
	v_fmac_f32_e32 v19, 0xbbbac73d, v18
	v_fma_f32 v19, v18, v19, v209
	v_fma_f32 v19, v18, v19, v210
	v_fma_f32 v19, v18, v19, v211
	v_mul_f32_e64 v19, |v8|, v19
	v_fma_f32 v32, v18, v19, |v8|
; %bb.198:                              ;   in Loop: Header=BB25_13 Depth=1
	s_or_b64 exec, exec, s[8:9]
	v_cmp_nlt_f32_e64 s[8:9], |v9|, s71
                                        ; implicit-def: $vgpr33
	s_and_saveexec_b64 s[44:45], s[8:9]
	s_xor_b64 s[8:9], exec, s[44:45]
	s_cbranch_execz .LBB25_200
; %bb.199:                              ;   in Loop: Header=BB25_13 Depth=1
	v_add_f32_e64 v18, |v9|, |v9|
	v_mul_f32_e32 v19, 0x3fb8aa3b, v18
	v_rndne_f32_e32 v20, v19
	v_sub_f32_e32 v22, v19, v20
	v_fma_f32 v19, v18, s75, -v19
	v_fmac_f32_e32 v19, 0x32a5705f, v18
	v_add_f32_e32 v19, v22, v19
	v_cvt_i32_f32_e32 v20, v20
	v_exp_f32_e32 v19, v19
	v_cmp_ngt_f32_e32 vcc, s74, v18
	v_ldexp_f32 v19, v19, v20
	v_cndmask_b32_e32 v19, 0, v19, vcc
	v_cmp_nlt_f32_e32 vcc, s65, v18
	v_cndmask_b32_e32 v18, v212, v19, vcc
	v_add_f32_e32 v18, 1.0, v18
	v_rcp_f32_e32 v18, v18
	v_fma_f32 v33, v18, -2.0, 1.0
.LBB25_200:                             ;   in Loop: Header=BB25_13 Depth=1
	s_andn2_saveexec_b64 s[8:9], s[8:9]
; %bb.201:                              ;   in Loop: Header=BB25_13 Depth=1
	v_mul_f32_e32 v18, v9, v9
	v_mov_b32_e32 v19, 0x3ca908c9
	v_fmac_f32_e32 v19, 0xbbbac73d, v18
	v_fma_f32 v19, v18, v19, v209
	v_fma_f32 v19, v18, v19, v210
	;; [unrolled: 1-line block ×3, first 2 shown]
	v_mul_f32_e64 v19, |v9|, v19
	v_fma_f32 v33, v18, v19, |v9|
; %bb.202:                              ;   in Loop: Header=BB25_13 Depth=1
	s_or_b64 exec, exec, s[8:9]
	v_cmp_nlt_f32_e64 s[8:9], |v10|, s71
                                        ; implicit-def: $vgpr26
	s_and_saveexec_b64 s[44:45], s[8:9]
	s_xor_b64 s[8:9], exec, s[44:45]
	s_cbranch_execz .LBB25_204
; %bb.203:                              ;   in Loop: Header=BB25_13 Depth=1
	v_add_f32_e64 v18, |v10|, |v10|
	v_mul_f32_e32 v19, 0x3fb8aa3b, v18
	v_rndne_f32_e32 v20, v19
	v_sub_f32_e32 v22, v19, v20
	v_fma_f32 v19, v18, s75, -v19
	v_fmac_f32_e32 v19, 0x32a5705f, v18
	v_add_f32_e32 v19, v22, v19
	v_cvt_i32_f32_e32 v20, v20
	v_exp_f32_e32 v19, v19
	v_cmp_ngt_f32_e32 vcc, s74, v18
	v_ldexp_f32 v19, v19, v20
	v_cndmask_b32_e32 v19, 0, v19, vcc
	v_cmp_nlt_f32_e32 vcc, s65, v18
	v_cndmask_b32_e32 v18, v212, v19, vcc
	v_add_f32_e32 v18, 1.0, v18
	v_rcp_f32_e32 v18, v18
	v_fma_f32 v26, v18, -2.0, 1.0
.LBB25_204:                             ;   in Loop: Header=BB25_13 Depth=1
	s_andn2_saveexec_b64 s[8:9], s[8:9]
; %bb.205:                              ;   in Loop: Header=BB25_13 Depth=1
	v_mul_f32_e32 v18, v10, v10
	v_mov_b32_e32 v19, 0x3ca908c9
	v_fmac_f32_e32 v19, 0xbbbac73d, v18
	v_fma_f32 v19, v18, v19, v209
	v_fma_f32 v19, v18, v19, v210
	;; [unrolled: 1-line block ×3, first 2 shown]
	v_mul_f32_e64 v19, |v10|, v19
	v_fma_f32 v26, v18, v19, |v10|
; %bb.206:                              ;   in Loop: Header=BB25_13 Depth=1
	s_or_b64 exec, exec, s[8:9]
	v_cmp_nlt_f32_e64 s[8:9], |v11|, s71
                                        ; implicit-def: $vgpr27
	s_and_saveexec_b64 s[44:45], s[8:9]
	s_xor_b64 s[8:9], exec, s[44:45]
	s_cbranch_execz .LBB25_208
; %bb.207:                              ;   in Loop: Header=BB25_13 Depth=1
	v_add_f32_e64 v18, |v11|, |v11|
	v_mul_f32_e32 v19, 0x3fb8aa3b, v18
	v_rndne_f32_e32 v20, v19
	v_sub_f32_e32 v22, v19, v20
	v_fma_f32 v19, v18, s75, -v19
	v_fmac_f32_e32 v19, 0x32a5705f, v18
	v_add_f32_e32 v19, v22, v19
	v_cvt_i32_f32_e32 v20, v20
	v_exp_f32_e32 v19, v19
	v_cmp_ngt_f32_e32 vcc, s74, v18
	v_ldexp_f32 v19, v19, v20
	v_cndmask_b32_e32 v19, 0, v19, vcc
	v_cmp_nlt_f32_e32 vcc, s65, v18
	v_cndmask_b32_e32 v18, v212, v19, vcc
	v_add_f32_e32 v18, 1.0, v18
	v_rcp_f32_e32 v18, v18
	v_fma_f32 v27, v18, -2.0, 1.0
.LBB25_208:                             ;   in Loop: Header=BB25_13 Depth=1
	s_andn2_saveexec_b64 s[8:9], s[8:9]
; %bb.209:                              ;   in Loop: Header=BB25_13 Depth=1
	v_mul_f32_e32 v18, v11, v11
	v_mov_b32_e32 v19, 0x3ca908c9
	v_fmac_f32_e32 v19, 0xbbbac73d, v18
	v_fma_f32 v19, v18, v19, v209
	v_fma_f32 v19, v18, v19, v210
	;; [unrolled: 1-line block ×3, first 2 shown]
	v_mul_f32_e64 v19, |v11|, v19
	v_fma_f32 v27, v18, v19, |v11|
; %bb.210:                              ;   in Loop: Header=BB25_13 Depth=1
	s_or_b64 exec, exec, s[8:9]
	v_cmp_nlt_f32_e64 s[8:9], |v12|, s71
                                        ; implicit-def: $vgpr28
	s_and_saveexec_b64 s[44:45], s[8:9]
	s_xor_b64 s[8:9], exec, s[44:45]
	s_cbranch_execz .LBB25_212
; %bb.211:                              ;   in Loop: Header=BB25_13 Depth=1
	v_add_f32_e64 v18, |v12|, |v12|
	v_mul_f32_e32 v19, 0x3fb8aa3b, v18
	v_rndne_f32_e32 v20, v19
	v_sub_f32_e32 v22, v19, v20
	v_fma_f32 v19, v18, s75, -v19
	v_fmac_f32_e32 v19, 0x32a5705f, v18
	v_add_f32_e32 v19, v22, v19
	v_cvt_i32_f32_e32 v20, v20
	v_exp_f32_e32 v19, v19
	v_cmp_ngt_f32_e32 vcc, s74, v18
	v_ldexp_f32 v19, v19, v20
	v_cndmask_b32_e32 v19, 0, v19, vcc
	v_cmp_nlt_f32_e32 vcc, s65, v18
	v_cndmask_b32_e32 v18, v212, v19, vcc
	v_add_f32_e32 v18, 1.0, v18
	v_rcp_f32_e32 v18, v18
	v_fma_f32 v28, v18, -2.0, 1.0
.LBB25_212:                             ;   in Loop: Header=BB25_13 Depth=1
	s_andn2_saveexec_b64 s[8:9], s[8:9]
; %bb.213:                              ;   in Loop: Header=BB25_13 Depth=1
	v_mul_f32_e32 v18, v12, v12
	v_mov_b32_e32 v19, 0x3ca908c9
	v_fmac_f32_e32 v19, 0xbbbac73d, v18
	v_fma_f32 v19, v18, v19, v209
	v_fma_f32 v19, v18, v19, v210
	;; [unrolled: 1-line block ×3, first 2 shown]
	v_mul_f32_e64 v19, |v12|, v19
	v_fma_f32 v28, v18, v19, |v12|
; %bb.214:                              ;   in Loop: Header=BB25_13 Depth=1
	s_or_b64 exec, exec, s[8:9]
	v_cmp_nlt_f32_e64 s[8:9], |v13|, s71
                                        ; implicit-def: $vgpr29
	s_and_saveexec_b64 s[44:45], s[8:9]
	s_xor_b64 s[8:9], exec, s[44:45]
	s_cbranch_execz .LBB25_216
; %bb.215:                              ;   in Loop: Header=BB25_13 Depth=1
	v_add_f32_e64 v18, |v13|, |v13|
	v_mul_f32_e32 v19, 0x3fb8aa3b, v18
	v_rndne_f32_e32 v20, v19
	v_sub_f32_e32 v22, v19, v20
	v_fma_f32 v19, v18, s75, -v19
	v_fmac_f32_e32 v19, 0x32a5705f, v18
	v_add_f32_e32 v19, v22, v19
	v_cvt_i32_f32_e32 v20, v20
	v_exp_f32_e32 v19, v19
	v_cmp_ngt_f32_e32 vcc, s74, v18
	v_ldexp_f32 v19, v19, v20
	v_cndmask_b32_e32 v19, 0, v19, vcc
	v_cmp_nlt_f32_e32 vcc, s65, v18
	v_cndmask_b32_e32 v18, v212, v19, vcc
	v_add_f32_e32 v18, 1.0, v18
	v_rcp_f32_e32 v18, v18
	v_fma_f32 v29, v18, -2.0, 1.0
.LBB25_216:                             ;   in Loop: Header=BB25_13 Depth=1
	s_andn2_saveexec_b64 s[8:9], s[8:9]
; %bb.217:                              ;   in Loop: Header=BB25_13 Depth=1
	v_mul_f32_e32 v18, v13, v13
	v_mov_b32_e32 v19, 0x3ca908c9
	v_fmac_f32_e32 v19, 0xbbbac73d, v18
	v_fma_f32 v19, v18, v19, v209
	v_fma_f32 v19, v18, v19, v210
	;; [unrolled: 1-line block ×3, first 2 shown]
	v_mul_f32_e64 v19, |v13|, v19
	v_fma_f32 v29, v18, v19, |v13|
; %bb.218:                              ;   in Loop: Header=BB25_13 Depth=1
	s_or_b64 exec, exec, s[8:9]
	v_cmp_nlt_f32_e64 s[8:9], |v14|, s71
                                        ; implicit-def: $vgpr22
	s_and_saveexec_b64 s[44:45], s[8:9]
	s_xor_b64 s[8:9], exec, s[44:45]
	s_cbranch_execz .LBB25_220
; %bb.219:                              ;   in Loop: Header=BB25_13 Depth=1
	v_add_f32_e64 v18, |v14|, |v14|
	v_mul_f32_e32 v19, 0x3fb8aa3b, v18
	v_rndne_f32_e32 v20, v19
	v_sub_f32_e32 v22, v19, v20
	v_fma_f32 v19, v18, s75, -v19
	v_fmac_f32_e32 v19, 0x32a5705f, v18
	v_add_f32_e32 v19, v22, v19
	v_cvt_i32_f32_e32 v20, v20
	v_exp_f32_e32 v19, v19
	v_cmp_ngt_f32_e32 vcc, s74, v18
	v_ldexp_f32 v19, v19, v20
	v_cndmask_b32_e32 v19, 0, v19, vcc
	v_cmp_nlt_f32_e32 vcc, s65, v18
	v_cndmask_b32_e32 v18, v212, v19, vcc
	v_add_f32_e32 v18, 1.0, v18
	v_rcp_f32_e32 v18, v18
	v_fma_f32 v22, v18, -2.0, 1.0
.LBB25_220:                             ;   in Loop: Header=BB25_13 Depth=1
	s_andn2_saveexec_b64 s[8:9], s[8:9]
; %bb.221:                              ;   in Loop: Header=BB25_13 Depth=1
	v_mul_f32_e32 v18, v14, v14
	v_mov_b32_e32 v19, 0x3ca908c9
	v_fmac_f32_e32 v19, 0xbbbac73d, v18
	v_fma_f32 v19, v18, v19, v209
	v_fma_f32 v19, v18, v19, v210
	;; [unrolled: 1-line block ×3, first 2 shown]
	v_mul_f32_e64 v19, |v14|, v19
	v_fma_f32 v22, v18, v19, |v14|
; %bb.222:                              ;   in Loop: Header=BB25_13 Depth=1
	s_or_b64 exec, exec, s[8:9]
	v_cmp_nlt_f32_e64 s[8:9], |v15|, s71
                                        ; implicit-def: $vgpr23
	s_and_saveexec_b64 s[44:45], s[8:9]
	s_xor_b64 s[8:9], exec, s[44:45]
	s_cbranch_execz .LBB25_224
; %bb.223:                              ;   in Loop: Header=BB25_13 Depth=1
	v_add_f32_e64 v18, |v15|, |v15|
	v_mul_f32_e32 v19, 0x3fb8aa3b, v18
	v_rndne_f32_e32 v20, v19
	v_sub_f32_e32 v23, v19, v20
	v_fma_f32 v19, v18, s75, -v19
	v_fmac_f32_e32 v19, 0x32a5705f, v18
	v_add_f32_e32 v19, v23, v19
	v_cvt_i32_f32_e32 v20, v20
	v_exp_f32_e32 v19, v19
	v_cmp_ngt_f32_e32 vcc, s74, v18
	v_ldexp_f32 v19, v19, v20
	v_cndmask_b32_e32 v19, 0, v19, vcc
	v_cmp_nlt_f32_e32 vcc, s65, v18
	v_cndmask_b32_e32 v18, v212, v19, vcc
	v_add_f32_e32 v18, 1.0, v18
	v_rcp_f32_e32 v18, v18
	v_fma_f32 v23, v18, -2.0, 1.0
.LBB25_224:                             ;   in Loop: Header=BB25_13 Depth=1
	s_andn2_saveexec_b64 s[8:9], s[8:9]
; %bb.225:                              ;   in Loop: Header=BB25_13 Depth=1
	v_mul_f32_e32 v18, v15, v15
	v_mov_b32_e32 v19, 0x3ca908c9
	v_fmac_f32_e32 v19, 0xbbbac73d, v18
	v_fma_f32 v19, v18, v19, v209
	v_fma_f32 v19, v18, v19, v210
	;; [unrolled: 1-line block ×3, first 2 shown]
	v_mul_f32_e64 v19, |v15|, v19
	v_fma_f32 v23, v18, v19, |v15|
; %bb.226:                              ;   in Loop: Header=BB25_13 Depth=1
	s_or_b64 exec, exec, s[8:9]
	v_cmp_nlt_f32_e64 s[8:9], |v16|, s71
                                        ; implicit-def: $vgpr24
	s_and_saveexec_b64 s[44:45], s[8:9]
	s_xor_b64 s[8:9], exec, s[44:45]
	s_cbranch_execz .LBB25_228
; %bb.227:                              ;   in Loop: Header=BB25_13 Depth=1
	v_add_f32_e64 v18, |v16|, |v16|
	v_mul_f32_e32 v19, 0x3fb8aa3b, v18
	v_rndne_f32_e32 v20, v19
	v_sub_f32_e32 v24, v19, v20
	v_fma_f32 v19, v18, s75, -v19
	v_fmac_f32_e32 v19, 0x32a5705f, v18
	v_add_f32_e32 v19, v24, v19
	v_cvt_i32_f32_e32 v20, v20
	v_exp_f32_e32 v19, v19
	v_cmp_ngt_f32_e32 vcc, s74, v18
	v_ldexp_f32 v19, v19, v20
	v_cndmask_b32_e32 v19, 0, v19, vcc
	v_cmp_nlt_f32_e32 vcc, s65, v18
	v_cndmask_b32_e32 v18, v212, v19, vcc
	v_add_f32_e32 v18, 1.0, v18
	v_rcp_f32_e32 v18, v18
	v_fma_f32 v24, v18, -2.0, 1.0
.LBB25_228:                             ;   in Loop: Header=BB25_13 Depth=1
	s_andn2_saveexec_b64 s[8:9], s[8:9]
; %bb.229:                              ;   in Loop: Header=BB25_13 Depth=1
	v_mul_f32_e32 v18, v16, v16
	v_mov_b32_e32 v19, 0x3ca908c9
	v_fmac_f32_e32 v19, 0xbbbac73d, v18
	v_fma_f32 v19, v18, v19, v209
	v_fma_f32 v19, v18, v19, v210
	;; [unrolled: 1-line block ×3, first 2 shown]
	v_mul_f32_e64 v19, |v16|, v19
	v_fma_f32 v24, v18, v19, |v16|
; %bb.230:                              ;   in Loop: Header=BB25_13 Depth=1
	s_or_b64 exec, exec, s[8:9]
	v_cmp_nlt_f32_e64 s[8:9], |v17|, s71
                                        ; implicit-def: $vgpr25
	s_and_saveexec_b64 s[44:45], s[8:9]
	s_xor_b64 s[8:9], exec, s[44:45]
	s_cbranch_execz .LBB25_232
; %bb.231:                              ;   in Loop: Header=BB25_13 Depth=1
	v_add_f32_e64 v18, |v17|, |v17|
	v_mul_f32_e32 v19, 0x3fb8aa3b, v18
	v_rndne_f32_e32 v20, v19
	v_sub_f32_e32 v25, v19, v20
	v_fma_f32 v19, v18, s75, -v19
	v_fmac_f32_e32 v19, 0x32a5705f, v18
	v_add_f32_e32 v19, v25, v19
	v_cvt_i32_f32_e32 v20, v20
	v_exp_f32_e32 v19, v19
	v_cmp_ngt_f32_e32 vcc, s74, v18
	v_ldexp_f32 v19, v19, v20
	v_cndmask_b32_e32 v19, 0, v19, vcc
	v_cmp_nlt_f32_e32 vcc, s65, v18
	v_cndmask_b32_e32 v18, v212, v19, vcc
	v_add_f32_e32 v18, 1.0, v18
	v_rcp_f32_e32 v18, v18
	v_fma_f32 v25, v18, -2.0, 1.0
.LBB25_232:                             ;   in Loop: Header=BB25_13 Depth=1
	s_andn2_saveexec_b64 s[8:9], s[8:9]
; %bb.233:                              ;   in Loop: Header=BB25_13 Depth=1
	v_mul_f32_e32 v18, v17, v17
	v_mov_b32_e32 v19, 0x3ca908c9
	v_fmac_f32_e32 v19, 0xbbbac73d, v18
	v_fma_f32 v19, v18, v19, v209
	v_fma_f32 v19, v18, v19, v210
	;; [unrolled: 1-line block ×3, first 2 shown]
	v_mul_f32_e64 v19, |v17|, v19
	v_fma_f32 v25, v18, v19, |v17|
; %bb.234:                              ;   in Loop: Header=BB25_13 Depth=1
	s_or_b64 exec, exec, s[8:9]
	v_cmp_nlt_f32_e64 s[8:9], |v2|, s71
                                        ; implicit-def: $vgpr18
	s_and_saveexec_b64 s[44:45], s[8:9]
	s_xor_b64 s[8:9], exec, s[44:45]
	s_cbranch_execz .LBB25_236
; %bb.235:                              ;   in Loop: Header=BB25_13 Depth=1
	v_add_f32_e64 v18, |v2|, |v2|
	v_mul_f32_e32 v19, 0x3fb8aa3b, v18
	v_rndne_f32_e32 v20, v19
	v_sub_f32_e32 v30, v19, v20
	v_fma_f32 v19, v18, s75, -v19
	v_fmac_f32_e32 v19, 0x32a5705f, v18
	v_add_f32_e32 v19, v30, v19
	v_cvt_i32_f32_e32 v20, v20
	v_exp_f32_e32 v19, v19
	v_cmp_ngt_f32_e32 vcc, s74, v18
	v_ldexp_f32 v19, v19, v20
	v_cndmask_b32_e32 v19, 0, v19, vcc
	v_cmp_nlt_f32_e32 vcc, s65, v18
	v_cndmask_b32_e32 v18, v212, v19, vcc
	v_add_f32_e32 v18, 1.0, v18
	v_rcp_f32_e32 v18, v18
	v_fma_f32 v18, v18, -2.0, 1.0
.LBB25_236:                             ;   in Loop: Header=BB25_13 Depth=1
	s_andn2_saveexec_b64 s[8:9], s[8:9]
; %bb.237:                              ;   in Loop: Header=BB25_13 Depth=1
	v_mul_f32_e32 v18, v2, v2
	v_mov_b32_e32 v19, 0x3ca908c9
	v_fmac_f32_e32 v19, 0xbbbac73d, v18
	v_fma_f32 v19, v18, v19, v209
	v_fma_f32 v19, v18, v19, v210
	;; [unrolled: 1-line block ×3, first 2 shown]
	v_mul_f32_e64 v19, |v2|, v19
	v_fma_f32 v18, v18, v19, |v2|
; %bb.238:                              ;   in Loop: Header=BB25_13 Depth=1
	s_or_b64 exec, exec, s[8:9]
	v_cmp_nlt_f32_e64 s[8:9], |v3|, s71
                                        ; implicit-def: $vgpr19
	s_and_saveexec_b64 s[44:45], s[8:9]
	s_xor_b64 s[8:9], exec, s[44:45]
	s_cbranch_execz .LBB25_240
; %bb.239:                              ;   in Loop: Header=BB25_13 Depth=1
	v_add_f32_e64 v19, |v3|, |v3|
	v_mul_f32_e32 v20, 0x3fb8aa3b, v19
	v_rndne_f32_e32 v30, v20
	v_sub_f32_e32 v37, v20, v30
	v_fma_f32 v20, v19, s75, -v20
	v_fmac_f32_e32 v20, 0x32a5705f, v19
	v_add_f32_e32 v20, v37, v20
	v_cvt_i32_f32_e32 v30, v30
	v_exp_f32_e32 v20, v20
	v_cmp_ngt_f32_e32 vcc, s74, v19
	v_ldexp_f32 v20, v20, v30
	v_cndmask_b32_e32 v20, 0, v20, vcc
	v_cmp_nlt_f32_e32 vcc, s65, v19
	v_cndmask_b32_e32 v19, v212, v20, vcc
	v_add_f32_e32 v19, 1.0, v19
	v_rcp_f32_e32 v19, v19
	v_fma_f32 v19, v19, -2.0, 1.0
.LBB25_240:                             ;   in Loop: Header=BB25_13 Depth=1
	s_andn2_saveexec_b64 s[8:9], s[8:9]
; %bb.241:                              ;   in Loop: Header=BB25_13 Depth=1
	v_mul_f32_e32 v19, v3, v3
	v_mov_b32_e32 v20, 0x3ca908c9
	v_fmac_f32_e32 v20, 0xbbbac73d, v19
	v_fma_f32 v20, v19, v20, v209
	v_fma_f32 v20, v19, v20, v210
	;; [unrolled: 1-line block ×3, first 2 shown]
	v_mul_f32_e64 v20, |v3|, v20
	v_fma_f32 v19, v19, v20, |v3|
; %bb.242:                              ;   in Loop: Header=BB25_13 Depth=1
	s_or_b64 exec, exec, s[8:9]
	v_cmp_nlt_f32_e64 s[8:9], |v4|, s71
                                        ; implicit-def: $vgpr20
	s_and_saveexec_b64 s[44:45], s[8:9]
	s_xor_b64 s[8:9], exec, s[44:45]
	s_cbranch_execz .LBB25_244
; %bb.243:                              ;   in Loop: Header=BB25_13 Depth=1
	v_add_f32_e64 v20, |v4|, |v4|
	v_mul_f32_e32 v30, 0x3fb8aa3b, v20
	v_rndne_f32_e32 v37, v30
	v_sub_f32_e32 v38, v30, v37
	v_fma_f32 v30, v20, s75, -v30
	v_fmac_f32_e32 v30, 0x32a5705f, v20
	v_add_f32_e32 v30, v38, v30
	v_cvt_i32_f32_e32 v37, v37
	v_exp_f32_e32 v30, v30
	v_cmp_ngt_f32_e32 vcc, s74, v20
	v_ldexp_f32 v30, v30, v37
	v_cndmask_b32_e32 v30, 0, v30, vcc
	v_cmp_nlt_f32_e32 vcc, s65, v20
	v_cndmask_b32_e32 v20, v212, v30, vcc
	v_add_f32_e32 v20, 1.0, v20
	v_rcp_f32_e32 v20, v20
	v_fma_f32 v20, v20, -2.0, 1.0
.LBB25_244:                             ;   in Loop: Header=BB25_13 Depth=1
	s_andn2_saveexec_b64 s[8:9], s[8:9]
; %bb.245:                              ;   in Loop: Header=BB25_13 Depth=1
	v_mul_f32_e32 v20, v4, v4
	v_mov_b32_e32 v30, 0x3ca908c9
	v_fmac_f32_e32 v30, 0xbbbac73d, v20
	v_fma_f32 v30, v20, v30, v209
	v_fma_f32 v30, v20, v30, v210
	;; [unrolled: 1-line block ×3, first 2 shown]
	v_mul_f32_e64 v30, |v4|, v30
	v_fma_f32 v20, v20, v30, |v4|
; %bb.246:                              ;   in Loop: Header=BB25_13 Depth=1
	s_or_b64 exec, exec, s[8:9]
	v_cmp_nlt_f32_e64 s[8:9], |v5|, s71
                                        ; implicit-def: $vgpr37
	s_and_saveexec_b64 s[44:45], s[8:9]
	s_xor_b64 s[8:9], exec, s[44:45]
	s_cbranch_execz .LBB25_248
; %bb.247:                              ;   in Loop: Header=BB25_13 Depth=1
	v_add_f32_e64 v30, |v5|, |v5|
	v_mul_f32_e32 v37, 0x3fb8aa3b, v30
	v_rndne_f32_e32 v38, v37
	v_sub_f32_e32 v39, v37, v38
	v_fma_f32 v37, v30, s75, -v37
	v_fmac_f32_e32 v37, 0x32a5705f, v30
	v_add_f32_e32 v37, v39, v37
	v_cvt_i32_f32_e32 v38, v38
	v_exp_f32_e32 v37, v37
	v_cmp_ngt_f32_e32 vcc, s74, v30
	v_ldexp_f32 v37, v37, v38
	v_cndmask_b32_e32 v37, 0, v37, vcc
	v_cmp_nlt_f32_e32 vcc, s65, v30
	v_cndmask_b32_e32 v30, v212, v37, vcc
	v_add_f32_e32 v30, 1.0, v30
	v_rcp_f32_e32 v30, v30
	v_fma_f32 v37, v30, -2.0, 1.0
.LBB25_248:                             ;   in Loop: Header=BB25_13 Depth=1
	s_andn2_saveexec_b64 s[8:9], s[8:9]
; %bb.249:                              ;   in Loop: Header=BB25_13 Depth=1
	v_mul_f32_e32 v30, v5, v5
	v_mov_b32_e32 v37, 0x3ca908c9
	v_fmac_f32_e32 v37, 0xbbbac73d, v30
	v_fma_f32 v37, v30, v37, v209
	v_fma_f32 v37, v30, v37, v210
	;; [unrolled: 1-line block ×3, first 2 shown]
	v_mul_f32_e64 v37, |v5|, v37
	v_fma_f32 v37, v30, v37, |v5|
; %bb.250:                              ;   in Loop: Header=BB25_13 Depth=1
	s_or_b64 exec, exec, s[8:9]
	v_bfi_b32 v2, s70, v18, v2
	v_mul_f32_e32 v18, s73, v2
	v_bfi_b32 v2, s70, v19, v3
	v_mul_f32_e32 v19, s73, v2
	;; [unrolled: 2-line block ×16, first 2 shown]
	s_and_b64 vcc, exec, s[42:43]
	s_cbranch_vccz .LBB25_255
; %bb.251:                              ;   in Loop: Header=BB25_13 Depth=1
	v_add_u32_e32 v2, 0x4400, v158
	v_add_u32_e32 v4, 0x4400, v160
	ds_read_b32 v6, v156 offset:17408
	ds_read_b32 v8, v179 offset:17408
	ds_read2_b32 v[2:3], v2 offset1:1
	ds_read2_b32 v[4:5], v4 offset1:1
	s_waitcnt lgkmcnt(2)
	v_cvt_f32_f16_sdwa v9, v8 dst_sel:DWORD dst_unused:UNUSED_PAD src0_sel:WORD_1
	s_waitcnt lgkmcnt(1)
	v_cvt_f32_f16_e32 v10, v2
	v_cvt_f32_f16_sdwa v11, v2 dst_sel:DWORD dst_unused:UNUSED_PAD src0_sel:WORD_1
	v_add_u32_e32 v2, 0x4400, v180
	v_cvt_f32_f16_e32 v12, v3
	v_cvt_f32_f16_sdwa v13, v3 dst_sel:DWORD dst_unused:UNUSED_PAD src0_sel:WORD_1
	ds_read2_b32 v[2:3], v2 offset1:1
	v_cvt_f32_f16_sdwa v7, v6 dst_sel:DWORD dst_unused:UNUSED_PAD src0_sel:WORD_1
	v_cvt_f32_f16_e32 v6, v6
	v_cvt_f32_f16_e32 v8, v8
	v_pk_fma_f32 v[12:13], v[80:81], v[12:13], v[28:29] op_sel_hi:[0,1,1]
	s_waitcnt lgkmcnt(0)
	v_cvt_f32_f16_e32 v38, v2
	v_pk_fma_f32 v[14:15], v[80:81], v[6:7], v[30:31] op_sel_hi:[0,1,1]
	v_cvt_f32_f16_e32 v6, v4
	v_cvt_f32_f16_sdwa v7, v4 dst_sel:DWORD dst_unused:UNUSED_PAD src0_sel:WORD_1
	v_cvt_f32_f16_e32 v4, v5
	v_cvt_f32_f16_sdwa v5, v5 dst_sel:DWORD dst_unused:UNUSED_PAD src0_sel:WORD_1
	;; [unrolled: 2-line block ×3, first 2 shown]
	v_cvt_f32_f16_sdwa v39, v2 dst_sel:DWORD dst_unused:UNUSED_PAD src0_sel:WORD_1
	v_pk_fma_f32 v[16:17], v[80:81], v[8:9], v[32:33] op_sel_hi:[0,1,1]
	v_pk_fma_f32 v[10:11], v[80:81], v[10:11], v[26:27] op_sel_hi:[0,1,1]
	;; [unrolled: 1-line block ×6, first 2 shown]
	s_mov_b32 s61, s7
	s_cbranch_execnz .LBB25_253
.LBB25_252:                             ;   in Loop: Header=BB25_13 Depth=1
	v_pk_mov_b32 v[2:3], v[18:19], v[18:19] op_sel:[0,1]
	v_pk_mov_b32 v[6:7], v[22:23], v[22:23] op_sel:[0,1]
	;; [unrolled: 1-line block ×8, first 2 shown]
.LBB25_253:                             ;   in Loop: Header=BB25_13 Depth=1
	v_add_f32_e32 v18, 0x40051340, v14
	v_max_f32_e32 v19, v34, v34
	v_cmp_gt_u32_e64 s[56:57], s66, v155
	v_max_f32_e32 v18, v19, v18
	v_cndmask_b32_e64 v18, v34, v18, s[56:57]
	v_mov_b32_e32 v19, v202
	v_cmp_gt_u32_e64 s[54:55], s66, v19
	v_add_f32_e32 v19, 0x40051340, v15
	v_max_f32_e32 v20, v18, v18
	v_max_f32_e32 v19, v20, v19
	v_cndmask_b32_e64 v18, v18, v19, s[54:55]
	v_mov_b32_e32 v19, v144
	v_cmp_gt_u32_e64 s[52:53], s66, v19
	v_add_f32_e32 v19, 0x40051340, v16
	v_max_f32_e32 v20, v18, v18
	v_max_f32_e32 v19, v20, v19
	v_cndmask_b32_e64 v18, v18, v19, s[52:53]
	v_add_f32_e32 v19, 0x40051340, v17
	v_max_f32_e32 v20, v18, v18
	v_cmp_gt_u32_e64 s[50:51], s66, v182
	v_max_f32_e32 v19, v20, v19
	v_cndmask_b32_e64 v18, v18, v19, s[50:51]
	v_add_f32_e32 v19, 0x40051340, v10
	v_max_f32_e32 v20, v18, v18
	v_cmp_gt_u32_e32 vcc, s66, v157
	v_max_f32_e32 v19, v20, v19
	v_cndmask_b32_e32 v18, v18, v19, vcc
	v_mov_b32_e32 v19, v225
	v_cmp_gt_u32_e64 s[48:49], s66, v19
	v_add_f32_e32 v19, 0x40051340, v11
	v_max_f32_e32 v20, v18, v18
	v_max_f32_e32 v19, v20, v19
	v_cndmask_b32_e64 v18, v18, v19, s[48:49]
	v_mov_b32_e32 v19, v207
	v_cmp_gt_u32_e64 s[46:47], s66, v19
	v_add_f32_e32 v19, 0x40051340, v12
	v_max_f32_e32 v20, v18, v18
	v_max_f32_e32 v19, v20, v19
	v_cndmask_b32_e64 v18, v18, v19, s[46:47]
	;; [unrolled: 6-line block ×3, first 2 shown]
	v_add_f32_e32 v19, 0x40051340, v6
	v_max_f32_e32 v20, v18, v18
	v_cmp_gt_u32_e64 s[96:97], s66, v159
	v_max_f32_e32 v19, v20, v19
	v_cndmask_b32_e64 v18, v18, v19, s[96:97]
	v_mov_b32_e32 v19, v0
	v_cmp_gt_u32_e64 s[94:95], s66, v19
	v_add_f32_e32 v19, 0x40051340, v7
	v_max_f32_e32 v20, v18, v18
	v_max_f32_e32 v19, v20, v19
	v_cndmask_b32_e64 v18, v18, v19, s[94:95]
	v_mov_b32_e32 v19, v203
	v_cmp_gt_u32_e64 s[92:93], s66, v19
	v_add_f32_e32 v19, 0x40051340, v8
	v_max_f32_e32 v20, v18, v18
	;; [unrolled: 6-line block ×3, first 2 shown]
	v_max_f32_e32 v19, v20, v19
	v_cndmask_b32_e64 v18, v18, v19, s[90:91]
	v_add_f32_e32 v19, 0x40051340, v2
	v_max_f32_e32 v20, v18, v18
	v_cmp_gt_u32_e64 s[88:89], s66, v172
	v_max_f32_e32 v19, v20, v19
	v_cndmask_b32_e64 v18, v18, v19, s[88:89]
	v_mov_b32_e32 v19, v243
	v_cmp_gt_u32_e64 s[86:87], s66, v19
	v_add_f32_e32 v19, 0x40051340, v3
	v_max_f32_e32 v20, v18, v18
	v_max_f32_e32 v19, v20, v19
	v_cndmask_b32_e64 v18, v18, v19, s[86:87]
	v_mov_b32_e32 v19, v206
	v_cmp_gt_u32_e64 s[84:85], s66, v19
	v_add_f32_e32 v19, 0x40051340, v4
	v_max_f32_e32 v20, v18, v18
	;; [unrolled: 6-line block ×3, first 2 shown]
	v_max_f32_e32 v19, v20, v19
	v_cndmask_b32_e64 v18, v18, v19, s[42:43]
	v_and_b32_e32 v19, 64, v226
	v_add_u32_e32 v19, 64, v19
	v_xor_b32_e32 v20, 32, v226
	v_cmp_lt_i32_e64 s[8:9], v20, v19
	v_cndmask_b32_e64 v20, v226, v20, s[8:9]
	v_lshlrev_b32_e32 v26, 2, v20
	ds_bpermute_b32 v20, v26, v18
	v_max_f32_e32 v18, v18, v18
	v_cndmask_b32_e64 v16, v16, v16, s[54:55]
	v_cndmask_b32_e64 v17, v17, v17, s[54:55]
	v_cndmask_b32_e32 v11, v11, v11, vcc
	s_waitcnt lgkmcnt(0)
	v_max_f32_e32 v20, v20, v20
	v_max_f32_e32 v18, v18, v20
	v_xor_b32_e32 v20, 16, v226
	v_cmp_lt_i32_e64 s[8:9], v20, v19
	v_cndmask_b32_e64 v19, v226, v20, s[8:9]
	v_lshlrev_b32_e32 v19, 2, v19
	ds_bpermute_b32 v20, v19, v18
	v_cndmask_b32_e32 v13, v13, v13, vcc
	v_cndmask_b32_e32 v12, v12, v12, vcc
	v_cndmask_b32_e64 v7, v7, v7, s[96:97]
	v_cndmask_b32_e64 v8, v8, v8, s[96:97]
	s_waitcnt lgkmcnt(0)
	v_max_f32_e32 v20, v20, v20
	v_max_f32_e32 v18, v18, v20
	v_sub_f32_e32 v14, v14, v18
	v_mul_f32_e32 v20, 0x3fb8aa3b, v14
	v_fma_f32 v21, v14, s75, -v20
	v_rndne_f32_e32 v22, v20
	v_fmac_f32_e32 v21, 0x32a5705f, v14
	v_sub_f32_e32 v20, v20, v22
	v_add_f32_e32 v20, v20, v21
	v_exp_f32_e32 v20, v20
	v_cvt_i32_f32_e32 v21, v22
	v_cmp_ngt_f32_e64 s[8:9], s74, v14
	v_sub_f32_e32 v15, v15, v18
	v_sub_f32_e32 v16, v16, v18
	v_ldexp_f32 v20, v20, v21
	v_cndmask_b32_e64 v20, 0, v20, s[8:9]
	v_cmp_nlt_f32_e64 s[8:9], s65, v14
	v_cndmask_b32_e64 v14, v212, v20, s[8:9]
	v_mul_f32_e32 v20, 0x3fb8aa3b, v15
	v_fma_f32 v21, v15, s75, -v20
	v_rndne_f32_e32 v22, v20
	v_fmac_f32_e32 v21, 0x32a5705f, v15
	v_sub_f32_e32 v20, v20, v22
	v_add_f32_e32 v20, v20, v21
	v_exp_f32_e32 v20, v20
	v_cvt_i32_f32_e32 v21, v22
	v_cmp_ngt_f32_e64 s[8:9], s74, v15
	v_cndmask_b32_e64 v14, 0, v14, s[56:57]
	v_sub_f32_e32 v10, v10, v18
	v_ldexp_f32 v20, v20, v21
	v_cndmask_b32_e64 v20, 0, v20, s[8:9]
	v_cmp_nlt_f32_e64 s[8:9], s65, v15
	v_cndmask_b32_e64 v20, v212, v20, s[8:9]
	v_mov_b32_e32 v15, s67
	v_add_f32_e32 v21, v20, v14
	v_cndmask_b32_e64 v37, v15, v20, s[54:55]
	v_mul_f32_e32 v20, 0x3fb8aa3b, v16
	v_cndmask_b32_e64 v15, v14, v21, s[54:55]
	v_fma_f32 v21, v16, s75, -v20
	v_rndne_f32_e32 v22, v20
	v_fmac_f32_e32 v21, 0x32a5705f, v16
	v_sub_f32_e32 v20, v20, v22
	v_add_f32_e32 v20, v20, v21
	v_exp_f32_e32 v20, v20
	v_cvt_i32_f32_e32 v21, v22
	v_cmp_ngt_f32_e64 s[8:9], s74, v16
	v_sub_f32_e32 v11, v11, v18
	v_sub_f32_e32 v6, v6, v18
	v_ldexp_f32 v20, v20, v21
	v_cndmask_b32_e64 v20, 0, v20, s[8:9]
	v_cmp_nlt_f32_e64 s[8:9], s65, v16
	v_cndmask_b32_e64 v20, v212, v20, s[8:9]
	v_add_f32_e32 v21, v15, v20
	v_mov_b32_e32 v16, s67
	v_cndmask_b32_e64 v38, v16, v20, s[52:53]
	v_cndmask_b32_e64 v16, v15, v21, s[52:53]
	v_sub_f32_e32 v15, v17, v18
	v_mul_f32_e32 v17, 0x3fb8aa3b, v15
	v_fma_f32 v20, v15, s75, -v17
	v_rndne_f32_e32 v21, v17
	v_fmac_f32_e32 v20, 0x32a5705f, v15
	v_sub_f32_e32 v17, v17, v21
	v_add_f32_e32 v17, v17, v20
	v_exp_f32_e32 v17, v17
	v_cvt_i32_f32_e32 v20, v21
	v_cmp_ngt_f32_e64 s[8:9], s74, v15
	v_sub_f32_e32 v7, v7, v18
	v_cndmask_b32_e64 v9, v9, v9, s[96:97]
	v_ldexp_f32 v17, v17, v20
	v_cndmask_b32_e64 v17, 0, v17, s[8:9]
	v_cmp_nlt_f32_e64 s[8:9], s65, v15
	v_cndmask_b32_e64 v17, v212, v17, s[8:9]
	v_mov_b32_e32 v15, s67
	v_add_f32_e32 v20, v16, v17
	v_cndmask_b32_e64 v15, v15, v17, s[50:51]
	v_mul_f32_e32 v17, 0x3fb8aa3b, v10
	v_cndmask_b32_e64 v16, v16, v20, s[50:51]
	v_fma_f32 v20, v10, s75, -v17
	v_rndne_f32_e32 v21, v17
	v_fmac_f32_e32 v20, 0x32a5705f, v10
	v_sub_f32_e32 v17, v17, v21
	v_add_f32_e32 v17, v17, v20
	v_exp_f32_e32 v17, v17
	v_cvt_i32_f32_e32 v20, v21
	v_cmp_ngt_f32_e64 s[8:9], s74, v10
	v_sub_f32_e32 v2, v2, v18
	v_cndmask_b32_e64 v3, v3, v3, s[88:89]
	v_ldexp_f32 v17, v17, v20
	v_cndmask_b32_e64 v17, 0, v17, s[8:9]
	v_cmp_nlt_f32_e64 s[8:9], s65, v10
	v_cndmask_b32_e64 v17, v212, v17, s[8:9]
	v_add_f32_e32 v20, v17, v16
	v_mov_b32_e32 v10, s67
	v_cndmask_b32_e32 v39, v10, v17, vcc
	v_cndmask_b32_e32 v10, v16, v20, vcc
	v_mul_f32_e32 v16, 0x3fb8aa3b, v11
	v_fma_f32 v17, v11, s75, -v16
	v_rndne_f32_e32 v20, v16
	v_fmac_f32_e32 v17, 0x32a5705f, v11
	v_sub_f32_e32 v16, v16, v20
	v_add_f32_e32 v16, v16, v17
	v_exp_f32_e32 v16, v16
	v_cvt_i32_f32_e32 v17, v20
	v_cmp_ngt_f32_e32 vcc, s74, v11
	v_sub_f32_e32 v3, v3, v18
	v_cndmask_b32_e64 v4, v4, v4, s[88:89]
	v_ldexp_f32 v16, v16, v17
	v_cndmask_b32_e32 v16, 0, v16, vcc
	v_cmp_nlt_f32_e32 vcc, s65, v11
	v_cndmask_b32_e32 v16, v212, v16, vcc
	v_add_f32_e32 v17, v16, v10
	v_mov_b32_e32 v11, s67
	v_cndmask_b32_e64 v40, v11, v16, s[48:49]
	v_cndmask_b32_e64 v11, v10, v17, s[48:49]
	v_sub_f32_e32 v10, v12, v18
	v_mul_f32_e32 v12, 0x3fb8aa3b, v10
	v_fma_f32 v16, v10, s75, -v12
	v_rndne_f32_e32 v17, v12
	v_fmac_f32_e32 v16, 0x32a5705f, v10
	v_sub_f32_e32 v12, v12, v17
	v_add_f32_e32 v12, v12, v16
	v_exp_f32_e32 v12, v12
	v_cvt_i32_f32_e32 v16, v17
	v_cmp_ngt_f32_e32 vcc, s74, v10
	v_cndmask_b32_e64 v5, v5, v5, s[88:89]
	s_mov_b32 s7, 0xc1a00000
	v_ldexp_f32 v12, v12, v16
	v_cndmask_b32_e32 v12, 0, v12, vcc
	v_cmp_nlt_f32_e32 vcc, s65, v10
	v_cndmask_b32_e32 v12, v212, v12, vcc
	v_add_f32_e32 v16, v12, v11
	v_mov_b32_e32 v10, s67
	v_cndmask_b32_e64 v10, v10, v12, s[46:47]
	v_cndmask_b32_e64 v12, v11, v16, s[46:47]
	v_sub_f32_e32 v11, v13, v18
	v_mul_f32_e32 v13, 0x3fb8aa3b, v11
	v_fma_f32 v16, v11, s75, -v13
	v_rndne_f32_e32 v17, v13
	v_fmac_f32_e32 v16, 0x32a5705f, v11
	v_sub_f32_e32 v13, v13, v17
	v_add_f32_e32 v13, v13, v16
	v_exp_f32_e32 v13, v13
	v_cvt_i32_f32_e32 v16, v17
	v_cmp_ngt_f32_e32 vcc, s74, v11
	v_readlane_b32 s6, v254, 36
	buffer_store_dword v227, off, s[0:3], 0
	buffer_store_dword v227, off, s[0:3], 0 offset:4
	buffer_store_dword v227, off, s[0:3], 0 offset:8
	;; [unrolled: 1-line block ×3, first 2 shown]
	v_ldexp_f32 v13, v13, v16
	v_cndmask_b32_e32 v13, 0, v13, vcc
	v_cmp_nlt_f32_e32 vcc, s65, v11
	v_cndmask_b32_e32 v13, v212, v13, vcc
	v_mov_b32_e32 v11, s67
	v_add_f32_e32 v16, v13, v12
	v_cndmask_b32_e64 v11, v11, v13, s[44:45]
	v_mul_f32_e32 v13, 0x3fb8aa3b, v6
	v_cndmask_b32_e64 v12, v12, v16, s[44:45]
	v_fma_f32 v16, v6, s75, -v13
	v_rndne_f32_e32 v17, v13
	v_fmac_f32_e32 v16, 0x32a5705f, v6
	v_sub_f32_e32 v13, v13, v17
	v_add_f32_e32 v13, v13, v16
	v_exp_f32_e32 v13, v13
	v_cvt_i32_f32_e32 v16, v17
	v_cmp_ngt_f32_e32 vcc, s74, v6
	v_ldexp_f32 v13, v13, v16
	v_cndmask_b32_e32 v13, 0, v13, vcc
	v_cmp_nlt_f32_e32 vcc, s65, v6
	v_cndmask_b32_e32 v13, v212, v13, vcc
	v_add_f32_e32 v16, v13, v12
	v_mov_b32_e32 v6, s67
	v_cndmask_b32_e64 v13, v6, v13, s[96:97]
	v_cndmask_b32_e64 v6, v12, v16, s[96:97]
	v_mul_f32_e32 v12, 0x3fb8aa3b, v7
	v_fma_f32 v16, v7, s75, -v12
	v_rndne_f32_e32 v17, v12
	v_fmac_f32_e32 v16, 0x32a5705f, v7
	v_sub_f32_e32 v12, v12, v17
	v_add_f32_e32 v12, v12, v16
	v_exp_f32_e32 v12, v12
	v_cvt_i32_f32_e32 v16, v17
	v_cmp_ngt_f32_e32 vcc, s74, v7
	v_ldexp_f32 v12, v12, v16
	v_cndmask_b32_e32 v12, 0, v12, vcc
	v_cmp_nlt_f32_e32 vcc, s65, v7
	v_cndmask_b32_e32 v12, v212, v12, vcc
	v_add_f32_e32 v16, v12, v6
	v_mov_b32_e32 v7, s67
	v_cndmask_b32_e64 v12, v7, v12, s[94:95]
	v_cndmask_b32_e64 v7, v6, v16, s[94:95]
	v_sub_f32_e32 v6, v8, v18
	v_mul_f32_e32 v8, 0x3fb8aa3b, v6
	v_fma_f32 v16, v6, s75, -v8
	v_rndne_f32_e32 v17, v8
	v_fmac_f32_e32 v16, 0x32a5705f, v6
	v_sub_f32_e32 v8, v8, v17
	v_add_f32_e32 v8, v8, v16
	v_exp_f32_e32 v8, v8
	v_cvt_i32_f32_e32 v16, v17
	v_cmp_ngt_f32_e32 vcc, s74, v6
	v_readlane_b32 s94, v254, 24
	s_mul_hi_i32 s9, s60, s94
	v_ldexp_f32 v8, v8, v16
	v_cndmask_b32_e32 v8, 0, v8, vcc
	v_cmp_nlt_f32_e32 vcc, s65, v6
	v_cndmask_b32_e32 v8, v212, v8, vcc
	v_add_f32_e32 v16, v8, v7
	v_mov_b32_e32 v6, s67
	v_cndmask_b32_e64 v41, v6, v8, s[92:93]
	v_cndmask_b32_e64 v6, v7, v16, s[92:93]
	v_sub_f32_e32 v7, v9, v18
	v_mul_f32_e32 v8, 0x3fb8aa3b, v7
	v_fma_f32 v9, v7, s75, -v8
	v_rndne_f32_e32 v16, v8
	v_fmac_f32_e32 v9, 0x32a5705f, v7
	v_sub_f32_e32 v8, v8, v16
	v_add_f32_e32 v8, v8, v9
	v_exp_f32_e32 v8, v8
	v_cvt_i32_f32_e32 v9, v16
	v_cmp_ngt_f32_e32 vcc, s74, v7
	s_mul_i32 s8, s60, s94
	s_lshl_b64 s[8:9], s[8:9], 2
	v_ldexp_f32 v8, v8, v9
	v_cndmask_b32_e32 v8, 0, v8, vcc
	v_cmp_nlt_f32_e32 vcc, s65, v7
	v_cndmask_b32_e32 v8, v212, v8, vcc
	v_mov_b32_e32 v7, s67
	v_add_f32_e32 v9, v8, v6
	v_cndmask_b32_e64 v42, v7, v8, s[90:91]
	v_mul_f32_e32 v7, 0x3fb8aa3b, v2
	v_cndmask_b32_e64 v6, v6, v9, s[90:91]
	v_fma_f32 v8, v2, s75, -v7
	v_rndne_f32_e32 v9, v7
	v_fmac_f32_e32 v8, 0x32a5705f, v2
	v_sub_f32_e32 v7, v7, v9
	v_add_f32_e32 v7, v7, v8
	v_exp_f32_e32 v7, v7
	v_cvt_i32_f32_e32 v8, v9
	v_cmp_ngt_f32_e32 vcc, s74, v2
	s_add_u32 s8, s6, s8
	v_readlane_b32 s6, v254, 38
	v_ldexp_f32 v7, v7, v8
	v_cndmask_b32_e32 v7, 0, v7, vcc
	v_cmp_nlt_f32_e32 vcc, s65, v2
	v_cndmask_b32_e32 v7, v212, v7, vcc
	v_add_f32_e32 v8, v7, v6
	v_mov_b32_e32 v2, s67
	v_cndmask_b32_e64 v43, v2, v7, s[88:89]
	v_cndmask_b32_e64 v2, v6, v8, s[88:89]
	v_mul_f32_e32 v6, 0x3fb8aa3b, v3
	v_fma_f32 v7, v3, s75, -v6
	v_rndne_f32_e32 v8, v6
	v_fmac_f32_e32 v7, 0x32a5705f, v3
	v_sub_f32_e32 v6, v6, v8
	v_add_f32_e32 v6, v6, v7
	v_exp_f32_e32 v6, v6
	v_cvt_i32_f32_e32 v7, v8
	v_cmp_ngt_f32_e32 vcc, s74, v3
	s_addc_u32 s9, s6, s9
	v_readlane_b32 s95, v254, 25
	v_ldexp_f32 v6, v6, v7
	v_cndmask_b32_e32 v6, 0, v6, vcc
	v_cmp_nlt_f32_e32 vcc, s65, v3
	v_cndmask_b32_e32 v6, v212, v6, vcc
	v_add_f32_e32 v7, v6, v2
	v_mov_b32_e32 v3, s67
	v_cndmask_b32_e64 v44, v3, v6, s[86:87]
	v_cndmask_b32_e64 v3, v2, v7, s[86:87]
	v_sub_f32_e32 v2, v4, v18
	v_mul_f32_e32 v4, 0x3fb8aa3b, v2
	v_fma_f32 v6, v2, s75, -v4
	v_rndne_f32_e32 v7, v4
	v_fmac_f32_e32 v6, 0x32a5705f, v2
	v_sub_f32_e32 v4, v4, v7
	v_add_f32_e32 v4, v4, v6
	v_exp_f32_e32 v4, v4
	v_cvt_i32_f32_e32 v6, v7
	v_cmp_ngt_f32_e32 vcc, s74, v2
	v_ldexp_f32 v4, v4, v6
	v_cndmask_b32_e32 v4, 0, v4, vcc
	v_cmp_nlt_f32_e32 vcc, s65, v2
	v_cndmask_b32_e32 v4, v212, v4, vcc
	v_add_f32_e32 v6, v4, v3
	v_mov_b32_e32 v2, s67
	v_cndmask_b32_e64 v45, v2, v4, s[84:85]
	v_cndmask_b32_e64 v2, v3, v6, s[84:85]
	v_sub_f32_e32 v3, v5, v18
	v_mul_f32_e32 v4, 0x3fb8aa3b, v3
	v_fma_f32 v5, v3, s75, -v4
	v_rndne_f32_e32 v6, v4
	v_fmac_f32_e32 v5, 0x32a5705f, v3
	v_sub_f32_e32 v4, v4, v6
	v_add_f32_e32 v4, v4, v5
	v_exp_f32_e32 v4, v4
	v_cvt_i32_f32_e32 v5, v6
	v_cmp_ngt_f32_e32 vcc, s74, v3
	v_ldexp_f32 v4, v4, v5
	v_cndmask_b32_e32 v4, 0, v4, vcc
	v_cmp_nlt_f32_e32 vcc, s65, v3
	v_cndmask_b32_e32 v4, v212, v4, vcc
	v_add_f32_e32 v5, v4, v2
	v_mov_b32_e32 v3, s67
	v_cndmask_b32_e64 v27, v2, v5, s[42:43]
	v_sub_f32_e32 v2, v34, v18
	v_cndmask_b32_e64 v3, v3, v4, s[42:43]
	v_mul_f32_e32 v4, 0x3fb8aa3b, v2
	v_fma_f32 v5, v2, s75, -v4
	v_rndne_f32_e32 v6, v4
	v_fmac_f32_e32 v5, 0x32a5705f, v2
	v_sub_f32_e32 v4, v4, v6
	v_add_f32_e32 v4, v4, v5
	v_exp_f32_e32 v4, v4
	v_cvt_i32_f32_e32 v5, v6
	v_cmp_ngt_f32_e32 vcc, s74, v2
	v_cvt_f16_f32_e32 v3, v3
	s_mov_b64 s[42:43], src_private_base
	v_ldexp_f32 v4, v4, v5
	v_cndmask_b32_e32 v4, 0, v4, vcc
	v_cmp_nlt_f32_e32 vcc, s65, v2
	v_cndmask_b32_e32 v4, v212, v4, vcc
	v_cmp_le_f32_e32 vcc, s7, v2
	v_cndmask_b32_e32 v2, 0, v4, vcc
	v_fmac_f32_e32 v27, v35, v2
	v_cvt_f16_f32_e32 v2, v2
	v_cvt_f16_f32_e32 v4, v37
	;; [unrolled: 1-line block ×3, first 2 shown]
	s_mov_b32 s42, 0
	v_pk_mul_f16 v35, v2, v127 op_sel_hi:[0,1]
	v_pk_mul_f16 v34, v2, v126 op_sel_hi:[0,1]
	;; [unrolled: 1-line block ×16, first 2 shown]
	v_cvt_f16_f32_e32 v2, v14
	v_mov_b32_e32 v37, s43
	v_pack_b32_f16 v8, v2, v4
	v_cvt_f16_f32_e32 v2, v38
	v_cvt_f16_f32_e32 v4, v15
	v_pack_b32_f16 v9, v2, v4
	v_cvt_f16_f32_e32 v2, v39
	v_cvt_f16_f32_e32 v4, v40
	v_mov_b32_e32 v40, s42
	v_pack_b32_f16 v6, v2, v4
	v_cvt_f16_f32_e32 v2, v10
	v_cvt_f16_f32_e32 v4, v11
	;; [unrolled: 1-line block ×3, first 2 shown]
	v_mov_b32_e32 v11, s9
	v_pack_b32_f16 v7, v2, v4
	v_cvt_f16_f32_e32 v2, v13
	v_cvt_f16_f32_e32 v4, v12
	v_pack_b32_f16 v4, v2, v4
	v_cvt_f16_f32_e32 v2, v41
	v_pack_b32_f16 v5, v2, v5
	;; [unrolled: 2-line block ×4, first 2 shown]
	v_add_co_u32_e32 v10, vcc, s8, v62
	v_addc_co_u32_e32 v11, vcc, v11, v63, vcc
	v_add_co_u32_e32 v10, vcc, v10, v36
	v_addc_co_u32_e32 v11, vcc, 0, v11, vcc
	v_cndmask_b32_e64 v39, v37, v11, s[76:77]
	v_cndmask_b32_e64 v38, v40, v10, s[76:77]
	v_add_co_u32_e32 v10, vcc, s8, v64
	v_mov_b32_e32 v11, s9
	v_addc_co_u32_e32 v11, vcc, v11, v65, vcc
	v_add_co_u32_e32 v10, vcc, v10, v36
	v_addc_co_u32_e32 v11, vcc, 0, v11, vcc
	v_cndmask_b32_e64 v15, v37, v11, s[78:79]
	v_cndmask_b32_e64 v14, v40, v10, s[78:79]
	v_add_co_u32_e32 v10, vcc, s8, v66
	v_mov_b32_e32 v11, s9
	;; [unrolled: 7-line block ×3, first 2 shown]
	v_addc_co_u32_e32 v11, vcc, v11, v69, vcc
	v_add_co_u32_e32 v10, vcc, v10, v36
	v_addc_co_u32_e32 v11, vcc, 0, v11, vcc
	v_cndmask_b32_e64 v11, v37, v11, s[82:83]
	flat_load_dwordx4 v[36:39], v[38:39]
	v_cndmask_b32_e64 v10, v40, v10, s[82:83]
	v_readlane_b32 s8, v254, 39
	v_readlane_b32 s9, v254, 40
	s_cmp_lg_u64 s[8:9], 0
	s_waitcnt vmcnt(0) lgkmcnt(0)
	ds_write_b128 v153, v[36:39]
	flat_load_dwordx4 v[36:39], v[14:15]
	s_waitcnt vmcnt(0) lgkmcnt(0)
	ds_write_b128 v244, v[36:39]
	flat_load_dwordx4 v[12:15], v[12:13]
	;; [unrolled: 3-line block ×3, first 2 shown]
	s_waitcnt vmcnt(0) lgkmcnt(0)
	ds_write_b128 v248, v[10:13]
	s_waitcnt lgkmcnt(0)
	s_barrier
	ds_read_u16 v14, v183 offset:544
	v_cvt_f32_f16_e32 v12, v34
	v_cvt_f32_f16_sdwa v13, v34 dst_sel:DWORD dst_unused:UNUSED_PAD src0_sel:WORD_1
	ds_read_u16 v15, v184
	ds_read_u16 v34, v184 offset:32
	v_cvt_f32_f16_e32 v10, v35
	v_cvt_f32_f16_sdwa v11, v35 dst_sel:DWORD dst_unused:UNUSED_PAD src0_sel:WORD_1
	s_waitcnt lgkmcnt(1)
	v_perm_b32 v15, v15, v14, s64
	ds_read_u16 v14, v185
	ds_read_u16 v35, v185 offset:32
	ds_read_u16 v36, v181 offset:272
	;; [unrolled: 1-line block ×3, first 2 shown]
	s_waitcnt lgkmcnt(1)
	v_perm_b32 v14, v36, v14, s64
	s_nop 1
	v_mfma_f32_16x16x16f16 v[10:13], v[14:15], v[8:9], v[10:13]
	ds_read_u16 v14, v185 offset:4352
	ds_read_u16 v36, v181 offset:4624
	;; [unrolled: 1-line block ×4, first 2 shown]
	s_waitcnt lgkmcnt(2)
	v_perm_b32 v14, v36, v14, s64
	s_waitcnt lgkmcnt(0)
	v_perm_b32 v15, v38, v15, s64
	s_nop 2
	v_cvt_f16_f32_e32 v10, v10
	v_cvt_f16_f32_e32 v11, v11
	;; [unrolled: 1-line block ×4, first 2 shown]
	v_cvt_f32_f16_e32 v10, v10
	v_cvt_f32_f16_e32 v11, v11
	v_cvt_f32_f16_e32 v12, v12
	v_cvt_f32_f16_e32 v13, v13
	s_nop 1
	v_mfma_f32_16x16x16f16 v[10:13], v[14:15], v[6:7], v[10:13]
	ds_read_u16 v14, v185 offset:8704
	ds_read_u16 v36, v181 offset:8976
	;; [unrolled: 1-line block ×4, first 2 shown]
	s_waitcnt lgkmcnt(2)
	v_perm_b32 v14, v36, v14, s64
	s_waitcnt lgkmcnt(0)
	v_perm_b32 v15, v38, v15, s64
	s_nop 2
	v_cvt_f16_f32_e32 v10, v10
	v_cvt_f16_f32_e32 v11, v11
	;; [unrolled: 1-line block ×4, first 2 shown]
	v_cvt_f32_f16_e32 v10, v10
	v_cvt_f32_f16_e32 v11, v11
	;; [unrolled: 1-line block ×4, first 2 shown]
	s_nop 1
	v_mfma_f32_16x16x16f16 v[10:13], v[14:15], v[4:5], v[10:13]
	ds_read_u16 v14, v185 offset:13056
	ds_read_u16 v36, v181 offset:13328
	;; [unrolled: 1-line block ×4, first 2 shown]
	s_waitcnt lgkmcnt(2)
	v_perm_b32 v14, v36, v14, s64
	ds_read_u16 v36, v186 offset:544
	s_waitcnt lgkmcnt(1)
	v_perm_b32 v15, v38, v15, s64
	s_nop 1
	v_cvt_f16_f32_e32 v10, v10
	v_cvt_f16_f32_e32 v11, v11
	;; [unrolled: 1-line block ×4, first 2 shown]
	v_cvt_f32_f16_e32 v10, v10
	v_cvt_f32_f16_e32 v11, v11
	;; [unrolled: 1-line block ×4, first 2 shown]
	s_nop 1
	v_mfma_f32_16x16x16f16 v[10:13], v[14:15], v[2:3], v[10:13]
	v_cvt_f32_f16_e32 v14, v32
	v_cvt_f32_f16_sdwa v15, v32 dst_sel:DWORD dst_unused:UNUSED_PAD src0_sel:WORD_1
	v_perm_b32 v32, v37, v35, s64
	s_nop 7
	v_cvt_f16_f32_e32 v10, v10
	v_cvt_f16_f32_e32 v11, v11
	;; [unrolled: 1-line block ×4, first 2 shown]
	v_pack_b32_f16 v10, v10, v11
	v_pack_b32_f16 v11, v12, v13
	v_cvt_f32_f16_e32 v12, v33
	v_cvt_f32_f16_sdwa v13, v33 dst_sel:DWORD dst_unused:UNUSED_PAD src0_sel:WORD_1
	s_waitcnt lgkmcnt(0)
	v_perm_b32 v33, v34, v36, s64
	s_nop 1
	v_mfma_f32_16x16x16f16 v[12:15], v[32:33], v[8:9], v[12:15]
	ds_read_u16 v32, v185 offset:4384
	ds_read_u16 v34, v181 offset:4656
	;; [unrolled: 1-line block ×4, first 2 shown]
	s_waitcnt lgkmcnt(2)
	v_perm_b32 v32, v34, v32, s64
	s_waitcnt lgkmcnt(0)
	v_perm_b32 v33, v35, v33, s64
	s_nop 2
	v_cvt_f16_f32_e32 v12, v12
	v_cvt_f16_f32_e32 v13, v13
	;; [unrolled: 1-line block ×4, first 2 shown]
	v_cvt_f32_f16_e32 v12, v12
	v_cvt_f32_f16_e32 v13, v13
	;; [unrolled: 1-line block ×4, first 2 shown]
	s_nop 1
	v_mfma_f32_16x16x16f16 v[12:15], v[32:33], v[6:7], v[12:15]
	ds_read_u16 v32, v185 offset:8736
	ds_read_u16 v34, v181 offset:9008
	;; [unrolled: 1-line block ×4, first 2 shown]
	s_waitcnt lgkmcnt(2)
	v_perm_b32 v32, v34, v32, s64
	s_waitcnt lgkmcnt(0)
	v_perm_b32 v33, v35, v33, s64
	s_nop 2
	v_cvt_f16_f32_e32 v12, v12
	v_cvt_f16_f32_e32 v13, v13
	;; [unrolled: 1-line block ×4, first 2 shown]
	v_cvt_f32_f16_e32 v12, v12
	v_cvt_f32_f16_e32 v13, v13
	;; [unrolled: 1-line block ×4, first 2 shown]
	s_nop 1
	v_mfma_f32_16x16x16f16 v[12:15], v[32:33], v[4:5], v[12:15]
	ds_read_u16 v32, v185 offset:13088
	ds_read_u16 v34, v181 offset:13360
	;; [unrolled: 1-line block ×4, first 2 shown]
	s_waitcnt lgkmcnt(2)
	v_perm_b32 v32, v34, v32, s64
	v_cvt_f32_f16_e32 v34, v30
	s_waitcnt lgkmcnt(0)
	v_perm_b32 v33, v35, v33, s64
	v_cvt_f32_f16_sdwa v35, v30 dst_sel:DWORD dst_unused:UNUSED_PAD src0_sel:WORD_1
	s_nop 0
	v_cvt_f16_f32_e32 v12, v12
	v_cvt_f16_f32_e32 v13, v13
	;; [unrolled: 1-line block ×4, first 2 shown]
	v_cvt_f32_f16_e32 v12, v12
	v_cvt_f32_f16_e32 v13, v13
	;; [unrolled: 1-line block ×4, first 2 shown]
	s_nop 1
	v_mfma_f32_16x16x16f16 v[12:15], v[32:33], v[2:3], v[12:15]
	v_cvt_f32_f16_e32 v32, v31
	v_cvt_f32_f16_sdwa v33, v31 dst_sel:DWORD dst_unused:UNUSED_PAD src0_sel:WORD_1
	s_nop 7
	s_nop 0
	v_cvt_f16_f32_e32 v12, v12
	v_cvt_f16_f32_e32 v13, v13
	;; [unrolled: 1-line block ×4, first 2 shown]
	v_pack_b32_f16 v12, v12, v13
	v_pack_b32_f16 v13, v14, v15
	ds_read_u16 v14, v185 offset:64
	ds_read_u16 v36, v181 offset:336
	;; [unrolled: 1-line block ×4, first 2 shown]
	s_waitcnt lgkmcnt(2)
	v_perm_b32 v14, v36, v14, s64
	s_waitcnt lgkmcnt(0)
	v_perm_b32 v15, v37, v15, s64
	s_nop 1
	v_mfma_f32_16x16x16f16 v[30:33], v[14:15], v[8:9], v[32:35]
	s_nop 6
	ds_read_u16 v34, v185 offset:4416
	ds_read_u16 v35, v181 offset:4688
	ds_read_u16 v36, v167 offset:544
	ds_read_u16 v37, v184 offset:4416
	v_cvt_f16_f32_e32 v14, v30
	v_cvt_f16_f32_e32 v15, v31
	v_cvt_f16_f32_e32 v32, v32
	v_cvt_f16_f32_e32 v33, v33
	v_cvt_f32_f16_e32 v30, v14
	v_cvt_f32_f16_e32 v31, v15
	s_waitcnt lgkmcnt(0)
	v_perm_b32 v15, v37, v36, s64
	v_perm_b32 v14, v35, v34, s64
	v_cvt_f32_f16_e32 v32, v32
	v_cvt_f32_f16_e32 v33, v33
	ds_read_u16 v34, v185 offset:8768
	ds_read_u16 v35, v181 offset:9040
	ds_read_u16 v36, v168 offset:544
	ds_read_u16 v37, v184 offset:8768
	v_mfma_f32_16x16x16f16 v[30:33], v[14:15], v[6:7], v[30:33]
	s_nop 7
	s_nop 2
	v_cvt_f16_f32_e32 v14, v30
	v_cvt_f16_f32_e32 v15, v31
	v_cvt_f16_f32_e32 v32, v32
	v_cvt_f16_f32_e32 v33, v33
	v_cvt_f32_f16_e32 v30, v14
	v_cvt_f32_f16_e32 v31, v15
	s_waitcnt lgkmcnt(0)
	v_perm_b32 v15, v37, v36, s64
	v_perm_b32 v14, v35, v34, s64
	v_cvt_f32_f16_e32 v32, v32
	v_cvt_f32_f16_e32 v33, v33
	ds_read_u16 v34, v185 offset:13120
	ds_read_u16 v35, v181 offset:13392
	ds_read_u16 v36, v169 offset:544
	ds_read_u16 v37, v184 offset:13120
	v_mfma_f32_16x16x16f16 v[30:33], v[14:15], v[4:5], v[30:33]
	s_nop 7
	s_nop 2
	;; [unrolled: 18-line block ×3, first 2 shown]
	v_cvt_f16_f32_e32 v14, v30
	v_cvt_f16_f32_e32 v15, v31
	v_cvt_f16_f32_e32 v30, v32
	v_cvt_f16_f32_e32 v31, v33
	v_cvt_f32_f16_e32 v32, v16
	v_pack_b32_f16 v14, v14, v15
	v_cvt_f32_f16_sdwa v33, v16 dst_sel:DWORD dst_unused:UNUSED_PAD src0_sel:WORD_1
	v_pack_b32_f16 v15, v30, v31
	v_cvt_f32_f16_e32 v30, v17
	v_cvt_f32_f16_sdwa v31, v17 dst_sel:DWORD dst_unused:UNUSED_PAD src0_sel:WORD_1
	s_waitcnt lgkmcnt(0)
	v_perm_b32 v17, v37, v36, s64
	v_perm_b32 v16, v35, v34, s64
	ds_read_u16 v34, v185 offset:4448
	ds_read_u16 v35, v181 offset:4720
	ds_read_u16 v36, v171 offset:544
	ds_read_u16 v37, v184 offset:4448
	v_mfma_f32_16x16x16f16 v[30:33], v[16:17], v[8:9], v[30:33]
	s_nop 7
	s_nop 2
	v_cvt_f16_f32_e32 v16, v30
	v_cvt_f16_f32_e32 v17, v31
	v_cvt_f16_f32_e32 v32, v32
	v_cvt_f16_f32_e32 v33, v33
	v_cvt_f32_f16_e32 v30, v16
	v_cvt_f32_f16_e32 v31, v17
	s_waitcnt lgkmcnt(0)
	v_perm_b32 v17, v37, v36, s64
	v_perm_b32 v16, v35, v34, s64
	v_cvt_f32_f16_e32 v32, v32
	v_cvt_f32_f16_e32 v33, v33
	ds_read_u16 v34, v185 offset:8800
	ds_read_u16 v35, v181 offset:9072
	ds_read_u16 v36, v173 offset:544
	ds_read_u16 v37, v184 offset:8800
	v_mfma_f32_16x16x16f16 v[30:33], v[16:17], v[6:7], v[30:33]
	s_nop 7
	s_nop 2
	v_cvt_f16_f32_e32 v16, v30
	v_cvt_f16_f32_e32 v17, v31
	v_cvt_f16_f32_e32 v32, v32
	v_cvt_f16_f32_e32 v33, v33
	v_cvt_f32_f16_e32 v30, v16
	v_cvt_f32_f16_e32 v31, v17
	s_waitcnt lgkmcnt(0)
	v_perm_b32 v17, v37, v36, s64
	v_perm_b32 v16, v35, v34, s64
	v_cvt_f32_f16_e32 v32, v32
	v_cvt_f32_f16_e32 v33, v33
	;; [unrolled: 18-line block ×3, first 2 shown]
	ds_read_u16 v34, v185 offset:128
	ds_read_u16 v35, v181 offset:400
	;; [unrolled: 1-line block ×4, first 2 shown]
	v_mfma_f32_16x16x16f16 v[30:33], v[16:17], v[2:3], v[30:33]
	s_nop 7
	s_nop 2
	v_cvt_f16_f32_e32 v16, v30
	v_cvt_f16_f32_e32 v17, v31
	;; [unrolled: 1-line block ×4, first 2 shown]
	v_cvt_f32_f16_e32 v32, v20
	v_pack_b32_f16 v16, v16, v17
	v_cvt_f32_f16_sdwa v33, v20 dst_sel:DWORD dst_unused:UNUSED_PAD src0_sel:WORD_1
	v_pack_b32_f16 v17, v30, v31
	v_cvt_f32_f16_e32 v30, v21
	v_cvt_f32_f16_sdwa v31, v21 dst_sel:DWORD dst_unused:UNUSED_PAD src0_sel:WORD_1
	s_waitcnt lgkmcnt(0)
	v_perm_b32 v21, v37, v36, s64
	v_perm_b32 v20, v35, v34, s64
	ds_read_u16 v34, v185 offset:4480
	ds_read_u16 v35, v181 offset:4752
	ds_read_u16 v36, v176 offset:544
	ds_read_u16 v37, v184 offset:4480
	v_mfma_f32_16x16x16f16 v[30:33], v[20:21], v[8:9], v[30:33]
	s_nop 7
	s_nop 2
	v_cvt_f16_f32_e32 v20, v30
	v_cvt_f16_f32_e32 v21, v31
	v_cvt_f16_f32_e32 v32, v32
	v_cvt_f16_f32_e32 v33, v33
	v_cvt_f32_f16_e32 v30, v20
	v_cvt_f32_f16_e32 v31, v21
	s_waitcnt lgkmcnt(0)
	v_perm_b32 v21, v37, v36, s64
	v_perm_b32 v20, v35, v34, s64
	v_cvt_f32_f16_e32 v32, v32
	v_cvt_f32_f16_e32 v33, v33
	ds_read_u16 v34, v185 offset:8832
	ds_read_u16 v35, v181 offset:9104
	ds_read_u16 v36, v177 offset:544
	ds_read_u16 v37, v184 offset:8832
	v_mfma_f32_16x16x16f16 v[30:33], v[20:21], v[6:7], v[30:33]
	s_nop 7
	s_nop 2
	v_cvt_f16_f32_e32 v20, v30
	v_cvt_f16_f32_e32 v21, v31
	v_cvt_f16_f32_e32 v32, v32
	v_cvt_f16_f32_e32 v33, v33
	v_cvt_f32_f16_e32 v30, v20
	v_cvt_f32_f16_e32 v31, v21
	s_waitcnt lgkmcnt(0)
	v_perm_b32 v21, v37, v36, s64
	v_perm_b32 v20, v35, v34, s64
	v_cvt_f32_f16_e32 v32, v32
	v_cvt_f32_f16_e32 v33, v33
	;; [unrolled: 18-line block ×3, first 2 shown]
	ds_read_u16 v34, v185 offset:160
	ds_read_u16 v35, v181 offset:432
	;; [unrolled: 1-line block ×4, first 2 shown]
	v_mfma_f32_16x16x16f16 v[30:33], v[20:21], v[2:3], v[30:33]
	s_nop 7
	s_nop 2
	v_cvt_f16_f32_e32 v20, v30
	v_cvt_f16_f32_e32 v21, v31
	;; [unrolled: 1-line block ×4, first 2 shown]
	v_cvt_f32_f16_e32 v32, v22
	v_pack_b32_f16 v20, v20, v21
	v_cvt_f32_f16_sdwa v33, v22 dst_sel:DWORD dst_unused:UNUSED_PAD src0_sel:WORD_1
	v_pack_b32_f16 v21, v30, v31
	v_cvt_f32_f16_e32 v30, v23
	v_cvt_f32_f16_sdwa v31, v23 dst_sel:DWORD dst_unused:UNUSED_PAD src0_sel:WORD_1
	s_waitcnt lgkmcnt(0)
	v_perm_b32 v23, v37, v36, s64
	v_perm_b32 v22, v35, v34, s64
	ds_read_u16 v34, v185 offset:4512
	ds_read_u16 v35, v181 offset:4784
	ds_read_u16 v36, v189 offset:544
	ds_read_u16 v37, v184 offset:4512
	v_mfma_f32_16x16x16f16 v[30:33], v[22:23], v[8:9], v[30:33]
	s_nop 7
	s_nop 2
	v_cvt_f16_f32_e32 v22, v30
	v_cvt_f16_f32_e32 v23, v31
	v_cvt_f16_f32_e32 v32, v32
	v_cvt_f16_f32_e32 v33, v33
	v_cvt_f32_f16_e32 v30, v22
	v_cvt_f32_f16_e32 v31, v23
	s_waitcnt lgkmcnt(0)
	v_perm_b32 v23, v37, v36, s64
	v_perm_b32 v22, v35, v34, s64
	v_cvt_f32_f16_e32 v32, v32
	v_cvt_f32_f16_e32 v33, v33
	ds_read_u16 v34, v185 offset:8864
	ds_read_u16 v35, v181 offset:9136
	ds_read_u16 v36, v190 offset:544
	ds_read_u16 v37, v184 offset:8864
	v_mfma_f32_16x16x16f16 v[30:33], v[22:23], v[6:7], v[30:33]
	s_nop 7
	s_nop 2
	v_cvt_f16_f32_e32 v22, v30
	v_cvt_f16_f32_e32 v23, v31
	v_cvt_f16_f32_e32 v32, v32
	v_cvt_f16_f32_e32 v33, v33
	v_cvt_f32_f16_e32 v30, v22
	v_cvt_f32_f16_e32 v31, v23
	s_waitcnt lgkmcnt(0)
	v_perm_b32 v23, v37, v36, s64
	v_perm_b32 v22, v35, v34, s64
	v_cvt_f32_f16_e32 v32, v32
	v_cvt_f32_f16_e32 v33, v33
	;; [unrolled: 18-line block ×3, first 2 shown]
	ds_read_u16 v34, v185 offset:192
	ds_read_u16 v35, v181 offset:464
	;; [unrolled: 1-line block ×4, first 2 shown]
	v_mfma_f32_16x16x16f16 v[30:33], v[22:23], v[2:3], v[30:33]
	s_nop 7
	s_nop 2
	v_cvt_f16_f32_e32 v22, v30
	v_cvt_f16_f32_e32 v23, v31
	v_cvt_f16_f32_e32 v30, v32
	v_cvt_f16_f32_e32 v31, v33
	v_cvt_f32_f16_e32 v32, v24
	v_pack_b32_f16 v22, v22, v23
	v_cvt_f32_f16_sdwa v33, v24 dst_sel:DWORD dst_unused:UNUSED_PAD src0_sel:WORD_1
	v_pack_b32_f16 v23, v30, v31
	v_cvt_f32_f16_e32 v30, v25
	v_cvt_f32_f16_sdwa v31, v25 dst_sel:DWORD dst_unused:UNUSED_PAD src0_sel:WORD_1
	s_waitcnt lgkmcnt(0)
	v_perm_b32 v25, v37, v36, s64
	v_perm_b32 v24, v35, v34, s64
	ds_read_u16 v34, v185 offset:4544
	ds_read_u16 v35, v181 offset:4816
	ds_read_u16 v36, v193 offset:544
	ds_read_u16 v37, v184 offset:4544
	v_mfma_f32_16x16x16f16 v[30:33], v[24:25], v[8:9], v[30:33]
	s_nop 7
	s_nop 2
	v_cvt_f16_f32_e32 v24, v30
	v_cvt_f16_f32_e32 v25, v31
	v_cvt_f16_f32_e32 v32, v32
	v_cvt_f16_f32_e32 v33, v33
	v_cvt_f32_f16_e32 v30, v24
	v_cvt_f32_f16_e32 v31, v25
	s_waitcnt lgkmcnt(0)
	v_perm_b32 v25, v37, v36, s64
	v_perm_b32 v24, v35, v34, s64
	v_cvt_f32_f16_e32 v32, v32
	v_cvt_f32_f16_e32 v33, v33
	ds_read_u16 v34, v185 offset:8896
	ds_read_u16 v35, v181 offset:9168
	ds_read_u16 v36, v194 offset:544
	ds_read_u16 v37, v184 offset:8896
	v_mfma_f32_16x16x16f16 v[30:33], v[24:25], v[6:7], v[30:33]
	s_nop 7
	s_nop 2
	v_cvt_f16_f32_e32 v24, v30
	v_cvt_f16_f32_e32 v25, v31
	v_cvt_f16_f32_e32 v32, v32
	v_cvt_f16_f32_e32 v33, v33
	v_cvt_f32_f16_e32 v30, v24
	v_cvt_f32_f16_e32 v31, v25
	s_waitcnt lgkmcnt(0)
	v_perm_b32 v25, v37, v36, s64
	v_perm_b32 v24, v35, v34, s64
	v_cvt_f32_f16_e32 v32, v32
	v_cvt_f32_f16_e32 v33, v33
	;; [unrolled: 18-line block ×3, first 2 shown]
	ds_read_u16 v34, v185 offset:224
	ds_read_u16 v35, v181 offset:496
	;; [unrolled: 1-line block ×4, first 2 shown]
	v_mfma_f32_16x16x16f16 v[30:33], v[24:25], v[2:3], v[30:33]
	s_nop 7
	s_nop 2
	v_cvt_f16_f32_e32 v24, v30
	v_cvt_f16_f32_e32 v25, v31
	;; [unrolled: 1-line block ×4, first 2 shown]
	v_cvt_f32_f16_e32 v32, v28
	v_pack_b32_f16 v24, v24, v25
	v_cvt_f32_f16_sdwa v33, v28 dst_sel:DWORD dst_unused:UNUSED_PAD src0_sel:WORD_1
	v_pack_b32_f16 v25, v30, v31
	v_cvt_f32_f16_e32 v30, v29
	v_cvt_f32_f16_sdwa v31, v29 dst_sel:DWORD dst_unused:UNUSED_PAD src0_sel:WORD_1
	s_waitcnt lgkmcnt(0)
	v_perm_b32 v29, v37, v36, s64
	v_perm_b32 v28, v35, v34, s64
	s_nop 1
	v_mfma_f32_16x16x16f16 v[28:31], v[28:29], v[8:9], v[30:33]
	s_nop 6
	ds_read_u16 v32, v185 offset:4576
	ds_read_u16 v33, v181 offset:4848
	;; [unrolled: 1-line block ×4, first 2 shown]
	v_cvt_f16_f32_e32 v8, v28
	v_cvt_f16_f32_e32 v9, v29
	;; [unrolled: 1-line block ×4, first 2 shown]
	v_cvt_f32_f16_e32 v28, v8
	v_cvt_f32_f16_e32 v29, v9
	s_waitcnt lgkmcnt(0)
	v_perm_b32 v9, v35, v34, s64
	v_perm_b32 v8, v33, v32, s64
	v_cvt_f32_f16_e32 v30, v30
	v_cvt_f32_f16_e32 v31, v31
	s_nop 1
	v_mfma_f32_16x16x16f16 v[6:9], v[8:9], v[6:7], v[28:31]
	s_nop 6
	ds_read_u16 v28, v185 offset:8928
	ds_read_u16 v30, v181 offset:9200
	;; [unrolled: 1-line block ×4, first 2 shown]
	s_waitcnt lgkmcnt(2)
	v_perm_b32 v28, v30, v28, s64
	s_waitcnt lgkmcnt(0)
	v_perm_b32 v29, v31, v29, s64
	v_cvt_f16_f32_e32 v6, v6
	v_cvt_f16_f32_e32 v7, v7
	;; [unrolled: 1-line block ×4, first 2 shown]
	v_cvt_f32_f16_e32 v6, v6
	v_cvt_f32_f16_e32 v7, v7
	;; [unrolled: 1-line block ×4, first 2 shown]
	s_nop 1
	v_mfma_f32_16x16x16f16 v[28:31], v[28:29], v[4:5], v[6:9]
	s_nop 7
	s_nop 2
	v_cvt_f16_f32_e32 v8, v29
	ds_read_u16 v4, v185 offset:13280
	ds_read_u16 v5, v181 offset:13552
	;; [unrolled: 1-line block ×4, first 2 shown]
	v_cvt_f16_f32_e32 v7, v28
	v_cvt_f16_f32_e32 v9, v30
	;; [unrolled: 1-line block ×3, first 2 shown]
	v_cvt_f32_f16_e32 v31, v8
	v_cvt_f32_f16_e32 v30, v7
	s_waitcnt lgkmcnt(0)
	v_perm_b32 v7, v29, v6, s64
	v_perm_b32 v6, v5, v4, s64
	v_cvt_f32_f16_e32 v32, v9
	v_cvt_f32_f16_e32 v33, v28
	s_barrier
	s_nop 0
	v_mfma_f32_16x16x16f16 v[2:5], v[6:7], v[2:3], v[30:33]
	s_nop 7
	s_nop 2
	v_cvt_f16_f32_e32 v2, v2
	v_cvt_f16_f32_e32 v3, v3
	;; [unrolled: 1-line block ×4, first 2 shown]
	v_pack_b32_f16 v2, v2, v3
	v_pack_b32_f16 v3, v4, v5
	ds_bpermute_b32 v4, v26, v27
	s_waitcnt lgkmcnt(0)
	v_add_f32_e32 v4, v27, v4
	ds_bpermute_b32 v5, v19, v4
	s_waitcnt lgkmcnt(0)
	v_add_f32_e32 v19, v4, v5
	s_cbranch_scc0 .LBB25_256
; %bb.254:                              ;   in Loop: Header=BB25_13 Depth=1
	global_load_dword v5, v227, s[8:9]
	v_max_f32_e32 v4, v18, v18
	s_mov_b32 s6, 0xc1a00000
	s_mov_b64 s[8:9], 0
	s_waitcnt vmcnt(0)
	v_max_f32_e32 v6, v5, v5
	v_max_f32_e32 v4, v4, v6
	v_sub_f32_e32 v6, v18, v4
	v_sub_f32_e32 v5, v5, v4
	v_mul_f32_e32 v7, 0x3fb8aa3b, v6
	v_mul_f32_e32 v8, 0x3fb8aa3b, v5
	v_fma_f32 v9, v6, s75, -v7
	v_rndne_f32_e32 v26, v7
	v_fma_f32 v27, v5, s75, -v8
	v_rndne_f32_e32 v28, v8
	v_fmac_f32_e32 v9, 0x32a5705f, v6
	v_sub_f32_e32 v7, v7, v26
	v_fmac_f32_e32 v27, 0x32a5705f, v5
	v_sub_f32_e32 v8, v8, v28
	v_add_f32_e32 v7, v7, v9
	v_cvt_i32_f32_e32 v26, v26
	v_add_f32_e32 v8, v8, v27
	v_exp_f32_e32 v7, v7
	v_cvt_i32_f32_e32 v28, v28
	v_exp_f32_e32 v8, v8
	v_cmp_ngt_f32_e32 vcc, s74, v6
	v_ldexp_f32 v7, v7, v26
	v_cndmask_b32_e32 v7, 0, v7, vcc
	v_ldexp_f32 v8, v8, v28
	v_cmp_ngt_f32_e32 vcc, s74, v5
	v_cndmask_b32_e32 v8, 0, v8, vcc
	v_cmp_nlt_f32_e32 vcc, s65, v6
	v_cndmask_b32_e32 v7, v212, v7, vcc
	v_cmp_le_f32_e32 vcc, s7, v6
	v_cndmask_b32_e32 v6, 0, v7, vcc
	v_cvt_f16_f32_e32 v37, v6
	v_cmp_nlt_f32_e32 vcc, s65, v5
	v_cndmask_b32_e32 v5, v212, v8, vcc
	v_fmac_f32_e32 v5, v19, v6
	v_pk_mul_f16 v6, v37, v10 op_sel_hi:[0,1]
	v_pk_mul_f16 v7, v37, v11 op_sel_hi:[0,1]
	;; [unrolled: 1-line block ×16, first 2 shown]
	s_branch .LBB25_257
.LBB25_255:                             ;   in Loop: Header=BB25_13 Depth=1
                                        ; implicit-def: $vgpr14_vgpr15_vgpr16_vgpr17
                                        ; implicit-def: $vgpr10_vgpr11_vgpr12_vgpr13
                                        ; implicit-def: $vgpr6_vgpr7_vgpr8_vgpr9
                                        ; implicit-def: $vgpr2_vgpr3_vgpr4_vgpr5
	s_mov_b32 s61, s7
	s_branch .LBB25_252
.LBB25_256:                             ;   in Loop: Header=BB25_13 Depth=1
	s_mov_b32 s6, 0xc1a00000
	s_mov_b64 s[8:9], -1
                                        ; implicit-def: $vgpr4_vgpr5
                                        ; implicit-def: $vgpr6_vgpr7
                                        ; implicit-def: $vgpr8_vgpr9
                                        ; implicit-def: $vgpr26_vgpr27
                                        ; implicit-def: $vgpr28_vgpr29
                                        ; implicit-def: $vgpr30_vgpr31
                                        ; implicit-def: $vgpr32_vgpr33
                                        ; implicit-def: $vgpr34_vgpr35
                                        ; implicit-def: $vgpr36_vgpr37
.LBB25_257:                             ;   in Loop: Header=BB25_13 Depth=1
	v_readlane_b32 s96, v254, 26
	v_readlane_b32 s97, v254, 27
	;; [unrolled: 1-line block ×4, first 2 shown]
	s_mov_b32 s7, s61
	v_readlane_b32 s66, v254, 49
	s_andn2_b64 vcc, exec, s[8:9]
	v_readlane_b32 s93, v254, 29
	s_cbranch_vccnz .LBB25_259
; %bb.258:                              ;   in Loop: Header=BB25_13 Depth=1
	v_pk_mov_b32 v[36:37], v[2:3], v[2:3] op_sel:[0,1]
	v_pk_mov_b32 v[34:35], v[24:25], v[24:25] op_sel:[0,1]
	;; [unrolled: 1-line block ×9, first 2 shown]
.LBB25_259:                             ;   in Loop: Header=BB25_13 Depth=1
	s_barrier
	s_mov_b64 s[8:9], exec
	v_readlane_b32 s42, v254, 20
	v_readlane_b32 s43, v254, 21
	s_and_b64 s[42:43], s[8:9], s[42:43]
	s_mov_b64 exec, s[42:43]
	s_cbranch_execz .LBB25_261
; %bb.260:                              ;   in Loop: Header=BB25_13 Depth=1
	buffer_load_dword v2, off, s[0:3], 0 offset:28 ; 4-byte Folded Reload
	buffer_load_dword v3, off, s[0:3], 0 offset:32 ; 4-byte Folded Reload
	s_waitcnt vmcnt(0)
	global_store_dwordx2 v[2:3], v[4:5], off
.LBB25_261:                             ;   in Loop: Header=BB25_13 Depth=1
	s_or_b64 exec, exec, s[8:9]
	v_mov_b32_e32 v2, 50
	ds_write2_b32 v150, v6, v7 offset1:1
	ds_write2_b32 v150, v8, v9 offset0:8 offset1:9
	ds_write2_b32 v150, v26, v27 offset0:16 offset1:17
	;; [unrolled: 1-line block ×7, first 2 shown]
	s_waitcnt lgkmcnt(0)
	s_barrier
	s_mov_b64 s[8:9], exec
	v_readlane_b32 s42, v255, 22
	v_readlane_b32 s43, v255, 23
	s_and_b64 s[42:43], s[8:9], s[42:43]
	s_mov_b64 exec, s[42:43]
	s_cbranch_execz .LBB25_263
; %bb.262:                              ;   in Loop: Header=BB25_13 Depth=1
	buffer_load_dword v2, off, s[0:3], 0 offset:16 ; 4-byte Folded Reload
	v_readlane_b32 s42, v254, 8
	v_mov_b32_e32 v6, s66
	s_waitcnt vmcnt(0)
	ds_read_b32 v4, v2
	v_mad_u64_u32 v[2:3], s[42:43], s42, v125, v[54:55]
	v_ashrrev_i32_e32 v3, 31, v2
	v_lshlrev_b64 v[2:3], 3, v[2:3]
	s_waitcnt lgkmcnt(0)
	v_cvt_f32_f16_sdwa v5, v4 dst_sel:DWORD dst_unused:UNUSED_PAD src0_sel:WORD_1
	v_cvt_f32_f16_e32 v4, v4
	v_add_co_u32_e32 v2, vcc, s7, v2
	v_addc_co_u32_e32 v3, vcc, v6, v3, vcc
	v_pk_add_f32 v[4:5], v[4:5], 0 op_sel_hi:[1,0]
	global_store_dwordx2 v[2:3], v[4:5], off
	v_mov_b32_e32 v2, 0
.LBB25_263:                             ;   in Loop: Header=BB25_13 Depth=1
	s_or_b64 exec, exec, s[8:9]
	v_cmp_gt_i32_e32 vcc, 50, v2
	s_mov_b64 s[46:47], -1
	s_and_saveexec_b64 s[8:9], vcc
; %bb.264:                              ;   in Loop: Header=BB25_13 Depth=1
	v_cmp_eq_u32_e32 vcc, 0, v2
	s_orn2_b64 s[46:47], vcc, exec
; %bb.265:                              ;   in Loop: Header=BB25_13 Depth=1
	s_or_b64 exec, exec, s[8:9]
	s_mov_b64 s[42:43], 0
	s_mov_b64 s[90:91], 0
                                        ; implicit-def: $vgpr2_vgpr3
	s_and_saveexec_b64 s[44:45], s[46:47]
	s_cbranch_execz .LBB25_353
; %bb.266:                              ;   in Loop: Header=BB25_13 Depth=1
	v_mov_b32_e32 v2, 50
	s_mov_b64 s[8:9], exec
	v_readlane_b32 s46, v255, 24
	v_readlane_b32 s47, v255, 25
	s_and_b64 s[46:47], s[8:9], s[46:47]
	s_mov_b64 exec, s[46:47]
	s_cbranch_execz .LBB25_268
; %bb.267:                              ;   in Loop: Header=BB25_13 Depth=1
	ds_read_b32 v4, v252
	v_readlane_b32 s46, v254, 8
	v_mad_u64_u32 v[2:3], s[46:47], s46, v124, v[54:55]
	v_ashrrev_i32_e32 v3, 31, v2
	s_waitcnt lgkmcnt(0)
	v_cvt_f32_f16_sdwa v5, v4 dst_sel:DWORD dst_unused:UNUSED_PAD src0_sel:WORD_1
	v_cvt_f32_f16_e32 v4, v4
	v_lshlrev_b64 v[2:3], 3, v[2:3]
	v_mov_b32_e32 v6, s66
	v_add_co_u32_e32 v2, vcc, s7, v2
	v_addc_co_u32_e32 v3, vcc, v6, v3, vcc
	v_pk_add_f32 v[4:5], v[4:5], 0 op_sel_hi:[1,0]
	global_store_dwordx2 v[2:3], v[4:5], off
	v_mov_b32_e32 v2, 0
.LBB25_268:                             ;   in Loop: Header=BB25_13 Depth=1
	s_or_b64 exec, exec, s[8:9]
	v_cmp_gt_i32_e32 vcc, 50, v2
	s_mov_b64 s[48:49], -1
	s_and_saveexec_b64 s[8:9], vcc
; %bb.269:                              ;   in Loop: Header=BB25_13 Depth=1
	v_cmp_eq_u32_e32 vcc, 0, v2
	s_orn2_b64 s[48:49], vcc, exec
; %bb.270:                              ;   in Loop: Header=BB25_13 Depth=1
	s_or_b64 exec, exec, s[8:9]
	s_mov_b64 s[46:47], 0
                                        ; implicit-def: $vgpr2_vgpr3
	s_and_saveexec_b64 s[8:9], s[48:49]
	s_cbranch_execz .LBB25_352
; %bb.271:                              ;   in Loop: Header=BB25_13 Depth=1
	v_mov_b32_e32 v2, 50
	s_mov_b64 s[46:47], exec
	v_readlane_b32 s48, v255, 26
	v_readlane_b32 s49, v255, 27
	s_and_b64 s[48:49], s[46:47], s[48:49]
	s_mov_b64 exec, s[48:49]
	s_cbranch_execz .LBB25_273
; %bb.272:                              ;   in Loop: Header=BB25_13 Depth=1
	ds_read_b32 v4, v208
	v_readlane_b32 s48, v254, 8
	v_mad_u64_u32 v[2:3], s[48:49], s48, v123, v[54:55]
	v_ashrrev_i32_e32 v3, 31, v2
	s_waitcnt lgkmcnt(0)
	v_cvt_f32_f16_sdwa v5, v4 dst_sel:DWORD dst_unused:UNUSED_PAD src0_sel:WORD_1
	v_cvt_f32_f16_e32 v4, v4
	v_lshlrev_b64 v[2:3], 3, v[2:3]
	v_mov_b32_e32 v6, s66
	v_add_co_u32_e32 v2, vcc, s7, v2
	v_addc_co_u32_e32 v3, vcc, v6, v3, vcc
	v_pk_add_f32 v[4:5], v[4:5], 0 op_sel_hi:[1,0]
	global_store_dwordx2 v[2:3], v[4:5], off
	v_mov_b32_e32 v2, 0
.LBB25_273:                             ;   in Loop: Header=BB25_13 Depth=1
	s_or_b64 exec, exec, s[46:47]
	v_cmp_gt_i32_e32 vcc, 50, v2
	s_mov_b64 s[50:51], -1
	s_and_saveexec_b64 s[46:47], vcc
; %bb.274:                              ;   in Loop: Header=BB25_13 Depth=1
	v_cmp_eq_u32_e32 vcc, 0, v2
	s_orn2_b64 s[50:51], vcc, exec
; %bb.275:                              ;   in Loop: Header=BB25_13 Depth=1
	s_or_b64 exec, exec, s[46:47]
	;; [unrolled: 37-line block ×3, first 2 shown]
	s_mov_b64 s[50:51], 0
                                        ; implicit-def: $vgpr2_vgpr3
	s_and_saveexec_b64 s[48:49], s[52:53]
	s_cbranch_execz .LBB25_350
; %bb.281:                              ;   in Loop: Header=BB25_13 Depth=1
	v_mov_b32_e32 v2, 50
	s_mov_b64 s[50:51], exec
	v_readlane_b32 s52, v255, 30
	v_readlane_b32 s53, v255, 31
	s_and_b64 s[52:53], s[50:51], s[52:53]
	s_mov_b64 exec, s[52:53]
	s_cbranch_execz .LBB25_283
; %bb.282:                              ;   in Loop: Header=BB25_13 Depth=1
	buffer_load_dword v2, off, s[0:3], 0 offset:156 ; 4-byte Folded Reload
	v_readlane_b32 s52, v254, 8
	v_mov_b32_e32 v6, s66
	s_waitcnt vmcnt(0)
	ds_read_b32 v4, v2
	v_mad_u64_u32 v[2:3], s[52:53], s52, v121, v[54:55]
	v_ashrrev_i32_e32 v3, 31, v2
	v_lshlrev_b64 v[2:3], 3, v[2:3]
	s_waitcnt lgkmcnt(0)
	v_cvt_f32_f16_sdwa v5, v4 dst_sel:DWORD dst_unused:UNUSED_PAD src0_sel:WORD_1
	v_cvt_f32_f16_e32 v4, v4
	v_add_co_u32_e32 v2, vcc, s7, v2
	v_addc_co_u32_e32 v3, vcc, v6, v3, vcc
	v_pk_add_f32 v[4:5], v[4:5], 0 op_sel_hi:[1,0]
	global_store_dwordx2 v[2:3], v[4:5], off
	v_mov_b32_e32 v2, 0
.LBB25_283:                             ;   in Loop: Header=BB25_13 Depth=1
	s_or_b64 exec, exec, s[50:51]
	v_cmp_gt_i32_e32 vcc, 50, v2
	s_mov_b64 s[54:55], -1
	s_and_saveexec_b64 s[50:51], vcc
; %bb.284:                              ;   in Loop: Header=BB25_13 Depth=1
	v_cmp_eq_u32_e32 vcc, 0, v2
	s_orn2_b64 s[54:55], vcc, exec
; %bb.285:                              ;   in Loop: Header=BB25_13 Depth=1
	s_or_b64 exec, exec, s[50:51]
	s_mov_b64 s[52:53], 0
                                        ; implicit-def: $vgpr2_vgpr3
	s_and_saveexec_b64 s[50:51], s[54:55]
	s_cbranch_execz .LBB25_349
; %bb.286:                              ;   in Loop: Header=BB25_13 Depth=1
	v_mov_b32_e32 v2, 50
	s_mov_b64 s[52:53], exec
	v_readlane_b32 s54, v255, 32
	v_readlane_b32 s55, v255, 33
	s_and_b64 s[54:55], s[52:53], s[54:55]
	s_mov_b64 exec, s[54:55]
	s_cbranch_execz .LBB25_288
; %bb.287:                              ;   in Loop: Header=BB25_13 Depth=1
	ds_read_b32 v4, v204 offset:2176
	v_readlane_b32 s54, v254, 8
	v_mad_u64_u32 v[2:3], s[54:55], s54, v120, v[54:55]
	v_ashrrev_i32_e32 v3, 31, v2
	s_waitcnt lgkmcnt(0)
	v_cvt_f32_f16_sdwa v5, v4 dst_sel:DWORD dst_unused:UNUSED_PAD src0_sel:WORD_1
	v_cvt_f32_f16_e32 v4, v4
	v_lshlrev_b64 v[2:3], 3, v[2:3]
	v_mov_b32_e32 v6, s66
	v_add_co_u32_e32 v2, vcc, s7, v2
	v_addc_co_u32_e32 v3, vcc, v6, v3, vcc
	v_pk_add_f32 v[4:5], v[4:5], 0 op_sel_hi:[1,0]
	global_store_dwordx2 v[2:3], v[4:5], off
	v_mov_b32_e32 v2, 0
.LBB25_288:                             ;   in Loop: Header=BB25_13 Depth=1
	s_or_b64 exec, exec, s[52:53]
	v_cmp_gt_i32_e32 vcc, 50, v2
	s_mov_b64 s[56:57], -1
	s_and_saveexec_b64 s[52:53], vcc
; %bb.289:                              ;   in Loop: Header=BB25_13 Depth=1
	v_cmp_eq_u32_e32 vcc, 0, v2
	s_orn2_b64 s[56:57], vcc, exec
; %bb.290:                              ;   in Loop: Header=BB25_13 Depth=1
	s_or_b64 exec, exec, s[52:53]
	s_mov_b64 s[54:55], 0
                                        ; implicit-def: $vgpr2_vgpr3
	s_and_saveexec_b64 s[52:53], s[56:57]
	s_cbranch_execz .LBB25_348
; %bb.291:                              ;   in Loop: Header=BB25_13 Depth=1
	v_mov_b32_e32 v2, 50
	s_mov_b64 s[54:55], exec
	v_readlane_b32 s56, v255, 34
	v_readlane_b32 s57, v255, 35
	s_and_b64 s[56:57], s[54:55], s[56:57]
	s_mov_b64 exec, s[56:57]
	s_cbranch_execz .LBB25_293
; %bb.292:                              ;   in Loop: Header=BB25_13 Depth=1
	ds_read_b32 v4, v204 offset:3264
	v_readlane_b32 s56, v254, 8
	v_mad_u64_u32 v[2:3], s[56:57], s56, v119, v[54:55]
	v_ashrrev_i32_e32 v3, 31, v2
	s_waitcnt lgkmcnt(0)
	v_cvt_f32_f16_sdwa v5, v4 dst_sel:DWORD dst_unused:UNUSED_PAD src0_sel:WORD_1
	v_cvt_f32_f16_e32 v4, v4
	v_lshlrev_b64 v[2:3], 3, v[2:3]
	v_mov_b32_e32 v6, s66
	v_add_co_u32_e32 v2, vcc, s7, v2
	v_addc_co_u32_e32 v3, vcc, v6, v3, vcc
	v_pk_add_f32 v[4:5], v[4:5], 0 op_sel_hi:[1,0]
	global_store_dwordx2 v[2:3], v[4:5], off
	v_mov_b32_e32 v2, 0
.LBB25_293:                             ;   in Loop: Header=BB25_13 Depth=1
	;; [unrolled: 37-line block ×3, first 2 shown]
	s_or_b64 exec, exec, s[56:57]
	v_cmp_gt_i32_e32 vcc, 50, v2
	s_mov_b64 s[76:77], -1
	s_and_saveexec_b64 s[56:57], vcc
; %bb.299:                              ;   in Loop: Header=BB25_13 Depth=1
	v_cmp_eq_u32_e32 vcc, 0, v2
	s_orn2_b64 s[76:77], vcc, exec
; %bb.300:                              ;   in Loop: Header=BB25_13 Depth=1
	s_or_b64 exec, exec, s[56:57]
	s_mov_b64 s[60:61], 0
                                        ; implicit-def: $vgpr2_vgpr3
	s_and_saveexec_b64 s[56:57], s[76:77]
	s_cbranch_execz .LBB25_346
; %bb.301:                              ;   in Loop: Header=BB25_13 Depth=1
	v_mov_b32_e32 v2, 50
	s_mov_b64 s[60:61], exec
	v_readlane_b32 s76, v255, 38
	v_readlane_b32 s77, v255, 39
	s_and_b64 s[76:77], s[60:61], s[76:77]
	s_mov_b64 exec, s[76:77]
	s_cbranch_execz .LBB25_303
; %bb.302:                              ;   in Loop: Header=BB25_13 Depth=1
	buffer_load_dword v2, off, s[0:3], 0 offset:164 ; 4-byte Folded Reload
	v_readlane_b32 s66, v254, 8
	s_waitcnt vmcnt(0)
	ds_read_b32 v4, v2
	v_mad_u64_u32 v[2:3], s[76:77], s66, v117, v[54:55]
	v_ashrrev_i32_e32 v3, 31, v2
	v_readlane_b32 s66, v254, 49
	s_waitcnt lgkmcnt(0)
	v_cvt_f32_f16_sdwa v5, v4 dst_sel:DWORD dst_unused:UNUSED_PAD src0_sel:WORD_1
	v_cvt_f32_f16_e32 v4, v4
	v_lshlrev_b64 v[2:3], 3, v[2:3]
	v_mov_b32_e32 v6, s66
	v_add_co_u32_e32 v2, vcc, s7, v2
	v_addc_co_u32_e32 v3, vcc, v6, v3, vcc
	v_pk_add_f32 v[4:5], v[4:5], 0 op_sel_hi:[1,0]
	global_store_dwordx2 v[2:3], v[4:5], off
	v_mov_b32_e32 v2, 0
.LBB25_303:                             ;   in Loop: Header=BB25_13 Depth=1
	s_or_b64 exec, exec, s[60:61]
	v_cmp_gt_i32_e32 vcc, 50, v2
	s_mov_b64 s[78:79], -1
	s_and_saveexec_b64 s[60:61], vcc
; %bb.304:                              ;   in Loop: Header=BB25_13 Depth=1
	v_cmp_eq_u32_e32 vcc, 0, v2
	s_orn2_b64 s[78:79], vcc, exec
; %bb.305:                              ;   in Loop: Header=BB25_13 Depth=1
	s_or_b64 exec, exec, s[60:61]
	s_mov_b64 s[76:77], 0
                                        ; implicit-def: $vgpr2_vgpr3
	s_and_saveexec_b64 s[60:61], s[78:79]
	s_cbranch_execz .LBB25_345
; %bb.306:                              ;   in Loop: Header=BB25_13 Depth=1
	v_mov_b32_e32 v2, 50
	s_mov_b64 s[76:77], exec
	v_readlane_b32 s78, v255, 40
	v_readlane_b32 s79, v255, 41
	s_and_b64 s[78:79], s[76:77], s[78:79]
	s_mov_b64 exec, s[78:79]
	s_cbranch_execz .LBB25_308
; %bb.307:                              ;   in Loop: Header=BB25_13 Depth=1
	ds_read_b32 v4, v204 offset:6528
	v_readlane_b32 s66, v254, 8
	v_mad_u64_u32 v[2:3], s[78:79], s66, v116, v[54:55]
	v_ashrrev_i32_e32 v3, 31, v2
	s_waitcnt lgkmcnt(0)
	v_cvt_f32_f16_sdwa v5, v4 dst_sel:DWORD dst_unused:UNUSED_PAD src0_sel:WORD_1
	v_cvt_f32_f16_e32 v4, v4
	v_readlane_b32 s66, v254, 49
	v_lshlrev_b64 v[2:3], 3, v[2:3]
	v_mov_b32_e32 v6, s66
	v_add_co_u32_e32 v2, vcc, s7, v2
	v_addc_co_u32_e32 v3, vcc, v6, v3, vcc
	v_pk_add_f32 v[4:5], v[4:5], 0 op_sel_hi:[1,0]
	global_store_dwordx2 v[2:3], v[4:5], off
	v_mov_b32_e32 v2, 0
.LBB25_308:                             ;   in Loop: Header=BB25_13 Depth=1
	s_or_b64 exec, exec, s[76:77]
	v_cmp_gt_i32_e32 vcc, 50, v2
	s_mov_b64 s[80:81], -1
	s_and_saveexec_b64 s[76:77], vcc
; %bb.309:                              ;   in Loop: Header=BB25_13 Depth=1
	v_cmp_eq_u32_e32 vcc, 0, v2
	s_orn2_b64 s[80:81], vcc, exec
; %bb.310:                              ;   in Loop: Header=BB25_13 Depth=1
	s_or_b64 exec, exec, s[76:77]
	s_mov_b64 s[78:79], 0
                                        ; implicit-def: $vgpr2_vgpr3
	s_and_saveexec_b64 s[76:77], s[80:81]
	s_cbranch_execz .LBB25_344
; %bb.311:                              ;   in Loop: Header=BB25_13 Depth=1
	v_mov_b32_e32 v2, 50
	s_mov_b64 s[78:79], exec
	v_readlane_b32 s80, v255, 42
	v_readlane_b32 s81, v255, 43
	s_and_b64 s[80:81], s[78:79], s[80:81]
	s_mov_b64 exec, s[80:81]
	s_cbranch_execz .LBB25_313
; %bb.312:                              ;   in Loop: Header=BB25_13 Depth=1
	ds_read_b32 v4, v204 offset:7616
	v_readlane_b32 s66, v254, 8
	v_mad_u64_u32 v[2:3], s[80:81], s66, v79, v[54:55]
	v_ashrrev_i32_e32 v3, 31, v2
	s_waitcnt lgkmcnt(0)
	v_cvt_f32_f16_sdwa v5, v4 dst_sel:DWORD dst_unused:UNUSED_PAD src0_sel:WORD_1
	v_cvt_f32_f16_e32 v4, v4
	v_readlane_b32 s66, v254, 49
	v_lshlrev_b64 v[2:3], 3, v[2:3]
	v_mov_b32_e32 v6, s66
	v_add_co_u32_e32 v2, vcc, s7, v2
	v_addc_co_u32_e32 v3, vcc, v6, v3, vcc
	v_pk_add_f32 v[4:5], v[4:5], 0 op_sel_hi:[1,0]
	global_store_dwordx2 v[2:3], v[4:5], off
	v_mov_b32_e32 v2, 0
.LBB25_313:                             ;   in Loop: Header=BB25_13 Depth=1
	;; [unrolled: 38-line block ×3, first 2 shown]
	s_or_b64 exec, exec, s[80:81]
	v_cmp_gt_i32_e32 vcc, 50, v2
	s_mov_b64 s[84:85], -1
	s_and_saveexec_b64 s[80:81], vcc
; %bb.319:                              ;   in Loop: Header=BB25_13 Depth=1
	v_cmp_eq_u32_e32 vcc, 0, v2
	s_orn2_b64 s[84:85], vcc, exec
; %bb.320:                              ;   in Loop: Header=BB25_13 Depth=1
	s_or_b64 exec, exec, s[80:81]
	s_mov_b64 s[82:83], 0
                                        ; implicit-def: $vgpr2_vgpr3
	s_and_saveexec_b64 s[80:81], s[84:85]
	s_cbranch_execz .LBB25_342
; %bb.321:                              ;   in Loop: Header=BB25_13 Depth=1
	v_mov_b32_e32 v2, 50
	s_mov_b64 s[82:83], exec
	v_readlane_b32 s84, v255, 46
	v_readlane_b32 s85, v255, 47
	s_and_b64 s[84:85], s[82:83], s[84:85]
	s_mov_b64 exec, s[84:85]
	s_cbranch_execz .LBB25_323
; %bb.322:                              ;   in Loop: Header=BB25_13 Depth=1
	buffer_load_dword v2, off, s[0:3], 0 offset:172 ; 4-byte Folded Reload
	v_readlane_b32 s66, v254, 8
	s_waitcnt vmcnt(0)
	ds_read_b32 v4, v2
	v_mad_u64_u32 v[2:3], s[84:85], s66, v57, v[54:55]
	v_ashrrev_i32_e32 v3, 31, v2
	v_readlane_b32 s66, v254, 49
	s_waitcnt lgkmcnt(0)
	v_cvt_f32_f16_sdwa v5, v4 dst_sel:DWORD dst_unused:UNUSED_PAD src0_sel:WORD_1
	v_cvt_f32_f16_e32 v4, v4
	v_lshlrev_b64 v[2:3], 3, v[2:3]
	v_mov_b32_e32 v6, s66
	v_add_co_u32_e32 v2, vcc, s7, v2
	v_addc_co_u32_e32 v3, vcc, v6, v3, vcc
	v_pk_add_f32 v[4:5], v[4:5], 0 op_sel_hi:[1,0]
	global_store_dwordx2 v[2:3], v[4:5], off
	v_mov_b32_e32 v2, 0
.LBB25_323:                             ;   in Loop: Header=BB25_13 Depth=1
	s_or_b64 exec, exec, s[82:83]
	v_cmp_gt_i32_e32 vcc, 50, v2
	s_mov_b64 s[86:87], -1
	s_and_saveexec_b64 s[82:83], vcc
; %bb.324:                              ;   in Loop: Header=BB25_13 Depth=1
	v_cmp_eq_u32_e32 vcc, 0, v2
	s_orn2_b64 s[86:87], vcc, exec
; %bb.325:                              ;   in Loop: Header=BB25_13 Depth=1
	s_or_b64 exec, exec, s[82:83]
	s_mov_b64 s[84:85], 0
                                        ; implicit-def: $vgpr2_vgpr3
	s_and_saveexec_b64 s[82:83], s[86:87]
	s_cbranch_execz .LBB25_341
; %bb.326:                              ;   in Loop: Header=BB25_13 Depth=1
	v_mov_b32_e32 v2, 50
	s_mov_b64 s[84:85], exec
	v_readlane_b32 s86, v255, 48
	v_readlane_b32 s87, v255, 49
	s_and_b64 s[86:87], s[84:85], s[86:87]
	s_mov_b64 exec, s[86:87]
	s_cbranch_execz .LBB25_328
; %bb.327:                              ;   in Loop: Header=BB25_13 Depth=1
	ds_read_b32 v4, v204 offset:10880
	v_readlane_b32 s66, v254, 8
	v_mad_u64_u32 v[2:3], s[86:87], s66, v55, v[54:55]
	v_ashrrev_i32_e32 v3, 31, v2
	s_waitcnt lgkmcnt(0)
	v_cvt_f32_f16_sdwa v5, v4 dst_sel:DWORD dst_unused:UNUSED_PAD src0_sel:WORD_1
	v_cvt_f32_f16_e32 v4, v4
	v_readlane_b32 s66, v254, 49
	v_lshlrev_b64 v[2:3], 3, v[2:3]
	v_mov_b32_e32 v6, s66
	v_add_co_u32_e32 v2, vcc, s7, v2
	v_addc_co_u32_e32 v3, vcc, v6, v3, vcc
	v_pk_add_f32 v[4:5], v[4:5], 0 op_sel_hi:[1,0]
	global_store_dwordx2 v[2:3], v[4:5], off
	v_mov_b32_e32 v2, 0
.LBB25_328:                             ;   in Loop: Header=BB25_13 Depth=1
	s_or_b64 exec, exec, s[84:85]
	v_cmp_gt_i32_e32 vcc, 50, v2
	s_mov_b64 s[88:89], -1
	s_and_saveexec_b64 s[84:85], vcc
; %bb.329:                              ;   in Loop: Header=BB25_13 Depth=1
	v_cmp_eq_u32_e32 vcc, 0, v2
	s_orn2_b64 s[88:89], vcc, exec
; %bb.330:                              ;   in Loop: Header=BB25_13 Depth=1
	s_or_b64 exec, exec, s[84:85]
	s_mov_b64 s[86:87], 0
                                        ; implicit-def: $vgpr2_vgpr3
	s_and_saveexec_b64 s[84:85], s[88:89]
	s_cbranch_execz .LBB25_340
; %bb.331:                              ;   in Loop: Header=BB25_13 Depth=1
	v_mov_b32_e32 v2, 50
	s_mov_b64 s[86:87], exec
	v_readlane_b32 s88, v255, 50
	v_readlane_b32 s89, v255, 51
	s_and_b64 s[88:89], s[86:87], s[88:89]
	s_mov_b64 exec, s[88:89]
	s_cbranch_execz .LBB25_333
; %bb.332:                              ;   in Loop: Header=BB25_13 Depth=1
	ds_read_b32 v4, v204 offset:11968
	v_readlane_b32 s66, v254, 8
	v_mad_u64_u32 v[2:3], s[88:89], s66, v1, v[54:55]
	v_ashrrev_i32_e32 v3, 31, v2
	s_waitcnt lgkmcnt(0)
	v_cvt_f32_f16_sdwa v5, v4 dst_sel:DWORD dst_unused:UNUSED_PAD src0_sel:WORD_1
	v_cvt_f32_f16_e32 v4, v4
	v_readlane_b32 s66, v254, 49
	v_lshlrev_b64 v[2:3], 3, v[2:3]
	v_mov_b32_e32 v1, s66
	v_add_co_u32_e32 v2, vcc, s7, v2
	v_addc_co_u32_e32 v3, vcc, v1, v3, vcc
	v_pk_add_f32 v[4:5], v[4:5], 0 op_sel_hi:[1,0]
	global_store_dwordx2 v[2:3], v[4:5], off
	v_mov_b32_e32 v2, 0
.LBB25_333:                             ;   in Loop: Header=BB25_13 Depth=1
	s_or_b64 exec, exec, s[86:87]
	v_cmp_gt_i32_e32 vcc, 50, v2
	s_mov_b64 s[90:91], -1
	s_and_saveexec_b64 s[86:87], vcc
; %bb.334:                              ;   in Loop: Header=BB25_13 Depth=1
	v_cmp_eq_u32_e32 vcc, 0, v2
	s_orn2_b64 s[90:91], vcc, exec
; %bb.335:                              ;   in Loop: Header=BB25_13 Depth=1
	s_or_b64 exec, exec, s[86:87]
	s_mov_b64 s[88:89], 0
                                        ; implicit-def: $vgpr2_vgpr3
	s_and_saveexec_b64 s[86:87], s[90:91]
	s_cbranch_execz .LBB25_339
; %bb.336:                              ;   in Loop: Header=BB25_13 Depth=1
                                        ; implicit-def: $vgpr2_vgpr3
	s_mov_b64 s[90:91], exec
	v_readlane_b32 s92, v255, 52
	v_readlane_b32 s93, v255, 53
	s_and_b64 s[92:93], s[90:91], s[92:93]
	s_xor_b64 s[90:91], s[92:93], s[90:91]
	s_mov_b64 exec, s[92:93]
	s_cbranch_execz .LBB25_338
; %bb.337:                              ;   in Loop: Header=BB25_13 Depth=1
	ds_read_b32 v1, v204 offset:13056
	s_mov_b64 s[88:89], exec
	s_waitcnt lgkmcnt(0)
	v_cvt_f32_f16_sdwa v3, v1 dst_sel:DWORD dst_unused:UNUSED_PAD src0_sel:WORD_1
	v_cvt_f32_f16_e32 v2, v1
	v_pk_add_f32 v[2:3], v[2:3], 0 op_sel_hi:[1,0]
.LBB25_338:                             ;   in Loop: Header=BB25_13 Depth=1
	s_or_b64 exec, exec, s[90:91]
	s_and_b64 s[88:89], s[88:89], exec
	v_readlane_b32 s92, v254, 28
	v_readlane_b32 s93, v254, 29
.LBB25_339:                             ;   in Loop: Header=BB25_13 Depth=1
	s_or_b64 exec, exec, s[86:87]
	s_and_b64 s[86:87], s[88:89], exec
.LBB25_340:                             ;   in Loop: Header=BB25_13 Depth=1
	s_or_b64 exec, exec, s[84:85]
	s_and_b64 s[84:85], s[86:87], exec
.LBB25_341:                             ;   in Loop: Header=BB25_13 Depth=1
	s_or_b64 exec, exec, s[82:83]
	s_and_b64 s[82:83], s[84:85], exec
.LBB25_342:                             ;   in Loop: Header=BB25_13 Depth=1
	s_or_b64 exec, exec, s[80:81]
	s_and_b64 s[80:81], s[82:83], exec
.LBB25_343:                             ;   in Loop: Header=BB25_13 Depth=1
	s_or_b64 exec, exec, s[78:79]
	s_and_b64 s[78:79], s[80:81], exec
.LBB25_344:                             ;   in Loop: Header=BB25_13 Depth=1
	s_or_b64 exec, exec, s[76:77]
	s_and_b64 s[76:77], s[78:79], exec
.LBB25_345:                             ;   in Loop: Header=BB25_13 Depth=1
	s_or_b64 exec, exec, s[60:61]
	s_and_b64 s[60:61], s[76:77], exec
.LBB25_346:                             ;   in Loop: Header=BB25_13 Depth=1
	s_or_b64 exec, exec, s[56:57]
	s_and_b64 s[56:57], s[60:61], exec
.LBB25_347:                             ;   in Loop: Header=BB25_13 Depth=1
	s_or_b64 exec, exec, s[54:55]
	s_and_b64 s[54:55], s[56:57], exec
.LBB25_348:                             ;   in Loop: Header=BB25_13 Depth=1
	s_or_b64 exec, exec, s[52:53]
	s_and_b64 s[52:53], s[54:55], exec
.LBB25_349:                             ;   in Loop: Header=BB25_13 Depth=1
	s_or_b64 exec, exec, s[50:51]
	s_and_b64 s[50:51], s[52:53], exec
.LBB25_350:                             ;   in Loop: Header=BB25_13 Depth=1
	s_or_b64 exec, exec, s[48:49]
	s_and_b64 s[48:49], s[50:51], exec
.LBB25_351:                             ;   in Loop: Header=BB25_13 Depth=1
	s_or_b64 exec, exec, s[46:47]
	s_and_b64 s[46:47], s[48:49], exec
.LBB25_352:                             ;   in Loop: Header=BB25_13 Depth=1
	s_or_b64 exec, exec, s[8:9]
	s_and_b64 s[90:91], s[46:47], exec
.LBB25_353:                             ;   in Loop: Header=BB25_13 Depth=1
	s_or_b64 exec, exec, s[44:45]
	s_and_b64 vcc, exec, s[42:43]
	s_cbranch_vccz .LBB25_687
.LBB25_354:                             ;   in Loop: Header=BB25_13 Depth=1
	v_readlane_b32 s6, v254, 32
	s_lshl_b32 s8, s6, 6
	v_add_u32_e32 v224, s8, v148
	v_readlane_b32 s52, v253, 50
	v_cmp_gt_i32_e64 s[42:43], s52, v224
	v_writelane_b32 v254, s42, 50
	v_writelane_b32 v254, s43, 51
	v_cmp_le_i32_e32 vcc, s52, v224
	v_readlane_b32 s53, v253, 51
	v_readlane_b32 s54, v253, 52
	;; [unrolled: 1-line block ×3, first 2 shown]
	s_and_saveexec_b64 s[42:43], vcc
	s_xor_b64 s[42:43], exec, s[42:43]
	s_cbranch_execz .LBB25_356
; %bb.355:                              ;   in Loop: Header=BB25_13 Depth=1
	buffer_load_dword v1, off, s[0:3], 0 offset:16 ; 4-byte Folded Reload
	s_waitcnt vmcnt(0)
	ds_write_b32 v1, v227
.LBB25_356:                             ;   in Loop: Header=BB25_13 Depth=1
	s_or_saveexec_b64 s[42:43], s[42:43]
	s_mov_b32 s6, 0xc1a00000
	v_readlane_b32 s47, v253, 33
	v_readlane_b32 s46, v254, 41
	;; [unrolled: 1-line block ×3, first 2 shown]
	s_xor_b64 exec, exec, s[42:43]
	s_cbranch_execz .LBB25_358
; %bb.357:                              ;   in Loop: Header=BB25_13 Depth=1
	v_mad_u64_u32 v[2:3], s[44:45], v224, s95, v[54:55]
	v_ashrrev_i32_e32 v3, 31, v2
	v_lshlrev_b64 v[2:3], 3, v[2:3]
	v_mov_b32_e32 v1, s48
	v_add_co_u32_e32 v2, vcc, s46, v2
	v_addc_co_u32_e32 v3, vcc, v1, v3, vcc
	global_load_dwordx2 v[2:3], v[2:3], off
	s_waitcnt vmcnt(0)
	v_cvt_f16_f32_e32 v1, v2
	v_cvt_f16_f32_e32 v2, v3
	v_pack_b32_f16 v1, v1, v2
	buffer_load_dword v2, off, s[0:3], 0 offset:16 ; 4-byte Folded Reload
	v_pk_mul_f16 v1, v149, v1
	s_waitcnt vmcnt(0)
	ds_write_b32 v2, v1
.LBB25_358:                             ;   in Loop: Header=BB25_13 Depth=1
	s_or_b64 exec, exec, s[42:43]
	v_add_u32_e32 v1, 4, v148
	v_add_u32_e32 v223, s8, v1
	v_cmp_gt_i32_e64 s[42:43], s52, v223
	v_writelane_b32 v254, s42, 52
	v_writelane_b32 v254, s43, 53
	v_cmp_le_i32_e32 vcc, s52, v223
	s_and_saveexec_b64 s[42:43], vcc
	s_xor_b64 s[42:43], exec, s[42:43]
	s_cbranch_execz .LBB25_360
; %bb.359:                              ;   in Loop: Header=BB25_13 Depth=1
	ds_write_b32 v252, v227
.LBB25_360:                             ;   in Loop: Header=BB25_13 Depth=1
	s_andn2_saveexec_b64 s[42:43], s[42:43]
	s_cbranch_execz .LBB25_362
; %bb.361:                              ;   in Loop: Header=BB25_13 Depth=1
	v_mad_u64_u32 v[2:3], s[44:45], v223, s95, v[54:55]
	v_ashrrev_i32_e32 v3, 31, v2
	v_lshlrev_b64 v[2:3], 3, v[2:3]
	v_mov_b32_e32 v1, s48
	v_add_co_u32_e32 v2, vcc, s46, v2
	v_addc_co_u32_e32 v3, vcc, v1, v3, vcc
	global_load_dwordx2 v[2:3], v[2:3], off
	s_waitcnt vmcnt(0)
	v_cvt_f16_f32_e32 v1, v2
	v_cvt_f16_f32_e32 v2, v3
	v_pack_b32_f16 v1, v1, v2
	v_pk_mul_f16 v1, v149, v1
	ds_write_b32 v252, v1
.LBB25_362:                             ;   in Loop: Header=BB25_13 Depth=1
	s_or_b64 exec, exec, s[42:43]
	v_add_u32_e32 v1, 8, v148
	v_add_u32_e32 v222, s8, v1
	v_cmp_gt_i32_e64 s[42:43], s52, v222
	v_writelane_b32 v254, s42, 54
	v_writelane_b32 v254, s43, 55
	v_cmp_le_i32_e32 vcc, s52, v222
	s_and_saveexec_b64 s[42:43], vcc
	s_xor_b64 s[42:43], exec, s[42:43]
	s_cbranch_execz .LBB25_364
; %bb.363:                              ;   in Loop: Header=BB25_13 Depth=1
	ds_write_b32 v208, v227
.LBB25_364:                             ;   in Loop: Header=BB25_13 Depth=1
	s_andn2_saveexec_b64 s[42:43], s[42:43]
	s_cbranch_execz .LBB25_366
; %bb.365:                              ;   in Loop: Header=BB25_13 Depth=1
	v_mad_u64_u32 v[2:3], s[44:45], v222, s95, v[54:55]
	v_ashrrev_i32_e32 v3, 31, v2
	v_lshlrev_b64 v[2:3], 3, v[2:3]
	v_mov_b32_e32 v1, s48
	v_add_co_u32_e32 v2, vcc, s46, v2
	v_addc_co_u32_e32 v3, vcc, v1, v3, vcc
	global_load_dwordx2 v[2:3], v[2:3], off
	s_waitcnt vmcnt(0)
	v_cvt_f16_f32_e32 v1, v2
	v_cvt_f16_f32_e32 v2, v3
	v_pack_b32_f16 v1, v1, v2
	v_pk_mul_f16 v1, v149, v1
	ds_write_b32 v208, v1
.LBB25_366:                             ;   in Loop: Header=BB25_13 Depth=1
	;; [unrolled: 30-line block ×3, first 2 shown]
	s_or_b64 exec, exec, s[42:43]
	v_add_u32_e32 v1, 16, v148
	v_add_u32_e32 v220, s8, v1
	v_cmp_gt_i32_e64 s[42:43], s52, v220
	v_writelane_b32 v254, s42, 58
	v_writelane_b32 v254, s43, 59
	v_cmp_le_i32_e32 vcc, s52, v220
	s_and_saveexec_b64 s[42:43], vcc
	s_xor_b64 s[42:43], exec, s[42:43]
	s_cbranch_execz .LBB25_372
; %bb.371:                              ;   in Loop: Header=BB25_13 Depth=1
	ds_write_b32 v204, v227 offset:1088
.LBB25_372:                             ;   in Loop: Header=BB25_13 Depth=1
	s_andn2_saveexec_b64 s[42:43], s[42:43]
	s_cbranch_execz .LBB25_374
; %bb.373:                              ;   in Loop: Header=BB25_13 Depth=1
	v_mad_u64_u32 v[2:3], s[44:45], v220, s95, v[54:55]
	v_ashrrev_i32_e32 v3, 31, v2
	v_lshlrev_b64 v[2:3], 3, v[2:3]
	v_mov_b32_e32 v1, s48
	v_add_co_u32_e32 v2, vcc, s46, v2
	v_addc_co_u32_e32 v3, vcc, v1, v3, vcc
	global_load_dwordx2 v[2:3], v[2:3], off
	s_waitcnt vmcnt(0)
	v_cvt_f16_f32_e32 v1, v2
	v_cvt_f16_f32_e32 v2, v3
	v_pack_b32_f16 v1, v1, v2
	v_pk_mul_f16 v1, v149, v1
	ds_write_b32 v204, v1 offset:1088
.LBB25_374:                             ;   in Loop: Header=BB25_13 Depth=1
	s_or_b64 exec, exec, s[42:43]
	v_add_u32_e32 v1, 20, v148
	v_add_u32_e32 v219, s8, v1
	v_cmp_gt_i32_e64 s[42:43], s52, v219
	v_writelane_b32 v254, s42, 60
	v_writelane_b32 v254, s43, 61
	v_cmp_le_i32_e32 vcc, s52, v219
	s_and_saveexec_b64 s[42:43], vcc
	s_xor_b64 s[42:43], exec, s[42:43]
	s_cbranch_execz .LBB25_376
; %bb.375:                              ;   in Loop: Header=BB25_13 Depth=1
	ds_write_b32 v204, v227 offset:2176
.LBB25_376:                             ;   in Loop: Header=BB25_13 Depth=1
	s_andn2_saveexec_b64 s[42:43], s[42:43]
	s_cbranch_execz .LBB25_378
; %bb.377:                              ;   in Loop: Header=BB25_13 Depth=1
	v_mad_u64_u32 v[2:3], s[44:45], v219, s95, v[54:55]
	v_ashrrev_i32_e32 v3, 31, v2
	v_lshlrev_b64 v[2:3], 3, v[2:3]
	v_mov_b32_e32 v1, s48
	v_add_co_u32_e32 v2, vcc, s46, v2
	v_addc_co_u32_e32 v3, vcc, v1, v3, vcc
	global_load_dwordx2 v[2:3], v[2:3], off
	s_waitcnt vmcnt(0)
	v_cvt_f16_f32_e32 v1, v2
	v_cvt_f16_f32_e32 v2, v3
	v_pack_b32_f16 v1, v1, v2
	v_pk_mul_f16 v1, v149, v1
	ds_write_b32 v204, v1 offset:2176
.LBB25_378:                             ;   in Loop: Header=BB25_13 Depth=1
	;; [unrolled: 30-line block ×12, first 2 shown]
	s_or_b64 exec, exec, s[42:43]
	s_waitcnt lgkmcnt(0)
	s_barrier
	ds_read2_b64 v[14:17], v150 offset1:4
	ds_read2_b64 v[10:13], v150 offset0:8 offset1:12
	ds_read2_b64 v[6:9], v150 offset0:16 offset1:20
	;; [unrolled: 1-line block ×3, first 2 shown]
	s_mov_b32 s46, 0
	s_cmp_lt_i32 s47, 2
	v_mov_b32_e32 v200, 0
	s_waitcnt lgkmcnt(0)
	s_barrier
	s_cbranch_scc1 .LBB25_499
; %bb.419:                              ;   in Loop: Header=BB25_13 Depth=1
	v_readlane_b32 s8, v253, 15
	v_mul_hi_u32 v1, s8, v224
	v_readlane_b32 s9, v253, 16
	v_add_u32_e32 v1, v224, v1
	v_lshrrev_b32_e32 v1, s9, v1
	v_mul_lo_u32 v1, v1, s52
	v_sub_u32_e32 v20, v224, v1
	v_mul_hi_u32 v1, s8, v223
	v_add_u32_e32 v1, v223, v1
	v_lshrrev_b32_e32 v1, s9, v1
	v_mul_lo_u32 v1, v1, s52
	v_sub_u32_e32 v21, v223, v1
	v_mul_hi_u32 v1, s8, v222
	;; [unrolled: 5-line block ×15, first 2 shown]
	v_add_u32_e32 v1, v214, v1
	v_lshrrev_b32_e32 v1, s9, v1
	v_mul_lo_u32 v1, v1, s52
	v_sub_u32_e32 v35, v214, v1
	v_and_b32_e32 v1, 64, v226
	v_add_u32_e32 v1, 64, v1
	v_xor_b32_e32 v18, 32, v226
	v_cmp_lt_i32_e32 vcc, v18, v1
	v_cndmask_b32_e32 v18, v226, v18, vcc
	v_lshlrev_b32_e32 v61, 2, v18
	v_xor_b32_e32 v18, 16, v226
	v_cmp_lt_i32_e32 vcc, v18, v1
	v_cndmask_b32_e32 v1, v226, v18, vcc
	buffer_load_dword v18, off, s[0:3], 0 offset:36 ; 4-byte Folded Reload
	buffer_load_dword v19, off, s[0:3], 0 offset:44 ; 4-byte Folded Reload
	v_readlane_b32 s44, v254, 30
	s_add_i32 s46, s47, -1
	v_readlane_b32 s45, v254, 31
	s_cmp_lg_u64 s[44:45], 0
	v_readlane_b32 s8, v254, 33
	v_readlane_b32 s9, v254, 35
	s_cselect_b64 s[42:43], -1, 0
	s_add_u32 s8, s8, s9
	v_readlane_b32 s9, v254, 34
	v_readlane_b32 s47, v254, 37
	s_addc_u32 s9, s9, s47
	v_lshlrev_b32_e32 v132, 2, v1
	v_mov_b32_e32 v1, s9
	v_readlane_b32 s47, v254, 47
	v_mov_b32_e32 v139, 0
	v_mov_b32_e32 v82, v80
	;; [unrolled: 1-line block ×20, first 2 shown]
	s_waitcnt vmcnt(1)
	v_add_co_u32_e32 v84, vcc, s8, v18
	buffer_load_dword v18, off, s[0:3], 0 offset:40 ; 4-byte Folded Reload
	s_waitcnt vmcnt(0)
	v_addc_co_u32_e32 v1, vcc, v18, v1, vcc
	v_add_co_u32_e32 v86, vcc, s8, v19
	buffer_load_dword v19, off, s[0:3], 0 offset:48 ; 4-byte Folded Reload
	v_mov_b32_e32 v18, s9
	v_readlane_b32 s9, v254, 45
	s_waitcnt vmcnt(0)
	v_addc_co_u32_e32 v55, vcc, v19, v18, vcc
	buffer_load_dword v19, off, s[0:3], 0 offset:52 ; 4-byte Folded Reload
	s_waitcnt vmcnt(0)
	v_add_co_u32_e32 v88, vcc, s8, v19
	buffer_load_dword v19, off, s[0:3], 0 offset:56 ; 4-byte Folded Reload
	s_waitcnt vmcnt(0)
	v_addc_co_u32_e32 v57, vcc, v19, v18, vcc
	buffer_load_dword v19, off, s[0:3], 0 offset:60 ; 4-byte Folded Reload
	s_waitcnt vmcnt(0)
	v_add_co_u32_e32 v90, vcc, s8, v19
	buffer_load_dword v19, off, s[0:3], 0 offset:64 ; 4-byte Folded Reload
	v_readlane_b32 s8, v254, 43
	s_add_u32 s8, s8, s9
	v_readlane_b32 s9, v254, 44
	s_addc_u32 s9, s9, s47
	s_mov_b32 s47, s46
	s_waitcnt vmcnt(0)
	v_addc_co_u32_e32 v59, vcc, v19, v18, vcc
	buffer_load_dword v19, off, s[0:3], 0 offset:68 ; 4-byte Folded Reload
	v_mov_b32_e32 v18, s9
	s_waitcnt vmcnt(0)
	v_add_co_u32_e32 v92, vcc, s8, v19
	buffer_load_dword v19, off, s[0:3], 0 offset:72 ; 4-byte Folded Reload
	s_waitcnt vmcnt(0)
	v_addc_co_u32_e32 v79, vcc, v19, v18, vcc
	buffer_load_dword v19, off, s[0:3], 0 offset:76 ; 4-byte Folded Reload
	s_waitcnt vmcnt(0)
	v_add_co_u32_e32 v94, vcc, s8, v19
	buffer_load_dword v19, off, s[0:3], 0 offset:80 ; 4-byte Folded Reload
	s_waitcnt vmcnt(0)
	v_addc_co_u32_e32 v85, vcc, v19, v18, vcc
	buffer_load_dword v19, off, s[0:3], 0 offset:84 ; 4-byte Folded Reload
	;; [unrolled: 6-line block ×3, first 2 shown]
	s_waitcnt vmcnt(0)
	v_add_co_u32_e32 v98, vcc, s8, v19
	buffer_load_dword v19, off, s[0:3], 0 offset:96 ; 4-byte Folded Reload
	v_readlane_b32 s8, v254, 22
	v_readlane_b32 s9, v254, 23
	s_waitcnt vmcnt(0)
	v_addc_co_u32_e32 v89, vcc, v19, v18, vcc
	v_pk_mov_b32 v[18:19], s[44:45], s[44:45] op_sel:[0,1]
	s_mov_b32 s44, s8
	v_mad_i64_i32 v[100:101], s[8:9], s44, v23, v[18:19]
	v_mad_i64_i32 v[102:103], s[8:9], s44, v22, v[18:19]
	;; [unrolled: 1-line block ×16, first 2 shown]
	s_andn2_b64 vcc, exec, s[42:43]
	s_cbranch_vccnz .LBB25_429
.LBB25_420:                             ;   in Loop: Header=BB25_13 Depth=1
                                        ; implicit-def: $sgpr8
	s_mov_b64 s[44:45], exec
	v_readlane_b32 s48, v254, 6
	v_readlane_b32 s49, v254, 7
	s_and_b64 s[48:49], s[44:45], s[48:49]
	s_xor_b64 s[44:45], s[48:49], s[44:45]
	s_mov_b64 exec, s[48:49]
	s_cbranch_execz .LBB25_422
; %bb.421:                              ;   in Loop: Header=BB25_13 Depth=1
	ds_write_b16 v151, v227 offset:17408
	ds_write_b16 v228, v227 offset:17408
	;; [unrolled: 1-line block ×4, first 2 shown]
	s_mov_b32 s8, 0
.LBB25_422:                             ;   in Loop: Header=BB25_13 Depth=1
	s_or_saveexec_b64 s[44:45], s[44:45]
	v_mov_b32_e32 v18, s8
	v_mov_b32_e32 v19, s8
	;; [unrolled: 1-line block ×4, first 2 shown]
	s_xor_b64 exec, exec, s[44:45]
	s_cbranch_execz .LBB25_424
; %bb.423:                              ;   in Loop: Header=BB25_13 Depth=1
	v_add_co_u32_e32 v18, vcc, v106, v56
	v_addc_co_u32_e32 v19, vcc, 0, v107, vcc
	flat_load_ushort v20, v[18:19]
	v_add_co_u32_e32 v18, vcc, v104, v56
	v_addc_co_u32_e32 v19, vcc, 0, v105, vcc
	flat_load_ushort v21, v[18:19]
	;; [unrolled: 3-line block ×4, first 2 shown]
	s_waitcnt vmcnt(0) lgkmcnt(0)
	ds_write_b16 v151, v20 offset:17408
	ds_write_b16 v228, v21 offset:17408
	;; [unrolled: 1-line block ×4, first 2 shown]
	v_add_co_u32_e32 v18, vcc, v114, v56
	v_addc_co_u32_e32 v19, vcc, 0, v115, vcc
	v_add_co_u32_e32 v20, vcc, v112, v56
	v_addc_co_u32_e32 v21, vcc, 0, v113, vcc
	flat_load_ushort v18, v[18:19]
	s_nop 0
	flat_load_ushort v19, v[20:21]
	v_add_co_u32_e32 v20, vcc, v110, v56
	v_addc_co_u32_e32 v21, vcc, 0, v111, vcc
	v_add_co_u32_e32 v22, vcc, v108, v56
	v_addc_co_u32_e32 v23, vcc, 0, v109, vcc
	flat_load_ushort v20, v[20:21]
	s_nop 0
	flat_load_ushort v21, v[22:23]
.LBB25_424:                             ;   in Loop: Header=BB25_13 Depth=1
	s_or_b64 exec, exec, s[44:45]
	s_waitcnt vmcnt(0) lgkmcnt(0)
	ds_write_b16 v231, v18 offset:17408
	ds_write_b16 v232, v19 offset:17408
	;; [unrolled: 1-line block ×4, first 2 shown]
                                        ; implicit-def: $sgpr8
	s_mov_b64 s[44:45], exec
	v_readlane_b32 s48, v254, 6
	v_readlane_b32 s49, v254, 7
	s_and_b64 s[48:49], s[44:45], s[48:49]
	s_xor_b64 s[44:45], s[48:49], s[44:45]
	s_mov_b64 exec, s[48:49]
	s_cbranch_execz .LBB25_426
; %bb.425:                              ;   in Loop: Header=BB25_13 Depth=1
	ds_write_b16 v235, v227 offset:17408
	ds_write_b16 v236, v227 offset:17408
	;; [unrolled: 1-line block ×4, first 2 shown]
	s_mov_b32 s8, 0
.LBB25_426:                             ;   in Loop: Header=BB25_13 Depth=1
	s_or_saveexec_b64 s[44:45], s[44:45]
	v_mov_b32_e32 v18, s8
	v_mov_b32_e32 v19, s8
	;; [unrolled: 1-line block ×4, first 2 shown]
	s_xor_b64 exec, exec, s[44:45]
	s_cbranch_execz .LBB25_428
; %bb.427:                              ;   in Loop: Header=BB25_13 Depth=1
	v_add_co_u32_e32 v18, vcc, v122, v56
	v_addc_co_u32_e32 v19, vcc, 0, v123, vcc
	flat_load_ushort v20, v[18:19]
	v_add_co_u32_e32 v18, vcc, v120, v56
	v_addc_co_u32_e32 v19, vcc, 0, v121, vcc
	flat_load_ushort v21, v[18:19]
	;; [unrolled: 3-line block ×4, first 2 shown]
	s_waitcnt vmcnt(0) lgkmcnt(0)
	ds_write_b16 v235, v20 offset:17408
	ds_write_b16 v236, v21 offset:17408
	;; [unrolled: 1-line block ×4, first 2 shown]
	v_add_co_u32_e32 v18, vcc, v130, v56
	v_addc_co_u32_e32 v19, vcc, 0, v131, vcc
	v_add_co_u32_e32 v20, vcc, v128, v56
	v_addc_co_u32_e32 v21, vcc, 0, v129, vcc
	flat_load_ushort v18, v[18:19]
	s_nop 0
	flat_load_ushort v19, v[20:21]
	v_add_co_u32_e32 v20, vcc, v126, v56
	v_addc_co_u32_e32 v21, vcc, 0, v127, vcc
	v_add_co_u32_e32 v22, vcc, v124, v56
	v_addc_co_u32_e32 v23, vcc, 0, v125, vcc
	flat_load_ushort v20, v[20:21]
	s_nop 0
	flat_load_ushort v21, v[22:23]
.LBB25_428:                             ;   in Loop: Header=BB25_13 Depth=1
	s_or_b64 exec, exec, s[44:45]
	s_waitcnt vmcnt(0) lgkmcnt(0)
	ds_write_b16 v239, v18 offset:17408
	ds_write_b16 v240, v19 offset:17408
	;; [unrolled: 1-line block ×4, first 2 shown]
.LBB25_429:                             ;   Parent Loop BB25_13 Depth=1
                                        ; =>  This Inner Loop Header: Depth=2
	s_mov_b64 s[8:9], src_private_base
	v_add_co_u32_e32 v18, vcc, v92, v78
	s_mov_b32 s8, 0
	v_addc_co_u32_e32 v19, vcc, 0, v79, vcc
	v_mov_b32_e32 v22, s9
	v_mov_b32_e32 v23, s8
	buffer_store_dword v227, off, s[0:3], 0
	buffer_store_dword v227, off, s[0:3], 0 offset:4
	buffer_store_dword v227, off, s[0:3], 0 offset:8
	;; [unrolled: 1-line block ×3, first 2 shown]
	v_cndmask_b32_e64 v19, v22, v19, s[58:59]
	v_cndmask_b32_e64 v18, v23, v18, s[58:59]
	flat_load_dwordx4 v[18:21], v[18:19]
	v_add_u32_e32 v30, 0x1000, v154
	v_add_u32_e32 v34, 0x2000, v154
	;; [unrolled: 1-line block ×3, first 2 shown]
	s_waitcnt vmcnt(0) lgkmcnt(0)
	ds_write_b128 v153, v[18:21]
	v_add_co_u32_e32 v18, vcc, v94, v78
	v_addc_co_u32_e32 v19, vcc, 0, v85, vcc
	v_cndmask_b32_e64 v19, v22, v19, s[10:11]
	v_cndmask_b32_e64 v18, v23, v18, s[10:11]
	flat_load_dwordx4 v[18:21], v[18:19]
	s_waitcnt vmcnt(0) lgkmcnt(0)
	ds_write_b128 v244, v[18:21]
	v_add_co_u32_e32 v18, vcc, v96, v78
	v_addc_co_u32_e32 v19, vcc, 0, v87, vcc
	v_cndmask_b32_e64 v19, v22, v19, s[12:13]
	v_cndmask_b32_e64 v18, v23, v18, s[12:13]
	flat_load_dwordx4 v[18:21], v[18:19]
	;; [unrolled: 7-line block ×3, first 2 shown]
	s_waitcnt vmcnt(0) lgkmcnt(0)
	ds_write_b128 v248, v[18:21]
	s_waitcnt lgkmcnt(0)
	s_barrier
	ds_read2_b64 v[18:21], v154 offset1:4
	s_waitcnt lgkmcnt(0)
	v_mfma_f32_16x16x16f16 v[22:25], v[18:19], v[14:15], 0
	v_mfma_f32_16x16x16f16 v[18:21], v[20:21], v[16:17], v[22:25]
	s_nop 7
	s_nop 1
	ds_read2_b64 v[22:25], v154 offset0:8 offset1:12
	s_waitcnt lgkmcnt(0)
	v_mfma_f32_16x16x16f16 v[18:21], v[22:23], v[10:11], v[18:21]
	v_mfma_f32_16x16x16f16 v[18:21], v[24:25], v[12:13], v[18:21]
	ds_read2_b64 v[22:25], v154 offset0:16 offset1:20
	s_waitcnt lgkmcnt(0)
	v_mfma_f32_16x16x16f16 v[18:21], v[22:23], v[6:7], v[18:21]
	v_mfma_f32_16x16x16f16 v[18:21], v[24:25], v[8:9], v[18:21]
	;; [unrolled: 4-line block ×3, first 2 shown]
	ds_read2_b64 v[22:25], v30 offset0:32 offset1:36
	s_waitcnt lgkmcnt(0)
	v_mfma_f32_16x16x16f16 v[26:29], v[22:23], v[14:15], 0
	s_nop 7
	v_cmp_nlt_f32_e64 s[8:9], |v18|, s71
	v_mfma_f32_16x16x16f16 v[22:25], v[24:25], v[16:17], v[26:29]
	s_nop 6
	ds_read2_b64 v[26:29], v30 offset0:40 offset1:44
	s_waitcnt lgkmcnt(0)
	v_mfma_f32_16x16x16f16 v[22:25], v[26:27], v[10:11], v[22:25]
	v_mfma_f32_16x16x16f16 v[22:25], v[28:29], v[12:13], v[22:25]
	ds_read2_b64 v[26:29], v30 offset0:48 offset1:52
	s_waitcnt lgkmcnt(0)
	v_mfma_f32_16x16x16f16 v[22:25], v[26:27], v[6:7], v[22:25]
	v_mfma_f32_16x16x16f16 v[22:25], v[28:29], v[8:9], v[22:25]
	;; [unrolled: 4-line block ×4, first 2 shown]
	s_nop 7
	s_nop 1
	ds_read2_b64 v[30:33], v34 offset0:72 offset1:76
	s_waitcnt lgkmcnt(0)
	v_mfma_f32_16x16x16f16 v[26:29], v[30:31], v[10:11], v[26:29]
	v_mfma_f32_16x16x16f16 v[26:29], v[32:33], v[12:13], v[26:29]
	ds_read2_b64 v[30:33], v34 offset0:80 offset1:84
	s_waitcnt lgkmcnt(0)
	v_mfma_f32_16x16x16f16 v[26:29], v[30:31], v[6:7], v[26:29]
	v_mfma_f32_16x16x16f16 v[26:29], v[32:33], v[8:9], v[26:29]
	;; [unrolled: 4-line block ×4, first 2 shown]
	s_nop 7
	s_nop 1
	ds_read2_b64 v[34:37], v38 offset0:104 offset1:108
	s_waitcnt lgkmcnt(0)
	v_mfma_f32_16x16x16f16 v[30:33], v[34:35], v[10:11], v[30:33]
	v_mfma_f32_16x16x16f16 v[30:33], v[36:37], v[12:13], v[30:33]
	ds_read2_b64 v[34:37], v38 offset0:112 offset1:116
	s_waitcnt lgkmcnt(0)
	v_mfma_f32_16x16x16f16 v[30:33], v[34:35], v[6:7], v[30:33]
	v_mfma_f32_16x16x16f16 v[30:33], v[36:37], v[8:9], v[30:33]
	ds_read2_b64 v[34:37], v38 offset0:120 offset1:124
	s_waitcnt lgkmcnt(0)
	s_barrier
	v_mfma_f32_16x16x16f16 v[30:33], v[34:35], v[2:3], v[30:33]
	v_mfma_f32_16x16x16f16 v[30:33], v[36:37], v[4:5], v[30:33]
                                        ; implicit-def: $vgpr37
	s_and_saveexec_b64 s[44:45], s[8:9]
	s_xor_b64 s[44:45], exec, s[44:45]
	s_cbranch_execz .LBB25_431
; %bb.430:                              ;   in Loop: Header=BB25_429 Depth=2
	v_add_f32_e64 v34, |v18|, |v18|
	v_mul_f32_e32 v35, 0x3fb8aa3b, v34
	v_rndne_f32_e32 v36, v35
	v_sub_f32_e32 v37, v35, v36
	v_fma_f32 v35, v34, s75, -v35
	v_fmac_f32_e32 v35, 0x32a5705f, v34
	v_add_f32_e32 v35, v37, v35
	v_cvt_i32_f32_e32 v36, v36
	v_exp_f32_e32 v35, v35
	v_cmp_ngt_f32_e32 vcc, s74, v34
	v_ldexp_f32 v35, v35, v36
	v_cndmask_b32_e32 v35, 0, v35, vcc
	v_cmp_nlt_f32_e32 vcc, s65, v34
	v_cndmask_b32_e32 v34, v212, v35, vcc
	v_add_f32_e32 v34, 1.0, v34
	v_rcp_f32_e32 v34, v34
	v_fma_f32 v37, v34, -2.0, 1.0
.LBB25_431:                             ;   in Loop: Header=BB25_429 Depth=2
	s_andn2_saveexec_b64 s[44:45], s[44:45]
; %bb.432:                              ;   in Loop: Header=BB25_429 Depth=2
	v_mul_f32_e32 v34, v18, v18
	v_mov_b32_e32 v35, 0x3ca908c9
	v_fmac_f32_e32 v35, 0xbbbac73d, v34
	v_fma_f32 v35, v34, v35, v209
	v_fma_f32 v35, v34, v35, v210
	;; [unrolled: 1-line block ×3, first 2 shown]
	v_mul_f32_e64 v35, |v18|, v35
	v_fma_f32 v37, v34, v35, |v18|
; %bb.433:                              ;   in Loop: Header=BB25_429 Depth=2
	s_or_b64 exec, exec, s[44:45]
	v_cmp_nlt_f32_e64 s[8:9], |v19|, s71
                                        ; implicit-def: $vgpr46
	s_and_saveexec_b64 s[44:45], s[8:9]
	s_xor_b64 s[44:45], exec, s[44:45]
	s_cbranch_execz .LBB25_435
; %bb.434:                              ;   in Loop: Header=BB25_429 Depth=2
	v_add_f32_e64 v34, |v19|, |v19|
	v_mul_f32_e32 v35, 0x3fb8aa3b, v34
	v_rndne_f32_e32 v36, v35
	v_sub_f32_e32 v38, v35, v36
	v_fma_f32 v35, v34, s75, -v35
	v_fmac_f32_e32 v35, 0x32a5705f, v34
	v_add_f32_e32 v35, v38, v35
	v_cvt_i32_f32_e32 v36, v36
	v_exp_f32_e32 v35, v35
	v_cmp_ngt_f32_e32 vcc, s74, v34
	v_ldexp_f32 v35, v35, v36
	v_cndmask_b32_e32 v35, 0, v35, vcc
	v_cmp_nlt_f32_e32 vcc, s65, v34
	v_cndmask_b32_e32 v34, v212, v35, vcc
	v_add_f32_e32 v34, 1.0, v34
	v_rcp_f32_e32 v34, v34
	v_fma_f32 v46, v34, -2.0, 1.0
.LBB25_435:                             ;   in Loop: Header=BB25_429 Depth=2
	s_andn2_saveexec_b64 s[44:45], s[44:45]
; %bb.436:                              ;   in Loop: Header=BB25_429 Depth=2
	v_mul_f32_e32 v34, v19, v19
	v_mov_b32_e32 v35, 0x3ca908c9
	v_fmac_f32_e32 v35, 0xbbbac73d, v34
	v_fma_f32 v35, v34, v35, v209
	v_fma_f32 v35, v34, v35, v210
	;; [unrolled: 1-line block ×3, first 2 shown]
	v_mul_f32_e64 v35, |v19|, v35
	v_fma_f32 v46, v34, v35, |v19|
; %bb.437:                              ;   in Loop: Header=BB25_429 Depth=2
	s_or_b64 exec, exec, s[44:45]
	v_cmp_nlt_f32_e64 s[8:9], |v20|, s71
                                        ; implicit-def: $vgpr47
	s_and_saveexec_b64 s[44:45], s[8:9]
	s_xor_b64 s[44:45], exec, s[44:45]
	s_cbranch_execz .LBB25_439
; %bb.438:                              ;   in Loop: Header=BB25_429 Depth=2
	v_add_f32_e64 v34, |v20|, |v20|
	v_mul_f32_e32 v35, 0x3fb8aa3b, v34
	v_rndne_f32_e32 v36, v35
	v_sub_f32_e32 v38, v35, v36
	v_fma_f32 v35, v34, s75, -v35
	v_fmac_f32_e32 v35, 0x32a5705f, v34
	v_add_f32_e32 v35, v38, v35
	v_cvt_i32_f32_e32 v36, v36
	v_exp_f32_e32 v35, v35
	v_cmp_ngt_f32_e32 vcc, s74, v34
	v_ldexp_f32 v35, v35, v36
	v_cndmask_b32_e32 v35, 0, v35, vcc
	v_cmp_nlt_f32_e32 vcc, s65, v34
	v_cndmask_b32_e32 v34, v212, v35, vcc
	v_add_f32_e32 v34, 1.0, v34
	v_rcp_f32_e32 v34, v34
	v_fma_f32 v47, v34, -2.0, 1.0
.LBB25_439:                             ;   in Loop: Header=BB25_429 Depth=2
	s_andn2_saveexec_b64 s[44:45], s[44:45]
; %bb.440:                              ;   in Loop: Header=BB25_429 Depth=2
	v_mul_f32_e32 v34, v20, v20
	v_mov_b32_e32 v35, 0x3ca908c9
	v_fmac_f32_e32 v35, 0xbbbac73d, v34
	v_fma_f32 v35, v34, v35, v209
	v_fma_f32 v35, v34, v35, v210
	;; [unrolled: 1-line block ×3, first 2 shown]
	v_mul_f32_e64 v35, |v20|, v35
	v_fma_f32 v47, v34, v35, |v20|
; %bb.441:                              ;   in Loop: Header=BB25_429 Depth=2
	s_or_b64 exec, exec, s[44:45]
	v_cmp_nlt_f32_e64 s[8:9], |v21|, s71
                                        ; implicit-def: $vgpr48
	s_and_saveexec_b64 s[44:45], s[8:9]
	s_xor_b64 s[44:45], exec, s[44:45]
	s_cbranch_execz .LBB25_443
; %bb.442:                              ;   in Loop: Header=BB25_429 Depth=2
	v_add_f32_e64 v34, |v21|, |v21|
	v_mul_f32_e32 v35, 0x3fb8aa3b, v34
	v_rndne_f32_e32 v36, v35
	v_sub_f32_e32 v38, v35, v36
	v_fma_f32 v35, v34, s75, -v35
	v_fmac_f32_e32 v35, 0x32a5705f, v34
	v_add_f32_e32 v35, v38, v35
	v_cvt_i32_f32_e32 v36, v36
	v_exp_f32_e32 v35, v35
	v_cmp_ngt_f32_e32 vcc, s74, v34
	v_ldexp_f32 v35, v35, v36
	v_cndmask_b32_e32 v35, 0, v35, vcc
	v_cmp_nlt_f32_e32 vcc, s65, v34
	v_cndmask_b32_e32 v34, v212, v35, vcc
	v_add_f32_e32 v34, 1.0, v34
	v_rcp_f32_e32 v34, v34
	v_fma_f32 v48, v34, -2.0, 1.0
.LBB25_443:                             ;   in Loop: Header=BB25_429 Depth=2
	s_andn2_saveexec_b64 s[44:45], s[44:45]
; %bb.444:                              ;   in Loop: Header=BB25_429 Depth=2
	v_mul_f32_e32 v34, v21, v21
	v_mov_b32_e32 v35, 0x3ca908c9
	v_fmac_f32_e32 v35, 0xbbbac73d, v34
	v_fma_f32 v35, v34, v35, v209
	v_fma_f32 v35, v34, v35, v210
	v_fma_f32 v35, v34, v35, v211
	v_mul_f32_e64 v35, |v21|, v35
	v_fma_f32 v48, v34, v35, |v21|
; %bb.445:                              ;   in Loop: Header=BB25_429 Depth=2
	s_or_b64 exec, exec, s[44:45]
	v_cmp_nlt_f32_e64 s[8:9], |v22|, s71
                                        ; implicit-def: $vgpr42
	s_and_saveexec_b64 s[44:45], s[8:9]
	s_xor_b64 s[44:45], exec, s[44:45]
	s_cbranch_execz .LBB25_447
; %bb.446:                              ;   in Loop: Header=BB25_429 Depth=2
	v_add_f32_e64 v34, |v22|, |v22|
	v_mul_f32_e32 v35, 0x3fb8aa3b, v34
	v_rndne_f32_e32 v36, v35
	v_sub_f32_e32 v38, v35, v36
	v_fma_f32 v35, v34, s75, -v35
	v_fmac_f32_e32 v35, 0x32a5705f, v34
	v_add_f32_e32 v35, v38, v35
	v_cvt_i32_f32_e32 v36, v36
	v_exp_f32_e32 v35, v35
	v_cmp_ngt_f32_e32 vcc, s74, v34
	v_ldexp_f32 v35, v35, v36
	v_cndmask_b32_e32 v35, 0, v35, vcc
	v_cmp_nlt_f32_e32 vcc, s65, v34
	v_cndmask_b32_e32 v34, v212, v35, vcc
	v_add_f32_e32 v34, 1.0, v34
	v_rcp_f32_e32 v34, v34
	v_fma_f32 v42, v34, -2.0, 1.0
.LBB25_447:                             ;   in Loop: Header=BB25_429 Depth=2
	s_andn2_saveexec_b64 s[44:45], s[44:45]
; %bb.448:                              ;   in Loop: Header=BB25_429 Depth=2
	v_mul_f32_e32 v34, v22, v22
	v_mov_b32_e32 v35, 0x3ca908c9
	v_fmac_f32_e32 v35, 0xbbbac73d, v34
	v_fma_f32 v35, v34, v35, v209
	v_fma_f32 v35, v34, v35, v210
	;; [unrolled: 1-line block ×3, first 2 shown]
	v_mul_f32_e64 v35, |v22|, v35
	v_fma_f32 v42, v34, v35, |v22|
; %bb.449:                              ;   in Loop: Header=BB25_429 Depth=2
	s_or_b64 exec, exec, s[44:45]
	v_cmp_nlt_f32_e64 s[8:9], |v23|, s71
                                        ; implicit-def: $vgpr43
	s_and_saveexec_b64 s[44:45], s[8:9]
	s_xor_b64 s[44:45], exec, s[44:45]
	s_cbranch_execz .LBB25_451
; %bb.450:                              ;   in Loop: Header=BB25_429 Depth=2
	v_add_f32_e64 v34, |v23|, |v23|
	v_mul_f32_e32 v35, 0x3fb8aa3b, v34
	v_rndne_f32_e32 v36, v35
	v_sub_f32_e32 v38, v35, v36
	v_fma_f32 v35, v34, s75, -v35
	v_fmac_f32_e32 v35, 0x32a5705f, v34
	v_add_f32_e32 v35, v38, v35
	v_cvt_i32_f32_e32 v36, v36
	v_exp_f32_e32 v35, v35
	v_cmp_ngt_f32_e32 vcc, s74, v34
	v_ldexp_f32 v35, v35, v36
	v_cndmask_b32_e32 v35, 0, v35, vcc
	v_cmp_nlt_f32_e32 vcc, s65, v34
	v_cndmask_b32_e32 v34, v212, v35, vcc
	v_add_f32_e32 v34, 1.0, v34
	v_rcp_f32_e32 v34, v34
	v_fma_f32 v43, v34, -2.0, 1.0
.LBB25_451:                             ;   in Loop: Header=BB25_429 Depth=2
	s_andn2_saveexec_b64 s[44:45], s[44:45]
; %bb.452:                              ;   in Loop: Header=BB25_429 Depth=2
	v_mul_f32_e32 v34, v23, v23
	v_mov_b32_e32 v35, 0x3ca908c9
	v_fmac_f32_e32 v35, 0xbbbac73d, v34
	v_fma_f32 v35, v34, v35, v209
	v_fma_f32 v35, v34, v35, v210
	;; [unrolled: 1-line block ×3, first 2 shown]
	v_mul_f32_e64 v35, |v23|, v35
	v_fma_f32 v43, v34, v35, |v23|
; %bb.453:                              ;   in Loop: Header=BB25_429 Depth=2
	s_or_b64 exec, exec, s[44:45]
	v_cmp_nlt_f32_e64 s[8:9], |v24|, s71
                                        ; implicit-def: $vgpr44
	s_and_saveexec_b64 s[44:45], s[8:9]
	s_xor_b64 s[44:45], exec, s[44:45]
	s_cbranch_execz .LBB25_455
; %bb.454:                              ;   in Loop: Header=BB25_429 Depth=2
	v_add_f32_e64 v34, |v24|, |v24|
	v_mul_f32_e32 v35, 0x3fb8aa3b, v34
	v_rndne_f32_e32 v36, v35
	v_sub_f32_e32 v38, v35, v36
	v_fma_f32 v35, v34, s75, -v35
	v_fmac_f32_e32 v35, 0x32a5705f, v34
	v_add_f32_e32 v35, v38, v35
	v_cvt_i32_f32_e32 v36, v36
	v_exp_f32_e32 v35, v35
	v_cmp_ngt_f32_e32 vcc, s74, v34
	v_ldexp_f32 v35, v35, v36
	v_cndmask_b32_e32 v35, 0, v35, vcc
	v_cmp_nlt_f32_e32 vcc, s65, v34
	v_cndmask_b32_e32 v34, v212, v35, vcc
	v_add_f32_e32 v34, 1.0, v34
	v_rcp_f32_e32 v34, v34
	v_fma_f32 v44, v34, -2.0, 1.0
.LBB25_455:                             ;   in Loop: Header=BB25_429 Depth=2
	s_andn2_saveexec_b64 s[44:45], s[44:45]
; %bb.456:                              ;   in Loop: Header=BB25_429 Depth=2
	v_mul_f32_e32 v34, v24, v24
	v_mov_b32_e32 v35, 0x3ca908c9
	v_fmac_f32_e32 v35, 0xbbbac73d, v34
	v_fma_f32 v35, v34, v35, v209
	v_fma_f32 v35, v34, v35, v210
	;; [unrolled: 1-line block ×3, first 2 shown]
	v_mul_f32_e64 v35, |v24|, v35
	v_fma_f32 v44, v34, v35, |v24|
; %bb.457:                              ;   in Loop: Header=BB25_429 Depth=2
	s_or_b64 exec, exec, s[44:45]
	v_cmp_nlt_f32_e64 s[8:9], |v25|, s71
                                        ; implicit-def: $vgpr45
	s_and_saveexec_b64 s[44:45], s[8:9]
	s_xor_b64 s[44:45], exec, s[44:45]
	s_cbranch_execz .LBB25_459
; %bb.458:                              ;   in Loop: Header=BB25_429 Depth=2
	v_add_f32_e64 v34, |v25|, |v25|
	v_mul_f32_e32 v35, 0x3fb8aa3b, v34
	v_rndne_f32_e32 v36, v35
	v_sub_f32_e32 v38, v35, v36
	v_fma_f32 v35, v34, s75, -v35
	v_fmac_f32_e32 v35, 0x32a5705f, v34
	v_add_f32_e32 v35, v38, v35
	v_cvt_i32_f32_e32 v36, v36
	v_exp_f32_e32 v35, v35
	v_cmp_ngt_f32_e32 vcc, s74, v34
	v_ldexp_f32 v35, v35, v36
	v_cndmask_b32_e32 v35, 0, v35, vcc
	v_cmp_nlt_f32_e32 vcc, s65, v34
	v_cndmask_b32_e32 v34, v212, v35, vcc
	v_add_f32_e32 v34, 1.0, v34
	v_rcp_f32_e32 v34, v34
	v_fma_f32 v45, v34, -2.0, 1.0
.LBB25_459:                             ;   in Loop: Header=BB25_429 Depth=2
	s_andn2_saveexec_b64 s[44:45], s[44:45]
; %bb.460:                              ;   in Loop: Header=BB25_429 Depth=2
	v_mul_f32_e32 v34, v25, v25
	v_mov_b32_e32 v35, 0x3ca908c9
	v_fmac_f32_e32 v35, 0xbbbac73d, v34
	v_fma_f32 v35, v34, v35, v209
	v_fma_f32 v35, v34, v35, v210
	v_fma_f32 v35, v34, v35, v211
	v_mul_f32_e64 v35, |v25|, v35
	v_fma_f32 v45, v34, v35, |v25|
; %bb.461:                              ;   in Loop: Header=BB25_429 Depth=2
	s_or_b64 exec, exec, s[44:45]
	v_cmp_nlt_f32_e64 s[8:9], |v26|, s71
                                        ; implicit-def: $vgpr38
	s_and_saveexec_b64 s[44:45], s[8:9]
	s_xor_b64 s[44:45], exec, s[44:45]
	s_cbranch_execz .LBB25_463
; %bb.462:                              ;   in Loop: Header=BB25_429 Depth=2
	v_add_f32_e64 v34, |v26|, |v26|
	v_mul_f32_e32 v35, 0x3fb8aa3b, v34
	v_rndne_f32_e32 v36, v35
	v_sub_f32_e32 v38, v35, v36
	v_fma_f32 v35, v34, s75, -v35
	v_fmac_f32_e32 v35, 0x32a5705f, v34
	v_add_f32_e32 v35, v38, v35
	v_cvt_i32_f32_e32 v36, v36
	v_exp_f32_e32 v35, v35
	v_cmp_ngt_f32_e32 vcc, s74, v34
	v_ldexp_f32 v35, v35, v36
	v_cndmask_b32_e32 v35, 0, v35, vcc
	v_cmp_nlt_f32_e32 vcc, s65, v34
	v_cndmask_b32_e32 v34, v212, v35, vcc
	v_add_f32_e32 v34, 1.0, v34
	v_rcp_f32_e32 v34, v34
	v_fma_f32 v38, v34, -2.0, 1.0
.LBB25_463:                             ;   in Loop: Header=BB25_429 Depth=2
	s_andn2_saveexec_b64 s[44:45], s[44:45]
; %bb.464:                              ;   in Loop: Header=BB25_429 Depth=2
	v_mul_f32_e32 v34, v26, v26
	v_mov_b32_e32 v35, 0x3ca908c9
	v_fmac_f32_e32 v35, 0xbbbac73d, v34
	v_fma_f32 v35, v34, v35, v209
	v_fma_f32 v35, v34, v35, v210
	;; [unrolled: 1-line block ×3, first 2 shown]
	v_mul_f32_e64 v35, |v26|, v35
	v_fma_f32 v38, v34, v35, |v26|
; %bb.465:                              ;   in Loop: Header=BB25_429 Depth=2
	s_or_b64 exec, exec, s[44:45]
	v_cmp_nlt_f32_e64 s[8:9], |v27|, s71
                                        ; implicit-def: $vgpr39
	s_and_saveexec_b64 s[44:45], s[8:9]
	s_xor_b64 s[44:45], exec, s[44:45]
	s_cbranch_execz .LBB25_467
; %bb.466:                              ;   in Loop: Header=BB25_429 Depth=2
	v_add_f32_e64 v34, |v27|, |v27|
	v_mul_f32_e32 v35, 0x3fb8aa3b, v34
	v_rndne_f32_e32 v36, v35
	v_sub_f32_e32 v39, v35, v36
	v_fma_f32 v35, v34, s75, -v35
	v_fmac_f32_e32 v35, 0x32a5705f, v34
	v_add_f32_e32 v35, v39, v35
	v_cvt_i32_f32_e32 v36, v36
	v_exp_f32_e32 v35, v35
	v_cmp_ngt_f32_e32 vcc, s74, v34
	v_ldexp_f32 v35, v35, v36
	v_cndmask_b32_e32 v35, 0, v35, vcc
	v_cmp_nlt_f32_e32 vcc, s65, v34
	v_cndmask_b32_e32 v34, v212, v35, vcc
	v_add_f32_e32 v34, 1.0, v34
	v_rcp_f32_e32 v34, v34
	v_fma_f32 v39, v34, -2.0, 1.0
.LBB25_467:                             ;   in Loop: Header=BB25_429 Depth=2
	s_andn2_saveexec_b64 s[44:45], s[44:45]
; %bb.468:                              ;   in Loop: Header=BB25_429 Depth=2
	v_mul_f32_e32 v34, v27, v27
	v_mov_b32_e32 v35, 0x3ca908c9
	v_fmac_f32_e32 v35, 0xbbbac73d, v34
	v_fma_f32 v35, v34, v35, v209
	v_fma_f32 v35, v34, v35, v210
	;; [unrolled: 1-line block ×3, first 2 shown]
	v_mul_f32_e64 v35, |v27|, v35
	v_fma_f32 v39, v34, v35, |v27|
; %bb.469:                              ;   in Loop: Header=BB25_429 Depth=2
	s_or_b64 exec, exec, s[44:45]
	v_cmp_nlt_f32_e64 s[8:9], |v28|, s71
                                        ; implicit-def: $vgpr40
	s_and_saveexec_b64 s[44:45], s[8:9]
	s_xor_b64 s[44:45], exec, s[44:45]
	s_cbranch_execz .LBB25_471
; %bb.470:                              ;   in Loop: Header=BB25_429 Depth=2
	v_add_f32_e64 v34, |v28|, |v28|
	v_mul_f32_e32 v35, 0x3fb8aa3b, v34
	v_rndne_f32_e32 v36, v35
	v_sub_f32_e32 v40, v35, v36
	v_fma_f32 v35, v34, s75, -v35
	v_fmac_f32_e32 v35, 0x32a5705f, v34
	v_add_f32_e32 v35, v40, v35
	v_cvt_i32_f32_e32 v36, v36
	v_exp_f32_e32 v35, v35
	v_cmp_ngt_f32_e32 vcc, s74, v34
	v_ldexp_f32 v35, v35, v36
	v_cndmask_b32_e32 v35, 0, v35, vcc
	v_cmp_nlt_f32_e32 vcc, s65, v34
	v_cndmask_b32_e32 v34, v212, v35, vcc
	v_add_f32_e32 v34, 1.0, v34
	v_rcp_f32_e32 v34, v34
	v_fma_f32 v40, v34, -2.0, 1.0
.LBB25_471:                             ;   in Loop: Header=BB25_429 Depth=2
	s_andn2_saveexec_b64 s[44:45], s[44:45]
; %bb.472:                              ;   in Loop: Header=BB25_429 Depth=2
	v_mul_f32_e32 v34, v28, v28
	v_mov_b32_e32 v35, 0x3ca908c9
	v_fmac_f32_e32 v35, 0xbbbac73d, v34
	v_fma_f32 v35, v34, v35, v209
	v_fma_f32 v35, v34, v35, v210
	;; [unrolled: 1-line block ×3, first 2 shown]
	v_mul_f32_e64 v35, |v28|, v35
	v_fma_f32 v40, v34, v35, |v28|
; %bb.473:                              ;   in Loop: Header=BB25_429 Depth=2
	s_or_b64 exec, exec, s[44:45]
	v_cmp_nlt_f32_e64 s[8:9], |v29|, s71
                                        ; implicit-def: $vgpr41
	s_and_saveexec_b64 s[44:45], s[8:9]
	s_xor_b64 s[44:45], exec, s[44:45]
	s_cbranch_execz .LBB25_475
; %bb.474:                              ;   in Loop: Header=BB25_429 Depth=2
	v_add_f32_e64 v34, |v29|, |v29|
	v_mul_f32_e32 v35, 0x3fb8aa3b, v34
	v_rndne_f32_e32 v36, v35
	v_sub_f32_e32 v41, v35, v36
	v_fma_f32 v35, v34, s75, -v35
	v_fmac_f32_e32 v35, 0x32a5705f, v34
	v_add_f32_e32 v35, v41, v35
	v_cvt_i32_f32_e32 v36, v36
	v_exp_f32_e32 v35, v35
	v_cmp_ngt_f32_e32 vcc, s74, v34
	v_ldexp_f32 v35, v35, v36
	v_cndmask_b32_e32 v35, 0, v35, vcc
	v_cmp_nlt_f32_e32 vcc, s65, v34
	v_cndmask_b32_e32 v34, v212, v35, vcc
	v_add_f32_e32 v34, 1.0, v34
	v_rcp_f32_e32 v34, v34
	v_fma_f32 v41, v34, -2.0, 1.0
.LBB25_475:                             ;   in Loop: Header=BB25_429 Depth=2
	s_andn2_saveexec_b64 s[44:45], s[44:45]
; %bb.476:                              ;   in Loop: Header=BB25_429 Depth=2
	v_mul_f32_e32 v34, v29, v29
	v_mov_b32_e32 v35, 0x3ca908c9
	v_fmac_f32_e32 v35, 0xbbbac73d, v34
	v_fma_f32 v35, v34, v35, v209
	v_fma_f32 v35, v34, v35, v210
	v_fma_f32 v35, v34, v35, v211
	v_mul_f32_e64 v35, |v29|, v35
	v_fma_f32 v41, v34, v35, |v29|
; %bb.477:                              ;   in Loop: Header=BB25_429 Depth=2
	s_or_b64 exec, exec, s[44:45]
	v_cmp_nlt_f32_e64 s[8:9], |v30|, s71
                                        ; implicit-def: $vgpr34
	s_and_saveexec_b64 s[44:45], s[8:9]
	s_xor_b64 s[44:45], exec, s[44:45]
	s_cbranch_execz .LBB25_479
; %bb.478:                              ;   in Loop: Header=BB25_429 Depth=2
	v_add_f32_e64 v34, |v30|, |v30|
	v_mul_f32_e32 v35, 0x3fb8aa3b, v34
	v_rndne_f32_e32 v36, v35
	v_sub_f32_e32 v49, v35, v36
	v_fma_f32 v35, v34, s75, -v35
	v_fmac_f32_e32 v35, 0x32a5705f, v34
	v_add_f32_e32 v35, v49, v35
	v_cvt_i32_f32_e32 v36, v36
	v_exp_f32_e32 v35, v35
	v_cmp_ngt_f32_e32 vcc, s74, v34
	v_ldexp_f32 v35, v35, v36
	v_cndmask_b32_e32 v35, 0, v35, vcc
	v_cmp_nlt_f32_e32 vcc, s65, v34
	v_cndmask_b32_e32 v34, v212, v35, vcc
	v_add_f32_e32 v34, 1.0, v34
	v_rcp_f32_e32 v34, v34
	v_fma_f32 v34, v34, -2.0, 1.0
.LBB25_479:                             ;   in Loop: Header=BB25_429 Depth=2
	s_andn2_saveexec_b64 s[44:45], s[44:45]
; %bb.480:                              ;   in Loop: Header=BB25_429 Depth=2
	v_mul_f32_e32 v34, v30, v30
	v_mov_b32_e32 v35, 0x3ca908c9
	v_fmac_f32_e32 v35, 0xbbbac73d, v34
	v_fma_f32 v35, v34, v35, v209
	v_fma_f32 v35, v34, v35, v210
	;; [unrolled: 1-line block ×3, first 2 shown]
	v_mul_f32_e64 v35, |v30|, v35
	v_fma_f32 v34, v34, v35, |v30|
; %bb.481:                              ;   in Loop: Header=BB25_429 Depth=2
	s_or_b64 exec, exec, s[44:45]
	v_cmp_nlt_f32_e64 s[8:9], |v31|, s71
                                        ; implicit-def: $vgpr35
	s_and_saveexec_b64 s[44:45], s[8:9]
	s_xor_b64 s[44:45], exec, s[44:45]
	s_cbranch_execz .LBB25_483
; %bb.482:                              ;   in Loop: Header=BB25_429 Depth=2
	v_add_f32_e64 v35, |v31|, |v31|
	v_mul_f32_e32 v36, 0x3fb8aa3b, v35
	v_rndne_f32_e32 v49, v36
	v_sub_f32_e32 v50, v36, v49
	v_fma_f32 v36, v35, s75, -v36
	v_fmac_f32_e32 v36, 0x32a5705f, v35
	v_add_f32_e32 v36, v50, v36
	v_cvt_i32_f32_e32 v49, v49
	v_exp_f32_e32 v36, v36
	v_cmp_ngt_f32_e32 vcc, s74, v35
	v_ldexp_f32 v36, v36, v49
	v_cndmask_b32_e32 v36, 0, v36, vcc
	v_cmp_nlt_f32_e32 vcc, s65, v35
	v_cndmask_b32_e32 v35, v212, v36, vcc
	v_add_f32_e32 v35, 1.0, v35
	v_rcp_f32_e32 v35, v35
	v_fma_f32 v35, v35, -2.0, 1.0
.LBB25_483:                             ;   in Loop: Header=BB25_429 Depth=2
	s_andn2_saveexec_b64 s[44:45], s[44:45]
; %bb.484:                              ;   in Loop: Header=BB25_429 Depth=2
	v_mul_f32_e32 v35, v31, v31
	v_mov_b32_e32 v36, 0x3ca908c9
	v_fmac_f32_e32 v36, 0xbbbac73d, v35
	v_fma_f32 v36, v35, v36, v209
	v_fma_f32 v36, v35, v36, v210
	;; [unrolled: 1-line block ×3, first 2 shown]
	v_mul_f32_e64 v36, |v31|, v36
	v_fma_f32 v35, v35, v36, |v31|
; %bb.485:                              ;   in Loop: Header=BB25_429 Depth=2
	s_or_b64 exec, exec, s[44:45]
	v_cmp_nlt_f32_e64 s[8:9], |v32|, s71
                                        ; implicit-def: $vgpr36
	s_and_saveexec_b64 s[44:45], s[8:9]
	s_xor_b64 s[44:45], exec, s[44:45]
	s_cbranch_execz .LBB25_487
; %bb.486:                              ;   in Loop: Header=BB25_429 Depth=2
	v_add_f32_e64 v36, |v32|, |v32|
	v_mul_f32_e32 v49, 0x3fb8aa3b, v36
	v_rndne_f32_e32 v50, v49
	v_sub_f32_e32 v51, v49, v50
	v_fma_f32 v49, v36, s75, -v49
	v_fmac_f32_e32 v49, 0x32a5705f, v36
	v_add_f32_e32 v49, v51, v49
	v_cvt_i32_f32_e32 v50, v50
	v_exp_f32_e32 v49, v49
	v_cmp_ngt_f32_e32 vcc, s74, v36
	v_ldexp_f32 v49, v49, v50
	v_cndmask_b32_e32 v49, 0, v49, vcc
	v_cmp_nlt_f32_e32 vcc, s65, v36
	v_cndmask_b32_e32 v36, v212, v49, vcc
	v_add_f32_e32 v36, 1.0, v36
	v_rcp_f32_e32 v36, v36
	v_fma_f32 v36, v36, -2.0, 1.0
.LBB25_487:                             ;   in Loop: Header=BB25_429 Depth=2
	s_andn2_saveexec_b64 s[44:45], s[44:45]
; %bb.488:                              ;   in Loop: Header=BB25_429 Depth=2
	v_mul_f32_e32 v36, v32, v32
	v_mov_b32_e32 v49, 0x3ca908c9
	v_fmac_f32_e32 v49, 0xbbbac73d, v36
	v_fma_f32 v49, v36, v49, v209
	v_fma_f32 v49, v36, v49, v210
	;; [unrolled: 1-line block ×3, first 2 shown]
	v_mul_f32_e64 v49, |v32|, v49
	v_fma_f32 v36, v36, v49, |v32|
; %bb.489:                              ;   in Loop: Header=BB25_429 Depth=2
	s_or_b64 exec, exec, s[44:45]
	v_cmp_nlt_f32_e64 s[8:9], |v33|, s71
                                        ; implicit-def: $vgpr49
	s_and_saveexec_b64 s[44:45], s[8:9]
	s_xor_b64 s[44:45], exec, s[44:45]
	s_cbranch_execz .LBB25_491
; %bb.490:                              ;   in Loop: Header=BB25_429 Depth=2
	v_add_f32_e64 v49, |v33|, |v33|
	v_mul_f32_e32 v50, 0x3fb8aa3b, v49
	v_rndne_f32_e32 v51, v50
	v_sub_f32_e32 v52, v50, v51
	v_fma_f32 v50, v49, s75, -v50
	v_fmac_f32_e32 v50, 0x32a5705f, v49
	v_add_f32_e32 v50, v52, v50
	v_cvt_i32_f32_e32 v51, v51
	v_exp_f32_e32 v50, v50
	v_cmp_ngt_f32_e32 vcc, s74, v49
	v_ldexp_f32 v50, v50, v51
	v_cndmask_b32_e32 v50, 0, v50, vcc
	v_cmp_nlt_f32_e32 vcc, s65, v49
	v_cndmask_b32_e32 v49, v212, v50, vcc
	v_add_f32_e32 v49, 1.0, v49
	v_rcp_f32_e32 v49, v49
	v_fma_f32 v49, v49, -2.0, 1.0
.LBB25_491:                             ;   in Loop: Header=BB25_429 Depth=2
	s_andn2_saveexec_b64 s[44:45], s[44:45]
; %bb.492:                              ;   in Loop: Header=BB25_429 Depth=2
	v_mul_f32_e32 v49, v33, v33
	v_mov_b32_e32 v50, 0x3ca908c9
	v_fmac_f32_e32 v50, 0xbbbac73d, v49
	v_fma_f32 v50, v49, v50, v209
	v_fma_f32 v50, v49, v50, v210
	;; [unrolled: 1-line block ×3, first 2 shown]
	v_mul_f32_e64 v50, |v33|, v50
	v_fma_f32 v49, v49, v50, |v33|
; %bb.493:                              ;   in Loop: Header=BB25_429 Depth=2
	s_or_b64 exec, exec, s[44:45]
	v_bfi_b32 v18, s70, v37, v18
	v_bfi_b32 v26, s70, v38, v26
	;; [unrolled: 1-line block ×3, first 2 shown]
	v_mul_f32_e32 v50, s73, v18
	v_bfi_b32 v18, s70, v46, v19
	v_bfi_b32 v30, s70, v34, v30
	v_mul_f32_e32 v38, s73, v26
	v_bfi_b32 v26, s70, v39, v27
	v_mul_f32_e32 v42, s73, v22
	;; [unrolled: 2-line block ×12, first 2 shown]
	v_mul_f32_e32 v41, s73, v26
	v_mul_f32_e32 v45, s73, v22
	;; [unrolled: 1-line block ×3, first 2 shown]
	s_and_b64 vcc, exec, s[42:43]
	s_cbranch_vccz .LBB25_498
; %bb.494:                              ;   in Loop: Header=BB25_429 Depth=2
	v_add_u32_e32 v18, 0x4400, v158
	v_add_u32_e32 v20, 0x4400, v160
	ds_read_b32 v22, v156 offset:17408
	ds_read_b32 v24, v179 offset:17408
	ds_read2_b32 v[18:19], v18 offset1:1
	ds_read2_b32 v[20:21], v20 offset1:1
	v_mov_b32_e32 v81, v80
	s_waitcnt lgkmcnt(2)
	v_cvt_f32_f16_sdwa v25, v24 dst_sel:DWORD dst_unused:UNUSED_PAD src0_sel:WORD_1
	s_waitcnt lgkmcnt(1)
	v_cvt_f32_f16_e32 v26, v18
	v_cvt_f32_f16_sdwa v27, v18 dst_sel:DWORD dst_unused:UNUSED_PAD src0_sel:WORD_1
	v_add_u32_e32 v18, 0x4400, v180
	v_cvt_f32_f16_e32 v28, v19
	v_cvt_f32_f16_sdwa v29, v19 dst_sel:DWORD dst_unused:UNUSED_PAD src0_sel:WORD_1
	ds_read2_b32 v[18:19], v18 offset1:1
	v_cvt_f32_f16_sdwa v23, v22 dst_sel:DWORD dst_unused:UNUSED_PAD src0_sel:WORD_1
	v_cvt_f32_f16_e32 v22, v22
	v_cvt_f32_f16_e32 v24, v24
	v_pk_fma_f32 v[30:31], v[80:81], v[28:29], v[44:45]
	s_waitcnt lgkmcnt(0)
	v_cvt_f32_f16_e32 v32, v18
	v_pk_fma_f32 v[46:47], v[82:83], v[22:23], v[50:51]
	v_cvt_f32_f16_e32 v22, v20
	v_cvt_f32_f16_sdwa v23, v20 dst_sel:DWORD dst_unused:UNUSED_PAD src0_sel:WORD_1
	v_cvt_f32_f16_e32 v20, v21
	v_cvt_f32_f16_sdwa v21, v21 dst_sel:DWORD dst_unused:UNUSED_PAD src0_sel:WORD_1
	;; [unrolled: 2-line block ×3, first 2 shown]
	v_cvt_f32_f16_sdwa v33, v18 dst_sel:DWORD dst_unused:UNUSED_PAD src0_sel:WORD_1
	v_pk_fma_f32 v[48:49], v[80:81], v[24:25], v[52:53]
	v_pk_fma_f32 v[28:29], v[82:83], v[26:27], v[42:43]
	;; [unrolled: 1-line block ×6, first 2 shown]
	s_cbranch_execnz .LBB25_496
.LBB25_495:                             ;   in Loop: Header=BB25_429 Depth=2
	v_pk_mov_b32 v[18:19], v[34:35], v[34:35] op_sel:[0,1]
	v_pk_mov_b32 v[24:25], v[38:39], v[38:39] op_sel:[0,1]
	;; [unrolled: 1-line block ×8, first 2 shown]
.LBB25_496:                             ;   in Loop: Header=BB25_429 Depth=2
	v_add_f32_e32 v22, 0x40051340, v46
	v_max_f32_e32 v23, v201, v201
	v_max_f32_e32 v22, v23, v22
	v_cndmask_b32_e64 v22, v201, v22, s[16:17]
	v_add_f32_e32 v23, 0x40051340, v47
	v_max_f32_e32 v22, v22, v22
	v_max_f32_e32 v22, v22, v23
	v_cndmask_b32_e64 v22, v201, v22, s[16:17]
	;; [unrolled: 4-line block ×16, first 2 shown]
	ds_bpermute_b32 v23, v61, v22
	v_max_f32_e32 v22, v22, v22
	v_cndmask_b32_e64 v29, v29, v29, s[18:19]
	v_cndmask_b32_e64 v30, v30, v30, s[18:19]
	;; [unrolled: 1-line block ×3, first 2 shown]
	s_waitcnt lgkmcnt(0)
	v_max_f32_e32 v23, v23, v23
	v_max_f32_e32 v22, v22, v23
	ds_bpermute_b32 v23, v132, v22
	v_cndmask_b32_e64 v25, v25, v25, s[26:27]
	v_cndmask_b32_e64 v26, v26, v26, s[26:27]
	;; [unrolled: 1-line block ×4, first 2 shown]
	s_waitcnt lgkmcnt(0)
	v_max_f32_e32 v23, v23, v23
	v_max_f32_e32 v34, v22, v23
	v_sub_f32_e32 v22, v46, v34
	v_mul_f32_e32 v23, 0x3fb8aa3b, v22
	v_fma_f32 v32, v22, s75, -v23
	v_rndne_f32_e32 v33, v23
	v_fmac_f32_e32 v32, 0x32a5705f, v22
	v_sub_f32_e32 v23, v23, v33
	v_add_f32_e32 v23, v23, v32
	v_exp_f32_e32 v23, v23
	v_cvt_i32_f32_e32 v32, v33
	v_cmp_ngt_f32_e32 vcc, s74, v22
	v_sub_f32_e32 v28, v28, v34
	v_sub_f32_e32 v24, v24, v34
	v_ldexp_f32 v23, v23, v32
	v_cndmask_b32_e32 v23, 0, v23, vcc
	v_cmp_nlt_f32_e32 vcc, s65, v22
	v_cndmask_b32_e32 v32, v212, v23, vcc
	v_sub_f32_e32 v23, v47, v34
	v_mul_f32_e32 v33, 0x3fb8aa3b, v23
	v_fma_f32 v35, v23, s75, -v33
	v_rndne_f32_e32 v36, v33
	v_fmac_f32_e32 v35, 0x32a5705f, v23
	v_sub_f32_e32 v33, v33, v36
	v_add_f32_e32 v33, v33, v35
	v_exp_f32_e32 v33, v33
	v_cvt_i32_f32_e32 v35, v36
	v_cmp_ngt_f32_e32 vcc, s74, v23
	v_cndmask_b32_e64 v36, v48, v48, s[16:17]
	v_cndmask_b32_e64 v22, 0, v32, s[16:17]
	v_ldexp_f32 v33, v33, v35
	v_cndmask_b32_e32 v33, 0, v33, vcc
	v_cmp_nlt_f32_e32 vcc, s65, v23
	v_cndmask_b32_e32 v33, v212, v33, vcc
	v_mov_b32_e32 v23, s67
	v_cndmask_b32_e64 v50, v23, v33, s[16:17]
	v_sub_f32_e32 v23, v36, v34
	v_add_f32_e32 v32, v32, v33
	v_mul_f32_e32 v33, 0x3fb8aa3b, v23
	v_fma_f32 v36, v23, s75, -v33
	v_rndne_f32_e32 v37, v33
	v_fmac_f32_e32 v36, 0x32a5705f, v23
	v_sub_f32_e32 v33, v33, v37
	v_add_f32_e32 v33, v33, v36
	v_exp_f32_e32 v33, v33
	v_cvt_i32_f32_e32 v36, v37
	v_cmp_ngt_f32_e32 vcc, s74, v23
	v_cndmask_b32_e64 v35, v49, v49, s[16:17]
	v_sub_f32_e32 v18, v18, v34
	v_ldexp_f32 v33, v33, v36
	v_cndmask_b32_e32 v33, 0, v33, vcc
	v_cmp_nlt_f32_e32 vcc, s65, v23
	v_cndmask_b32_e32 v23, v212, v33, vcc
	v_add_f32_e32 v33, v32, v23
	v_mov_b32_e32 v32, s67
	v_cndmask_b32_e64 v51, v32, v23, s[16:17]
	v_sub_f32_e32 v23, v35, v34
	v_mul_f32_e32 v32, 0x3fb8aa3b, v23
	v_fma_f32 v35, v23, s75, -v32
	v_rndne_f32_e32 v36, v32
	v_fmac_f32_e32 v35, 0x32a5705f, v23
	v_sub_f32_e32 v32, v32, v36
	v_add_f32_e32 v32, v32, v35
	v_exp_f32_e32 v32, v32
	v_cvt_i32_f32_e32 v35, v36
	v_cmp_ngt_f32_e32 vcc, s74, v23
	v_sub_f32_e32 v19, v19, v34
	v_cndmask_b32_e64 v20, v20, v20, s[4:5]
	v_ldexp_f32 v32, v32, v35
	v_cndmask_b32_e32 v32, 0, v32, vcc
	v_cmp_nlt_f32_e32 vcc, s65, v23
	v_cndmask_b32_e32 v32, v212, v32, vcc
	v_mov_b32_e32 v23, s67
	v_add_f32_e32 v33, v33, v32
	v_cndmask_b32_e64 v52, v23, v32, s[16:17]
	v_mul_f32_e32 v32, 0x3fb8aa3b, v28
	v_cndmask_b32_e64 v23, 0, v33, s[16:17]
	v_fma_f32 v33, v28, s75, -v32
	v_rndne_f32_e32 v35, v32
	v_fmac_f32_e32 v33, 0x32a5705f, v28
	v_sub_f32_e32 v32, v32, v35
	v_add_f32_e32 v32, v32, v33
	v_exp_f32_e32 v32, v32
	v_cvt_i32_f32_e32 v33, v35
	v_cmp_ngt_f32_e32 vcc, s74, v28
	v_cndmask_b32_e64 v21, v21, v21, s[4:5]
	s_mov_b64 s[8:9], src_private_base
	v_ldexp_f32 v32, v32, v33
	v_cndmask_b32_e32 v32, 0, v32, vcc
	v_cmp_nlt_f32_e32 vcc, s65, v28
	v_cndmask_b32_e32 v32, v212, v32, vcc
	v_add_f32_e32 v33, v32, v23
	v_mov_b32_e32 v28, s67
	v_cndmask_b32_e64 v53, v28, v32, s[18:19]
	v_cndmask_b32_e64 v28, v23, v33, s[18:19]
	v_sub_f32_e32 v23, v29, v34
	v_mul_f32_e32 v29, 0x3fb8aa3b, v23
	v_fma_f32 v32, v23, s75, -v29
	v_rndne_f32_e32 v33, v29
	v_fmac_f32_e32 v32, 0x32a5705f, v23
	v_sub_f32_e32 v29, v29, v33
	v_add_f32_e32 v29, v29, v32
	v_exp_f32_e32 v29, v29
	v_cvt_i32_f32_e32 v32, v33
	v_cmp_ngt_f32_e32 vcc, s74, v23
	s_mov_b32 s8, 0
	buffer_store_dword v227, off, s[0:3], 0
	buffer_store_dword v227, off, s[0:3], 0 offset:4
	buffer_store_dword v227, off, s[0:3], 0 offset:8
	;; [unrolled: 1-line block ×3, first 2 shown]
	v_ldexp_f32 v29, v29, v32
	v_cndmask_b32_e32 v29, 0, v29, vcc
	v_cmp_nlt_f32_e32 vcc, s65, v23
	v_cndmask_b32_e32 v29, v212, v29, vcc
	v_add_f32_e32 v32, v29, v28
	v_mov_b32_e32 v23, s67
	v_cndmask_b32_e64 v29, v23, v29, s[20:21]
	v_cndmask_b32_e64 v23, v28, v32, s[20:21]
	v_sub_f32_e32 v28, v30, v34
	v_mul_f32_e32 v30, 0x3fb8aa3b, v28
	v_fma_f32 v32, v28, s75, -v30
	v_rndne_f32_e32 v33, v30
	v_fmac_f32_e32 v32, 0x32a5705f, v28
	v_sub_f32_e32 v30, v30, v33
	v_add_f32_e32 v30, v30, v32
	v_exp_f32_e32 v30, v30
	v_cvt_i32_f32_e32 v32, v33
	v_cmp_ngt_f32_e32 vcc, s74, v28
	s_add_i32 s47, s47, -1
	s_cmp_lg_u32 s47, 0
	v_ldexp_f32 v30, v30, v32
	v_cndmask_b32_e32 v30, 0, v30, vcc
	v_cmp_nlt_f32_e32 vcc, s65, v28
	v_cndmask_b32_e32 v30, v212, v30, vcc
	v_add_f32_e32 v32, v30, v23
	v_mov_b32_e32 v28, s67
	v_cndmask_b32_e64 v28, v28, v30, s[22:23]
	v_cndmask_b32_e64 v30, v23, v32, s[22:23]
	v_sub_f32_e32 v23, v31, v34
	v_mul_f32_e32 v31, 0x3fb8aa3b, v23
	v_fma_f32 v32, v23, s75, -v31
	v_rndne_f32_e32 v33, v31
	v_fmac_f32_e32 v32, 0x32a5705f, v23
	v_sub_f32_e32 v31, v31, v33
	v_add_f32_e32 v31, v31, v32
	v_exp_f32_e32 v31, v31
	v_cvt_i32_f32_e32 v32, v33
	v_cmp_ngt_f32_e32 vcc, s74, v23
	v_ldexp_f32 v31, v31, v32
	v_cndmask_b32_e32 v31, 0, v31, vcc
	v_cmp_nlt_f32_e32 vcc, s65, v23
	v_cndmask_b32_e32 v31, v212, v31, vcc
	v_add_f32_e32 v32, v31, v30
	v_mov_b32_e32 v23, s67
	v_cndmask_b32_e64 v31, v23, v31, s[24:25]
	v_cndmask_b32_e64 v23, v30, v32, s[24:25]
	v_mul_f32_e32 v30, 0x3fb8aa3b, v24
	v_fma_f32 v32, v24, s75, -v30
	v_rndne_f32_e32 v33, v30
	v_fmac_f32_e32 v32, 0x32a5705f, v24
	v_sub_f32_e32 v30, v30, v33
	v_add_f32_e32 v30, v30, v32
	v_exp_f32_e32 v30, v30
	v_cvt_i32_f32_e32 v32, v33
	v_cmp_ngt_f32_e32 vcc, s74, v24
	v_ldexp_f32 v30, v30, v32
	v_cndmask_b32_e32 v30, 0, v30, vcc
	v_cmp_nlt_f32_e32 vcc, s65, v24
	v_cndmask_b32_e32 v30, v212, v30, vcc
	v_add_f32_e32 v32, v30, v23
	v_mov_b32_e32 v24, s67
	v_cndmask_b32_e64 v30, v24, v30, s[26:27]
	v_cndmask_b32_e64 v24, v23, v32, s[26:27]
	v_sub_f32_e32 v23, v25, v34
	v_mul_f32_e32 v25, 0x3fb8aa3b, v23
	v_fma_f32 v32, v23, s75, -v25
	v_rndne_f32_e32 v33, v25
	v_fmac_f32_e32 v32, 0x32a5705f, v23
	v_sub_f32_e32 v25, v25, v33
	v_add_f32_e32 v25, v25, v32
	v_exp_f32_e32 v25, v25
	v_cvt_i32_f32_e32 v32, v33
	v_cmp_ngt_f32_e32 vcc, s74, v23
	v_ldexp_f32 v25, v25, v32
	v_cndmask_b32_e32 v25, 0, v25, vcc
	v_cmp_nlt_f32_e32 vcc, s65, v23
	v_cndmask_b32_e32 v25, v212, v25, vcc
	v_add_f32_e32 v32, v25, v24
	v_mov_b32_e32 v23, s67
	v_cndmask_b32_e64 v81, v23, v25, s[28:29]
	v_cndmask_b32_e64 v23, v24, v32, s[28:29]
	v_sub_f32_e32 v24, v26, v34
	;; [unrolled: 18-line block ×3, first 2 shown]
	v_mul_f32_e32 v25, 0x3fb8aa3b, v23
	v_fma_f32 v26, v23, s75, -v25
	v_rndne_f32_e32 v27, v25
	v_fmac_f32_e32 v26, 0x32a5705f, v23
	v_sub_f32_e32 v25, v25, v27
	v_add_f32_e32 v25, v25, v26
	v_exp_f32_e32 v25, v25
	v_cvt_i32_f32_e32 v26, v27
	v_cmp_ngt_f32_e32 vcc, s74, v23
	v_ldexp_f32 v25, v25, v26
	v_cndmask_b32_e32 v25, 0, v25, vcc
	v_cmp_nlt_f32_e32 vcc, s65, v23
	v_cndmask_b32_e32 v25, v212, v25, vcc
	v_add_f32_e32 v26, v25, v24
	v_mov_b32_e32 v23, s67
	v_cndmask_b32_e64 v27, v23, v25, s[34:35]
	v_cndmask_b32_e64 v23, v24, v26, s[34:35]
	v_mul_f32_e32 v24, 0x3fb8aa3b, v18
	v_fma_f32 v25, v18, s75, -v24
	v_rndne_f32_e32 v26, v24
	v_fmac_f32_e32 v25, 0x32a5705f, v18
	v_sub_f32_e32 v24, v24, v26
	v_add_f32_e32 v24, v24, v25
	v_exp_f32_e32 v24, v24
	v_cvt_i32_f32_e32 v25, v26
	v_cmp_ngt_f32_e32 vcc, s74, v18
	v_ldexp_f32 v24, v24, v25
	v_cndmask_b32_e32 v24, 0, v24, vcc
	v_cmp_nlt_f32_e32 vcc, s65, v18
	v_cndmask_b32_e32 v24, v212, v24, vcc
	v_add_f32_e32 v25, v24, v23
	v_mov_b32_e32 v18, s67
	v_cndmask_b32_e64 v26, v18, v24, s[4:5]
	v_cndmask_b32_e64 v18, v23, v25, s[4:5]
	;; [unrolled: 17-line block ×3, first 2 shown]
	v_sub_f32_e32 v18, v20, v34
	v_mul_f32_e32 v20, 0x3fb8aa3b, v18
	v_fma_f32 v23, v18, s75, -v20
	v_rndne_f32_e32 v24, v20
	v_fmac_f32_e32 v23, 0x32a5705f, v18
	v_sub_f32_e32 v20, v20, v24
	v_add_f32_e32 v20, v20, v23
	v_exp_f32_e32 v20, v20
	v_cvt_i32_f32_e32 v23, v24
	v_cmp_ngt_f32_e32 vcc, s74, v18
	v_ldexp_f32 v20, v20, v23
	v_cndmask_b32_e32 v20, 0, v20, vcc
	v_cmp_nlt_f32_e32 vcc, s65, v18
	v_cndmask_b32_e32 v20, v212, v20, vcc
	v_add_f32_e32 v23, v20, v19
	v_mov_b32_e32 v18, s67
	v_cndmask_b32_e64 v247, v18, v20, s[38:39]
	v_cndmask_b32_e64 v18, v19, v23, s[38:39]
	v_sub_f32_e32 v19, v21, v34
	v_mul_f32_e32 v20, 0x3fb8aa3b, v19
	v_fma_f32 v21, v19, s75, -v20
	v_rndne_f32_e32 v23, v20
	v_fmac_f32_e32 v21, 0x32a5705f, v19
	v_sub_f32_e32 v20, v20, v23
	v_add_f32_e32 v20, v20, v21
	v_exp_f32_e32 v20, v20
	v_cvt_i32_f32_e32 v21, v23
	v_cmp_ngt_f32_e32 vcc, s74, v19
	v_ldexp_f32 v20, v20, v21
	v_cndmask_b32_e32 v20, 0, v20, vcc
	v_cmp_nlt_f32_e32 vcc, s65, v19
	v_cndmask_b32_e32 v20, v212, v20, vcc
	v_add_f32_e32 v21, v20, v18
	v_mov_b32_e32 v19, s67
	v_cndmask_b32_e64 v35, v18, v21, s[40:41]
	v_sub_f32_e32 v18, v201, v34
	v_cndmask_b32_e64 v19, v19, v20, s[40:41]
	v_mul_f32_e32 v20, 0x3fb8aa3b, v18
	v_fma_f32 v21, v18, s75, -v20
	v_rndne_f32_e32 v23, v20
	v_fmac_f32_e32 v21, 0x32a5705f, v18
	v_sub_f32_e32 v20, v20, v23
	v_add_f32_e32 v20, v20, v21
	v_exp_f32_e32 v20, v20
	v_cvt_i32_f32_e32 v21, v23
	v_cmp_ngt_f32_e32 vcc, s74, v18
	v_cvt_f16_f32_e32 v19, v19
	v_ldexp_f32 v20, v20, v21
	v_cndmask_b32_e32 v20, 0, v20, vcc
	v_cmp_nlt_f32_e32 vcc, s65, v18
	v_cndmask_b32_e32 v20, v212, v20, vcc
	v_cmp_le_f32_e32 vcc, s6, v18
	v_cndmask_b32_e32 v18, 0, v20, vcc
	v_fmac_f32_e32 v35, v213, v18
	v_cvt_f16_f32_e32 v18, v18
	v_cvt_f16_f32_e32 v20, v50
	;; [unrolled: 1-line block ×3, first 2 shown]
	v_pk_mul_f16 v49, v18, v60 op_sel_hi:[0,1]
	v_pk_mul_f16 v48, v18, v200 op_sel_hi:[0,1]
	;; [unrolled: 1-line block ×16, first 2 shown]
	v_cvt_f16_f32_e32 v18, v22
	v_pack_b32_f16 v24, v18, v20
	v_cvt_f16_f32_e32 v18, v51
	v_cvt_f16_f32_e32 v20, v52
	v_mov_b32_e32 v52, s9
	v_pack_b32_f16 v25, v18, v20
	v_cvt_f16_f32_e32 v18, v53
	v_cvt_f16_f32_e32 v20, v29
	v_mov_b32_e32 v53, s8
	v_pack_b32_f16 v22, v18, v20
	v_cvt_f16_f32_e32 v18, v28
	v_cvt_f16_f32_e32 v20, v31
	v_pack_b32_f16 v23, v18, v20
	v_cvt_f16_f32_e32 v18, v30
	v_cvt_f16_f32_e32 v20, v81
	v_pack_b32_f16 v20, v18, v20
	v_cvt_f16_f32_e32 v18, v250
	v_pack_b32_f16 v21, v18, v21
	v_cvt_f16_f32_e32 v18, v26
	v_cvt_f16_f32_e32 v26, v251
	v_pack_b32_f16 v18, v18, v26
	v_cvt_f16_f32_e32 v26, v247
	v_pack_b32_f16 v19, v26, v19
	v_add_co_u32_e32 v26, vcc, v84, v78
	v_addc_co_u32_e32 v27, vcc, 0, v1, vcc
	v_cndmask_b32_e64 v50, v53, v26, s[58:59]
	v_add_co_u32_e32 v26, vcc, v86, v78
	v_cndmask_b32_e64 v51, v52, v27, s[58:59]
	v_addc_co_u32_e32 v27, vcc, 0, v55, vcc
	v_cndmask_b32_e64 v30, v53, v26, s[10:11]
	v_add_co_u32_e32 v26, vcc, v88, v78
	v_cndmask_b32_e64 v31, v52, v27, s[10:11]
	;; [unrolled: 4-line block ×3, first 2 shown]
	v_addc_co_u32_e32 v27, vcc, 0, v59, vcc
	v_cndmask_b32_e64 v27, v52, v27, s[14:15]
	v_cndmask_b32_e64 v26, v53, v26, s[14:15]
	flat_load_dwordx4 v[50:53], v[50:51]
	v_add_co_u32_e32 v84, vcc, s68, v84
	s_waitcnt vmcnt(0) lgkmcnt(0)
	ds_write_b128 v153, v[50:53]
	flat_load_dwordx4 v[50:53], v[30:31]
	s_waitcnt vmcnt(0) lgkmcnt(0)
	ds_write_b128 v244, v[50:53]
	flat_load_dwordx4 v[28:31], v[28:29]
	;; [unrolled: 3-line block ×3, first 2 shown]
	s_waitcnt vmcnt(0) lgkmcnt(0)
	ds_write_b128 v248, v[26:29]
	s_waitcnt lgkmcnt(0)
	s_barrier
	ds_read_u16 v30, v183 offset:544
	v_cvt_f32_f16_e32 v28, v48
	v_cvt_f32_f16_sdwa v29, v48 dst_sel:DWORD dst_unused:UNUSED_PAD src0_sel:WORD_1
	ds_read_u16 v31, v184
	ds_read_u16 v48, v184 offset:32
	v_cvt_f32_f16_e32 v26, v49
	v_cvt_f32_f16_sdwa v27, v49 dst_sel:DWORD dst_unused:UNUSED_PAD src0_sel:WORD_1
	s_waitcnt lgkmcnt(1)
	v_perm_b32 v31, v31, v30, s64
	ds_read_u16 v30, v185
	ds_read_u16 v49, v185 offset:32
	ds_read_u16 v50, v181 offset:272
	;; [unrolled: 1-line block ×3, first 2 shown]
	s_waitcnt lgkmcnt(1)
	v_perm_b32 v30, v50, v30, s64
	s_nop 1
	v_mfma_f32_16x16x16f16 v[26:29], v[30:31], v[24:25], v[26:29]
	ds_read_u16 v30, v185 offset:4352
	ds_read_u16 v50, v181 offset:4624
	ds_read_u16 v31, v161 offset:544
	ds_read_u16 v52, v184 offset:4352
	s_waitcnt lgkmcnt(2)
	v_perm_b32 v30, v50, v30, s64
	s_waitcnt lgkmcnt(0)
	v_perm_b32 v31, v52, v31, s64
	s_nop 2
	v_cvt_f16_f32_e32 v26, v26
	v_cvt_f16_f32_e32 v27, v27
	v_cvt_f16_f32_e32 v28, v28
	v_cvt_f16_f32_e32 v29, v29
	v_cvt_f32_f16_e32 v26, v26
	v_cvt_f32_f16_e32 v27, v27
	v_cvt_f32_f16_e32 v28, v28
	v_cvt_f32_f16_e32 v29, v29
	s_nop 1
	v_mfma_f32_16x16x16f16 v[26:29], v[30:31], v[22:23], v[26:29]
	ds_read_u16 v30, v185 offset:8704
	ds_read_u16 v50, v181 offset:8976
	ds_read_u16 v31, v162 offset:544
	ds_read_u16 v52, v184 offset:8704
	s_waitcnt lgkmcnt(2)
	v_perm_b32 v30, v50, v30, s64
	s_waitcnt lgkmcnt(0)
	v_perm_b32 v31, v52, v31, s64
	s_nop 2
	v_cvt_f16_f32_e32 v26, v26
	v_cvt_f16_f32_e32 v27, v27
	v_cvt_f16_f32_e32 v28, v28
	v_cvt_f16_f32_e32 v29, v29
	v_cvt_f32_f16_e32 v26, v26
	v_cvt_f32_f16_e32 v27, v27
	v_cvt_f32_f16_e32 v28, v28
	v_cvt_f32_f16_e32 v29, v29
	;; [unrolled: 19-line block ×3, first 2 shown]
	s_nop 1
	v_mfma_f32_16x16x16f16 v[26:29], v[30:31], v[18:19], v[26:29]
	ds_read_u16 v30, v186 offset:544
	s_waitcnt lgkmcnt(0)
	v_perm_b32 v31, v48, v30, s64
	v_perm_b32 v30, v51, v49, s64
	s_nop 6
	v_cvt_f16_f32_e32 v26, v26
	v_cvt_f16_f32_e32 v27, v27
	v_cvt_f16_f32_e32 v28, v28
	v_cvt_f16_f32_e32 v29, v29
	v_pack_b32_f16 v60, v26, v27
	v_cvt_f32_f16_e32 v26, v47
	v_pack_b32_f16 v200, v28, v29
	v_cvt_f32_f16_sdwa v27, v47 dst_sel:DWORD dst_unused:UNUSED_PAD src0_sel:WORD_1
	v_cvt_f32_f16_e32 v28, v46
	v_cvt_f32_f16_sdwa v29, v46 dst_sel:DWORD dst_unused:UNUSED_PAD src0_sel:WORD_1
	s_nop 1
	v_mfma_f32_16x16x16f16 v[26:29], v[30:31], v[24:25], v[26:29]
	ds_read_u16 v30, v185 offset:4384
	ds_read_u16 v46, v181 offset:4656
	ds_read_u16 v31, v164 offset:544
	ds_read_u16 v47, v184 offset:4384
	s_waitcnt lgkmcnt(2)
	v_perm_b32 v30, v46, v30, s64
	s_waitcnt lgkmcnt(0)
	v_perm_b32 v31, v47, v31, s64
	s_nop 2
	v_cvt_f16_f32_e32 v26, v26
	v_cvt_f16_f32_e32 v27, v27
	v_cvt_f16_f32_e32 v28, v28
	v_cvt_f16_f32_e32 v29, v29
	v_cvt_f32_f16_e32 v26, v26
	v_cvt_f32_f16_e32 v27, v27
	v_cvt_f32_f16_e32 v28, v28
	v_cvt_f32_f16_e32 v29, v29
	s_nop 1
	v_mfma_f32_16x16x16f16 v[26:29], v[30:31], v[22:23], v[26:29]
	ds_read_u16 v30, v185 offset:8736
	ds_read_u16 v46, v181 offset:9008
	ds_read_u16 v31, v165 offset:544
	ds_read_u16 v47, v184 offset:8736
	s_waitcnt lgkmcnt(2)
	v_perm_b32 v30, v46, v30, s64
	s_waitcnt lgkmcnt(0)
	v_perm_b32 v31, v47, v31, s64
	s_nop 2
	v_cvt_f16_f32_e32 v26, v26
	v_cvt_f16_f32_e32 v27, v27
	v_cvt_f16_f32_e32 v28, v28
	v_cvt_f16_f32_e32 v29, v29
	v_cvt_f32_f16_e32 v26, v26
	v_cvt_f32_f16_e32 v27, v27
	v_cvt_f32_f16_e32 v28, v28
	v_cvt_f32_f16_e32 v29, v29
	s_nop 1
	v_mfma_f32_16x16x16f16 v[26:29], v[30:31], v[20:21], v[26:29]
	ds_read_u16 v30, v185 offset:13088
	ds_read_u16 v46, v181 offset:13360
	ds_read_u16 v31, v166 offset:544
	ds_read_u16 v47, v184 offset:13088
	s_waitcnt lgkmcnt(2)
	v_perm_b32 v30, v46, v30, s64
	s_waitcnt lgkmcnt(0)
	v_perm_b32 v31, v47, v31, s64
	s_nop 2
	v_cvt_f16_f32_e32 v26, v26
	v_cvt_f16_f32_e32 v27, v27
	v_cvt_f16_f32_e32 v28, v28
	v_cvt_f16_f32_e32 v29, v29
	v_cvt_f32_f16_e32 v26, v26
	v_cvt_f32_f16_e32 v27, v27
	v_cvt_f32_f16_e32 v28, v28
	v_cvt_f32_f16_e32 v29, v29
	s_nop 1
	v_mfma_f32_16x16x16f16 v[26:29], v[30:31], v[18:19], v[26:29]
	ds_read_u16 v30, v185 offset:64
	ds_read_u16 v46, v181 offset:336
	;; [unrolled: 1-line block ×4, first 2 shown]
	s_waitcnt lgkmcnt(2)
	v_perm_b32 v30, v46, v30, s64
	s_waitcnt lgkmcnt(0)
	v_perm_b32 v31, v47, v31, s64
	s_nop 2
	v_cvt_f16_f32_e32 v26, v26
	v_cvt_f16_f32_e32 v27, v27
	;; [unrolled: 1-line block ×4, first 2 shown]
	v_pack_b32_f16 v134, v26, v27
	v_cvt_f32_f16_e32 v26, v45
	v_pack_b32_f16 v133, v28, v29
	v_cvt_f32_f16_sdwa v27, v45 dst_sel:DWORD dst_unused:UNUSED_PAD src0_sel:WORD_1
	v_cvt_f32_f16_e32 v28, v44
	v_cvt_f32_f16_sdwa v29, v44 dst_sel:DWORD dst_unused:UNUSED_PAD src0_sel:WORD_1
	s_nop 1
	v_mfma_f32_16x16x16f16 v[26:29], v[30:31], v[24:25], v[26:29]
	ds_read_u16 v30, v185 offset:4416
	ds_read_u16 v44, v181 offset:4688
	ds_read_u16 v31, v167 offset:544
	ds_read_u16 v45, v184 offset:4416
	s_waitcnt lgkmcnt(2)
	v_perm_b32 v30, v44, v30, s64
	s_waitcnt lgkmcnt(0)
	v_perm_b32 v31, v45, v31, s64
	s_nop 2
	v_cvt_f16_f32_e32 v26, v26
	v_cvt_f16_f32_e32 v27, v27
	v_cvt_f16_f32_e32 v28, v28
	v_cvt_f16_f32_e32 v29, v29
	v_cvt_f32_f16_e32 v26, v26
	v_cvt_f32_f16_e32 v27, v27
	v_cvt_f32_f16_e32 v28, v28
	v_cvt_f32_f16_e32 v29, v29
	s_nop 1
	v_mfma_f32_16x16x16f16 v[26:29], v[30:31], v[22:23], v[26:29]
	ds_read_u16 v30, v185 offset:8768
	ds_read_u16 v44, v181 offset:9040
	ds_read_u16 v31, v168 offset:544
	ds_read_u16 v45, v184 offset:8768
	s_waitcnt lgkmcnt(2)
	v_perm_b32 v30, v44, v30, s64
	s_waitcnt lgkmcnt(0)
	v_perm_b32 v31, v45, v31, s64
	s_nop 2
	v_cvt_f16_f32_e32 v26, v26
	v_cvt_f16_f32_e32 v27, v27
	v_cvt_f16_f32_e32 v28, v28
	v_cvt_f16_f32_e32 v29, v29
	v_cvt_f32_f16_e32 v26, v26
	v_cvt_f32_f16_e32 v27, v27
	v_cvt_f32_f16_e32 v28, v28
	v_cvt_f32_f16_e32 v29, v29
	;; [unrolled: 19-line block ×3, first 2 shown]
	s_nop 1
	v_mfma_f32_16x16x16f16 v[26:29], v[30:31], v[18:19], v[26:29]
	ds_read_u16 v30, v185 offset:96
	ds_read_u16 v44, v181 offset:368
	;; [unrolled: 1-line block ×4, first 2 shown]
	s_waitcnt lgkmcnt(2)
	v_perm_b32 v30, v44, v30, s64
	s_waitcnt lgkmcnt(0)
	v_perm_b32 v31, v45, v31, s64
	s_nop 2
	v_cvt_f16_f32_e32 v26, v26
	v_cvt_f16_f32_e32 v27, v27
	;; [unrolled: 1-line block ×4, first 2 shown]
	v_pack_b32_f16 v137, v26, v27
	v_cvt_f32_f16_e32 v26, v43
	v_pack_b32_f16 v136, v28, v29
	v_cvt_f32_f16_sdwa v27, v43 dst_sel:DWORD dst_unused:UNUSED_PAD src0_sel:WORD_1
	v_cvt_f32_f16_e32 v28, v42
	v_cvt_f32_f16_sdwa v29, v42 dst_sel:DWORD dst_unused:UNUSED_PAD src0_sel:WORD_1
	s_nop 1
	v_mfma_f32_16x16x16f16 v[26:29], v[30:31], v[24:25], v[26:29]
	ds_read_u16 v30, v185 offset:4448
	ds_read_u16 v42, v181 offset:4720
	ds_read_u16 v31, v171 offset:544
	ds_read_u16 v43, v184 offset:4448
	s_waitcnt lgkmcnt(2)
	v_perm_b32 v30, v42, v30, s64
	s_waitcnt lgkmcnt(0)
	v_perm_b32 v31, v43, v31, s64
	s_nop 2
	v_cvt_f16_f32_e32 v26, v26
	v_cvt_f16_f32_e32 v27, v27
	v_cvt_f16_f32_e32 v28, v28
	v_cvt_f16_f32_e32 v29, v29
	v_cvt_f32_f16_e32 v26, v26
	v_cvt_f32_f16_e32 v27, v27
	v_cvt_f32_f16_e32 v28, v28
	v_cvt_f32_f16_e32 v29, v29
	s_nop 1
	v_mfma_f32_16x16x16f16 v[26:29], v[30:31], v[22:23], v[26:29]
	ds_read_u16 v30, v185 offset:8800
	ds_read_u16 v42, v181 offset:9072
	ds_read_u16 v31, v173 offset:544
	ds_read_u16 v43, v184 offset:8800
	s_waitcnt lgkmcnt(2)
	v_perm_b32 v30, v42, v30, s64
	s_waitcnt lgkmcnt(0)
	v_perm_b32 v31, v43, v31, s64
	s_nop 2
	v_cvt_f16_f32_e32 v26, v26
	v_cvt_f16_f32_e32 v27, v27
	v_cvt_f16_f32_e32 v28, v28
	v_cvt_f16_f32_e32 v29, v29
	v_cvt_f32_f16_e32 v26, v26
	v_cvt_f32_f16_e32 v27, v27
	v_cvt_f32_f16_e32 v28, v28
	v_cvt_f32_f16_e32 v29, v29
	;; [unrolled: 19-line block ×3, first 2 shown]
	s_nop 1
	v_mfma_f32_16x16x16f16 v[26:29], v[30:31], v[18:19], v[26:29]
	ds_read_u16 v30, v185 offset:128
	ds_read_u16 v42, v181 offset:400
	;; [unrolled: 1-line block ×4, first 2 shown]
	s_waitcnt lgkmcnt(2)
	v_perm_b32 v30, v42, v30, s64
	s_waitcnt lgkmcnt(0)
	v_perm_b32 v31, v43, v31, s64
	s_nop 2
	v_cvt_f16_f32_e32 v26, v26
	v_cvt_f16_f32_e32 v27, v27
	;; [unrolled: 1-line block ×4, first 2 shown]
	v_pack_b32_f16 v140, v26, v27
	v_cvt_f32_f16_e32 v26, v41
	v_pack_b32_f16 v138, v28, v29
	v_cvt_f32_f16_sdwa v27, v41 dst_sel:DWORD dst_unused:UNUSED_PAD src0_sel:WORD_1
	v_cvt_f32_f16_e32 v28, v40
	v_cvt_f32_f16_sdwa v29, v40 dst_sel:DWORD dst_unused:UNUSED_PAD src0_sel:WORD_1
	s_nop 1
	v_mfma_f32_16x16x16f16 v[26:29], v[30:31], v[24:25], v[26:29]
	ds_read_u16 v30, v185 offset:4480
	ds_read_u16 v40, v181 offset:4752
	ds_read_u16 v31, v176 offset:544
	ds_read_u16 v41, v184 offset:4480
	s_waitcnt lgkmcnt(2)
	v_perm_b32 v30, v40, v30, s64
	s_waitcnt lgkmcnt(0)
	v_perm_b32 v31, v41, v31, s64
	s_nop 2
	v_cvt_f16_f32_e32 v26, v26
	v_cvt_f16_f32_e32 v27, v27
	v_cvt_f16_f32_e32 v28, v28
	v_cvt_f16_f32_e32 v29, v29
	v_cvt_f32_f16_e32 v26, v26
	v_cvt_f32_f16_e32 v27, v27
	v_cvt_f32_f16_e32 v28, v28
	v_cvt_f32_f16_e32 v29, v29
	s_nop 1
	v_mfma_f32_16x16x16f16 v[26:29], v[30:31], v[22:23], v[26:29]
	ds_read_u16 v30, v185 offset:8832
	ds_read_u16 v40, v181 offset:9104
	ds_read_u16 v31, v177 offset:544
	ds_read_u16 v41, v184 offset:8832
	s_waitcnt lgkmcnt(2)
	v_perm_b32 v30, v40, v30, s64
	s_waitcnt lgkmcnt(0)
	v_perm_b32 v31, v41, v31, s64
	s_nop 2
	v_cvt_f16_f32_e32 v26, v26
	v_cvt_f16_f32_e32 v27, v27
	v_cvt_f16_f32_e32 v28, v28
	v_cvt_f16_f32_e32 v29, v29
	v_cvt_f32_f16_e32 v26, v26
	v_cvt_f32_f16_e32 v27, v27
	v_cvt_f32_f16_e32 v28, v28
	v_cvt_f32_f16_e32 v29, v29
	;; [unrolled: 19-line block ×3, first 2 shown]
	s_nop 1
	v_mfma_f32_16x16x16f16 v[26:29], v[30:31], v[18:19], v[26:29]
	ds_read_u16 v30, v185 offset:160
	ds_read_u16 v40, v181 offset:432
	;; [unrolled: 1-line block ×4, first 2 shown]
	s_waitcnt lgkmcnt(2)
	v_perm_b32 v30, v40, v30, s64
	s_waitcnt lgkmcnt(0)
	v_perm_b32 v31, v41, v31, s64
	s_nop 2
	v_cvt_f16_f32_e32 v26, v26
	v_cvt_f16_f32_e32 v27, v27
	;; [unrolled: 1-line block ×4, first 2 shown]
	v_pack_b32_f16 v142, v26, v27
	v_cvt_f32_f16_e32 v26, v39
	v_pack_b32_f16 v141, v28, v29
	v_cvt_f32_f16_sdwa v27, v39 dst_sel:DWORD dst_unused:UNUSED_PAD src0_sel:WORD_1
	v_cvt_f32_f16_e32 v28, v38
	v_cvt_f32_f16_sdwa v29, v38 dst_sel:DWORD dst_unused:UNUSED_PAD src0_sel:WORD_1
	s_nop 1
	v_mfma_f32_16x16x16f16 v[26:29], v[30:31], v[24:25], v[26:29]
	ds_read_u16 v30, v185 offset:4512
	ds_read_u16 v38, v181 offset:4784
	ds_read_u16 v31, v189 offset:544
	ds_read_u16 v39, v184 offset:4512
	s_waitcnt lgkmcnt(2)
	v_perm_b32 v30, v38, v30, s64
	s_waitcnt lgkmcnt(0)
	v_perm_b32 v31, v39, v31, s64
	s_nop 2
	v_cvt_f16_f32_e32 v26, v26
	v_cvt_f16_f32_e32 v27, v27
	v_cvt_f16_f32_e32 v28, v28
	v_cvt_f16_f32_e32 v29, v29
	v_cvt_f32_f16_e32 v26, v26
	v_cvt_f32_f16_e32 v27, v27
	v_cvt_f32_f16_e32 v28, v28
	v_cvt_f32_f16_e32 v29, v29
	s_nop 1
	v_mfma_f32_16x16x16f16 v[26:29], v[30:31], v[22:23], v[26:29]
	ds_read_u16 v30, v185 offset:8864
	ds_read_u16 v38, v181 offset:9136
	ds_read_u16 v31, v190 offset:544
	ds_read_u16 v39, v184 offset:8864
	s_waitcnt lgkmcnt(2)
	v_perm_b32 v30, v38, v30, s64
	s_waitcnt lgkmcnt(0)
	v_perm_b32 v31, v39, v31, s64
	s_nop 2
	v_cvt_f16_f32_e32 v26, v26
	v_cvt_f16_f32_e32 v27, v27
	v_cvt_f16_f32_e32 v28, v28
	v_cvt_f16_f32_e32 v29, v29
	v_cvt_f32_f16_e32 v26, v26
	v_cvt_f32_f16_e32 v27, v27
	v_cvt_f32_f16_e32 v28, v28
	v_cvt_f32_f16_e32 v29, v29
	;; [unrolled: 19-line block ×3, first 2 shown]
	s_nop 1
	v_mfma_f32_16x16x16f16 v[26:29], v[30:31], v[18:19], v[26:29]
	ds_read_u16 v30, v185 offset:192
	ds_read_u16 v38, v181 offset:464
	;; [unrolled: 1-line block ×4, first 2 shown]
	s_waitcnt lgkmcnt(2)
	v_perm_b32 v30, v38, v30, s64
	s_waitcnt lgkmcnt(0)
	v_perm_b32 v31, v39, v31, s64
	s_nop 2
	v_cvt_f16_f32_e32 v26, v26
	v_cvt_f16_f32_e32 v27, v27
	;; [unrolled: 1-line block ×4, first 2 shown]
	v_pack_b32_f16 v146, v26, v27
	v_cvt_f32_f16_e32 v26, v37
	v_pack_b32_f16 v145, v28, v29
	v_cvt_f32_f16_sdwa v27, v37 dst_sel:DWORD dst_unused:UNUSED_PAD src0_sel:WORD_1
	v_cvt_f32_f16_e32 v28, v36
	v_cvt_f32_f16_sdwa v29, v36 dst_sel:DWORD dst_unused:UNUSED_PAD src0_sel:WORD_1
	s_nop 1
	v_mfma_f32_16x16x16f16 v[26:29], v[30:31], v[24:25], v[26:29]
	ds_read_u16 v30, v185 offset:4544
	ds_read_u16 v36, v181 offset:4816
	ds_read_u16 v31, v193 offset:544
	ds_read_u16 v37, v184 offset:4544
	s_waitcnt lgkmcnt(2)
	v_perm_b32 v30, v36, v30, s64
	s_waitcnt lgkmcnt(0)
	v_perm_b32 v31, v37, v31, s64
	s_nop 2
	v_cvt_f16_f32_e32 v26, v26
	v_cvt_f16_f32_e32 v27, v27
	v_cvt_f16_f32_e32 v28, v28
	v_cvt_f16_f32_e32 v29, v29
	v_cvt_f32_f16_e32 v26, v26
	v_cvt_f32_f16_e32 v27, v27
	v_cvt_f32_f16_e32 v28, v28
	v_cvt_f32_f16_e32 v29, v29
	s_nop 1
	v_mfma_f32_16x16x16f16 v[26:29], v[30:31], v[22:23], v[26:29]
	ds_read_u16 v30, v185 offset:8896
	ds_read_u16 v36, v181 offset:9168
	ds_read_u16 v31, v194 offset:544
	ds_read_u16 v37, v184 offset:8896
	s_waitcnt lgkmcnt(2)
	v_perm_b32 v30, v36, v30, s64
	s_waitcnt lgkmcnt(0)
	v_perm_b32 v31, v37, v31, s64
	s_nop 2
	v_cvt_f16_f32_e32 v26, v26
	v_cvt_f16_f32_e32 v27, v27
	v_cvt_f16_f32_e32 v28, v28
	v_cvt_f16_f32_e32 v29, v29
	v_cvt_f32_f16_e32 v26, v26
	v_cvt_f32_f16_e32 v27, v27
	v_cvt_f32_f16_e32 v28, v28
	v_cvt_f32_f16_e32 v29, v29
	;; [unrolled: 19-line block ×3, first 2 shown]
	s_nop 1
	v_mfma_f32_16x16x16f16 v[26:29], v[30:31], v[18:19], v[26:29]
	ds_read_u16 v30, v185 offset:224
	ds_read_u16 v36, v181 offset:496
	;; [unrolled: 1-line block ×4, first 2 shown]
	s_waitcnt lgkmcnt(2)
	v_perm_b32 v30, v36, v30, s64
	s_waitcnt lgkmcnt(0)
	v_perm_b32 v31, v37, v31, s64
	s_nop 2
	v_cvt_f16_f32_e32 v26, v26
	v_cvt_f16_f32_e32 v27, v27
	;; [unrolled: 1-line block ×4, first 2 shown]
	v_pack_b32_f16 v135, v26, v27
	v_cvt_f32_f16_e32 v26, v33
	v_pack_b32_f16 v147, v28, v29
	v_cvt_f32_f16_sdwa v27, v33 dst_sel:DWORD dst_unused:UNUSED_PAD src0_sel:WORD_1
	v_cvt_f32_f16_e32 v28, v32
	v_cvt_f32_f16_sdwa v29, v32 dst_sel:DWORD dst_unused:UNUSED_PAD src0_sel:WORD_1
	s_nop 1
	v_mfma_f32_16x16x16f16 v[24:27], v[30:31], v[24:25], v[26:29]
	s_nop 6
	ds_read_u16 v28, v185 offset:4576
	ds_read_u16 v30, v181 offset:4848
	;; [unrolled: 1-line block ×4, first 2 shown]
	s_waitcnt lgkmcnt(2)
	v_perm_b32 v28, v30, v28, s64
	s_waitcnt lgkmcnt(0)
	v_perm_b32 v29, v31, v29, s64
	v_cvt_f16_f32_e32 v24, v24
	v_cvt_f16_f32_e32 v25, v25
	;; [unrolled: 1-line block ×4, first 2 shown]
	v_cvt_f32_f16_e32 v24, v24
	v_cvt_f32_f16_e32 v25, v25
	;; [unrolled: 1-line block ×4, first 2 shown]
	s_nop 1
	v_mfma_f32_16x16x16f16 v[22:25], v[28:29], v[22:23], v[24:27]
	s_nop 6
	ds_read_u16 v26, v185 offset:8928
	ds_read_u16 v28, v181 offset:9200
	;; [unrolled: 1-line block ×4, first 2 shown]
	s_waitcnt lgkmcnt(2)
	v_perm_b32 v26, v28, v26, s64
	s_waitcnt lgkmcnt(0)
	v_perm_b32 v27, v29, v27, s64
	v_cvt_f16_f32_e32 v22, v22
	v_cvt_f16_f32_e32 v23, v23
	;; [unrolled: 1-line block ×4, first 2 shown]
	v_cvt_f32_f16_e32 v22, v22
	v_cvt_f32_f16_e32 v23, v23
	;; [unrolled: 1-line block ×4, first 2 shown]
	s_nop 1
	v_mfma_f32_16x16x16f16 v[24:27], v[26:27], v[20:21], v[22:25]
	s_nop 7
	s_nop 2
	v_cvt_f16_f32_e32 v23, v24
	v_cvt_f16_f32_e32 v24, v25
	;; [unrolled: 1-line block ×4, first 2 shown]
	ds_read_u16 v20, v185 offset:13280
	ds_read_u16 v21, v181 offset:13552
	;; [unrolled: 1-line block ×4, first 2 shown]
	v_cvt_f32_f16_e32 v28, v23
	v_cvt_f32_f16_e32 v29, v24
	;; [unrolled: 1-line block ×4, first 2 shown]
	s_waitcnt lgkmcnt(0)
	v_perm_b32 v23, v27, v22, s64
	v_perm_b32 v22, v21, v20, s64
	s_barrier
	s_nop 0
	v_mfma_f32_16x16x16f16 v[18:21], v[22:23], v[18:19], v[28:31]
	s_nop 7
	s_nop 2
	v_cvt_f16_f32_e32 v18, v18
	v_cvt_f16_f32_e32 v19, v19
	;; [unrolled: 1-line block ×4, first 2 shown]
	v_pack_b32_f16 v139, v18, v19
	v_mov_b32_e32 v18, s69
	v_addc_co_u32_e32 v1, vcc, v1, v18, vcc
	v_add_co_u32_e32 v86, vcc, s68, v86
	v_addc_co_u32_e32 v55, vcc, v55, v18, vcc
	v_add_co_u32_e32 v88, vcc, s68, v88
	;; [unrolled: 2-line block ×4, first 2 shown]
	v_mov_b32_e32 v18, s63
	v_addc_co_u32_e32 v79, vcc, v79, v18, vcc
	v_add_co_u32_e32 v94, vcc, s62, v94
	v_addc_co_u32_e32 v85, vcc, v85, v18, vcc
	v_add_co_u32_e32 v96, vcc, s62, v96
	;; [unrolled: 2-line block ×19, first 2 shown]
	v_pack_b32_f16 v143, v20, v21
	v_addc_co_u32_e32 v131, vcc, 0, v131, vcc
	s_cbranch_scc0 .LBB25_500
; %bb.497:                              ;   in Loop: Header=BB25_429 Depth=2
	v_mov_b32_e32 v213, v35
	v_mov_b32_e32 v201, v34
	s_andn2_b64 vcc, exec, s[42:43]
	s_cbranch_vccz .LBB25_420
	s_branch .LBB25_429
.LBB25_498:                             ;   in Loop: Header=BB25_429 Depth=2
                                        ; implicit-def: $vgpr46_vgpr47_vgpr48_vgpr49
                                        ; implicit-def: $vgpr28_vgpr29_vgpr30_vgpr31
                                        ; implicit-def: $vgpr24_vgpr25_vgpr26_vgpr27
                                        ; implicit-def: $vgpr18_vgpr19_vgpr20_vgpr21
	s_branch .LBB25_495
.LBB25_499:                             ;   in Loop: Header=BB25_13 Depth=1
	v_mov_b32_e32 v35, 0
	v_mov_b32_e32 v34, 0xfeffffff
	;; [unrolled: 1-line block ×17, first 2 shown]
.LBB25_500:                             ;   in Loop: Header=BB25_13 Depth=1
	s_lshl_b32 s66, s46, 6
	v_readlane_b32 s8, v253, 4
	v_readlane_b32 s46, v254, 30
	s_sub_i32 s8, s8, s66
	v_readlane_b32 s47, v254, 31
	s_cmp_lg_u64 s[46:47], 0
	s_cselect_b64 s[44:45], -1, 0
	s_cmp_eq_u64 s[46:47], 0
	v_readlane_b32 s9, v253, 5
	s_cbranch_scc1 .LBB25_518
; %bb.501:                              ;   in Loop: Header=BB25_13 Depth=1
	s_lshl_b64 s[42:43], s[66:67], 1
	s_add_u32 s9, s46, s42
	s_addc_u32 s48, s47, s43
	v_cmp_le_i32_e32 vcc, s8, v54
                                        ; implicit-def: $sgpr49
	s_and_saveexec_b64 s[42:43], vcc
	s_xor_b64 s[42:43], exec, s[42:43]
	s_cbranch_execz .LBB25_503
; %bb.502:                              ;   in Loop: Header=BB25_13 Depth=1
	ds_write_b16 v151, v227 offset:17408
	ds_write_b16 v228, v227 offset:17408
	s_mov_b32 s49, 0
.LBB25_503:                             ;   in Loop: Header=BB25_13 Depth=1
	s_or_saveexec_b64 s[46:47], s[42:43]
	v_lshlrev_b32_e32 v1, 1, v54
	v_mov_b32_e32 v18, s48
	v_add_co_u32_e64 v1, s[42:43], s9, v1
	v_addc_co_u32_e64 v18, s[42:43], 0, v18, s[42:43]
	v_mov_b32_e32 v19, s49
	v_mov_b32_e32 v20, s49
	s_xor_b64 exec, exec, s[46:47]
	s_cbranch_execz .LBB25_505
; %bb.504:                              ;   in Loop: Header=BB25_13 Depth=1
	v_readlane_b32 s48, v253, 15
	v_mul_hi_u32 v19, s48, v224
	v_readlane_b32 s49, v253, 16
	v_add_u32_e32 v19, v224, v19
	v_lshrrev_b32_e32 v19, s49, v19
	v_mul_lo_u32 v19, v19, s52
	v_sub_u32_e32 v19, v224, v19
	v_mad_i64_i32 v[20:21], s[42:43], v19, s92, 0
	v_lshlrev_b64 v[20:21], 1, v[20:21]
	v_add_co_u32_e64 v20, s[42:43], v1, v20
	v_addc_co_u32_e64 v21, s[42:43], v18, v21, s[42:43]
	flat_load_ushort v19, v[20:21]
	v_mul_hi_u32 v20, s48, v223
	v_add_u32_e32 v20, v223, v20
	v_lshrrev_b32_e32 v20, s49, v20
	v_mul_lo_u32 v20, v20, s52
	v_sub_u32_e32 v20, v223, v20
	v_mad_i64_i32 v[20:21], s[42:43], v20, s92, 0
	v_lshlrev_b64 v[20:21], 1, v[20:21]
	v_add_co_u32_e64 v20, s[42:43], v1, v20
	v_addc_co_u32_e64 v21, s[42:43], v18, v21, s[42:43]
	flat_load_ushort v20, v[20:21]
	s_waitcnt vmcnt(0) lgkmcnt(0)
	ds_write_b16 v151, v19 offset:17408
	ds_write_b16 v228, v20 offset:17408
	v_mul_hi_u32 v19, s48, v222
	v_add_u32_e32 v19, v222, v19
	v_lshrrev_b32_e32 v19, s49, v19
	v_mul_lo_u32 v19, v19, s52
	v_sub_u32_e32 v19, v222, v19
	v_mad_i64_i32 v[20:21], s[42:43], v19, s92, 0
	v_lshlrev_b64 v[20:21], 1, v[20:21]
	v_add_co_u32_e64 v20, s[42:43], v1, v20
	v_addc_co_u32_e64 v21, s[42:43], v18, v21, s[42:43]
	flat_load_ushort v19, v[20:21]
	v_mul_hi_u32 v20, s48, v221
	v_add_u32_e32 v20, v221, v20
	v_lshrrev_b32_e32 v20, s49, v20
	v_mul_lo_u32 v20, v20, s52
	v_sub_u32_e32 v20, v221, v20
	v_mad_i64_i32 v[20:21], s[42:43], v20, s92, 0
	v_lshlrev_b64 v[20:21], 1, v[20:21]
	v_add_co_u32_e64 v20, s[42:43], v1, v20
	v_addc_co_u32_e64 v21, s[42:43], v18, v21, s[42:43]
	flat_load_ushort v20, v[20:21]
.LBB25_505:                             ;   in Loop: Header=BB25_13 Depth=1
	s_or_b64 exec, exec, s[46:47]
	s_waitcnt vmcnt(0) lgkmcnt(0)
	ds_write_b16 v229, v19 offset:17408
	ds_write_b16 v230, v20 offset:17408
                                        ; implicit-def: $sgpr9
	s_and_saveexec_b64 s[42:43], vcc
	s_xor_b64 s[42:43], exec, s[42:43]
	s_cbranch_execz .LBB25_507
; %bb.506:                              ;   in Loop: Header=BB25_13 Depth=1
	ds_write_b16 v231, v227 offset:17408
	ds_write_b16 v232, v227 offset:17408
	s_mov_b32 s9, 0
.LBB25_507:                             ;   in Loop: Header=BB25_13 Depth=1
	s_or_saveexec_b64 s[46:47], s[42:43]
	v_mov_b32_e32 v19, s9
	v_mov_b32_e32 v20, s9
	s_xor_b64 exec, exec, s[46:47]
	s_cbranch_execz .LBB25_509
; %bb.508:                              ;   in Loop: Header=BB25_13 Depth=1
	v_readlane_b32 s48, v253, 15
	v_mul_hi_u32 v19, s48, v220
	v_readlane_b32 s49, v253, 16
	v_add_u32_e32 v19, v220, v19
	v_lshrrev_b32_e32 v19, s49, v19
	v_mul_lo_u32 v19, v19, s52
	v_sub_u32_e32 v19, v220, v19
	v_mad_i64_i32 v[20:21], s[42:43], v19, s92, 0
	v_lshlrev_b64 v[20:21], 1, v[20:21]
	v_add_co_u32_e64 v20, s[42:43], v1, v20
	v_addc_co_u32_e64 v21, s[42:43], v18, v21, s[42:43]
	flat_load_ushort v19, v[20:21]
	v_mul_hi_u32 v20, s48, v219
	v_add_u32_e32 v20, v219, v20
	v_lshrrev_b32_e32 v20, s49, v20
	v_mul_lo_u32 v20, v20, s52
	v_sub_u32_e32 v20, v219, v20
	v_mad_i64_i32 v[20:21], s[42:43], v20, s92, 0
	v_lshlrev_b64 v[20:21], 1, v[20:21]
	v_add_co_u32_e64 v20, s[42:43], v1, v20
	v_addc_co_u32_e64 v21, s[42:43], v18, v21, s[42:43]
	flat_load_ushort v20, v[20:21]
	s_waitcnt vmcnt(0) lgkmcnt(0)
	ds_write_b16 v231, v19 offset:17408
	ds_write_b16 v232, v20 offset:17408
	v_mul_hi_u32 v19, s48, v218
	v_add_u32_e32 v19, v218, v19
	v_lshrrev_b32_e32 v19, s49, v19
	v_mul_lo_u32 v19, v19, s52
	v_sub_u32_e32 v19, v218, v19
	v_mad_i64_i32 v[20:21], s[42:43], v19, s92, 0
	v_lshlrev_b64 v[20:21], 1, v[20:21]
	v_add_co_u32_e64 v20, s[42:43], v1, v20
	v_addc_co_u32_e64 v21, s[42:43], v18, v21, s[42:43]
	flat_load_ushort v19, v[20:21]
	v_mul_hi_u32 v20, s48, v217
	v_add_u32_e32 v20, v217, v20
	v_lshrrev_b32_e32 v20, s49, v20
	v_mul_lo_u32 v20, v20, s52
	v_sub_u32_e32 v20, v217, v20
	v_mad_i64_i32 v[20:21], s[42:43], v20, s92, 0
	v_lshlrev_b64 v[20:21], 1, v[20:21]
	v_add_co_u32_e64 v20, s[42:43], v1, v20
	v_addc_co_u32_e64 v21, s[42:43], v18, v21, s[42:43]
	flat_load_ushort v20, v[20:21]
.LBB25_509:                             ;   in Loop: Header=BB25_13 Depth=1
	s_or_b64 exec, exec, s[46:47]
	s_waitcnt vmcnt(0) lgkmcnt(0)
	ds_write_b16 v233, v19 offset:17408
	ds_write_b16 v234, v20 offset:17408
                                        ; implicit-def: $sgpr9
	s_and_saveexec_b64 s[42:43], vcc
	s_xor_b64 s[42:43], exec, s[42:43]
	s_cbranch_execz .LBB25_511
; %bb.510:                              ;   in Loop: Header=BB25_13 Depth=1
	ds_write_b16 v235, v227 offset:17408
	ds_write_b16 v236, v227 offset:17408
	s_mov_b32 s9, 0
.LBB25_511:                             ;   in Loop: Header=BB25_13 Depth=1
	s_or_saveexec_b64 s[46:47], s[42:43]
	v_mov_b32_e32 v19, s9
	v_mov_b32_e32 v20, s9
	s_xor_b64 exec, exec, s[46:47]
	s_cbranch_execz .LBB25_513
; %bb.512:                              ;   in Loop: Header=BB25_13 Depth=1
	v_readlane_b32 s48, v253, 15
	v_mul_hi_u32 v19, s48, v216
	v_readlane_b32 s49, v253, 16
	v_add_u32_e32 v19, v216, v19
	v_lshrrev_b32_e32 v19, s49, v19
	v_mul_lo_u32 v19, v19, s52
	v_sub_u32_e32 v19, v216, v19
	v_mad_i64_i32 v[20:21], s[42:43], v19, s92, 0
	v_lshlrev_b64 v[20:21], 1, v[20:21]
	v_add_co_u32_e64 v20, s[42:43], v1, v20
	v_addc_co_u32_e64 v21, s[42:43], v18, v21, s[42:43]
	flat_load_ushort v19, v[20:21]
	v_mul_hi_u32 v20, s48, v215
	v_add_u32_e32 v20, v215, v20
	v_lshrrev_b32_e32 v20, s49, v20
	v_mul_lo_u32 v20, v20, s52
	v_sub_u32_e32 v20, v215, v20
	v_mad_i64_i32 v[20:21], s[42:43], v20, s92, 0
	v_lshlrev_b64 v[20:21], 1, v[20:21]
	v_add_co_u32_e64 v20, s[42:43], v1, v20
	v_addc_co_u32_e64 v21, s[42:43], v18, v21, s[42:43]
	flat_load_ushort v20, v[20:21]
	s_waitcnt vmcnt(0) lgkmcnt(0)
	ds_write_b16 v235, v19 offset:17408
	ds_write_b16 v236, v20 offset:17408
	v_mul_hi_u32 v19, s48, v99
	v_add_u32_e32 v19, v99, v19
	v_lshrrev_b32_e32 v19, s49, v19
	v_mul_lo_u32 v19, v19, s52
	v_sub_u32_e32 v19, v99, v19
	v_mad_i64_i32 v[20:21], s[42:43], v19, s92, 0
	v_lshlrev_b64 v[20:21], 1, v[20:21]
	v_add_co_u32_e64 v20, s[42:43], v1, v20
	v_addc_co_u32_e64 v21, s[42:43], v18, v21, s[42:43]
	flat_load_ushort v19, v[20:21]
	v_mul_hi_u32 v20, s48, v97
	v_add_u32_e32 v20, v97, v20
	v_lshrrev_b32_e32 v20, s49, v20
	v_mul_lo_u32 v20, v20, s52
	v_sub_u32_e32 v20, v97, v20
	v_mad_i64_i32 v[20:21], s[42:43], v20, s92, 0
	v_lshlrev_b64 v[20:21], 1, v[20:21]
	v_add_co_u32_e64 v20, s[42:43], v1, v20
	v_addc_co_u32_e64 v21, s[42:43], v18, v21, s[42:43]
	flat_load_ushort v20, v[20:21]
.LBB25_513:                             ;   in Loop: Header=BB25_13 Depth=1
	s_or_b64 exec, exec, s[46:47]
	s_waitcnt vmcnt(0) lgkmcnt(0)
	ds_write_b16 v237, v19 offset:17408
	ds_write_b16 v238, v20 offset:17408
                                        ; implicit-def: $sgpr9
	s_and_saveexec_b64 s[42:43], vcc
	s_xor_b64 s[42:43], exec, s[42:43]
	s_cbranch_execz .LBB25_515
; %bb.514:                              ;   in Loop: Header=BB25_13 Depth=1
	ds_write_b16 v239, v227 offset:17408
	ds_write_b16 v240, v227 offset:17408
	s_mov_b32 s9, 0
                                        ; implicit-def: $vgpr1
                                        ; implicit-def: $vgpr18
.LBB25_515:                             ;   in Loop: Header=BB25_13 Depth=1
	s_or_saveexec_b64 s[42:43], s[42:43]
	v_mov_b32_e32 v19, s9
	v_mov_b32_e32 v20, s9
	s_xor_b64 exec, exec, s[42:43]
	s_cbranch_execz .LBB25_517
; %bb.516:                              ;   in Loop: Header=BB25_13 Depth=1
	v_readlane_b32 s48, v253, 15
	v_mul_hi_u32 v19, s48, v95
	v_readlane_b32 s49, v253, 16
	v_add_u32_e32 v19, v95, v19
	v_lshrrev_b32_e32 v19, s49, v19
	v_mul_lo_u32 v19, v19, s52
	v_sub_u32_e32 v19, v95, v19
	v_mad_i64_i32 v[20:21], s[46:47], v19, s92, 0
	v_lshlrev_b64 v[20:21], 1, v[20:21]
	v_add_co_u32_e32 v20, vcc, v1, v20
	v_addc_co_u32_e32 v21, vcc, v18, v21, vcc
	flat_load_ushort v19, v[20:21]
	v_mul_hi_u32 v20, s48, v93
	v_add_u32_e32 v20, v93, v20
	v_lshrrev_b32_e32 v20, s49, v20
	v_mul_lo_u32 v20, v20, s52
	v_sub_u32_e32 v20, v93, v20
	v_mad_i64_i32 v[20:21], s[46:47], v20, s92, 0
	v_lshlrev_b64 v[20:21], 1, v[20:21]
	v_add_co_u32_e32 v20, vcc, v1, v20
	v_addc_co_u32_e32 v21, vcc, v18, v21, vcc
	flat_load_ushort v20, v[20:21]
	s_waitcnt vmcnt(0) lgkmcnt(0)
	ds_write_b16 v239, v19 offset:17408
	ds_write_b16 v240, v20 offset:17408
	v_mul_hi_u32 v19, s48, v91
	v_add_u32_e32 v19, v91, v19
	v_lshrrev_b32_e32 v19, s49, v19
	v_mul_lo_u32 v19, v19, s52
	v_sub_u32_e32 v19, v91, v19
	v_mad_i64_i32 v[20:21], s[46:47], v19, s92, 0
	v_lshlrev_b64 v[20:21], 1, v[20:21]
	v_add_co_u32_e32 v20, vcc, v1, v20
	v_addc_co_u32_e32 v21, vcc, v18, v21, vcc
	flat_load_ushort v19, v[20:21]
	v_mul_hi_u32 v20, s48, v214
	v_add_u32_e32 v20, v214, v20
	v_lshrrev_b32_e32 v20, s49, v20
	v_mul_lo_u32 v20, v20, s52
	v_sub_u32_e32 v20, v214, v20
	v_mad_i64_i32 v[20:21], s[46:47], v20, s92, 0
	v_lshlrev_b64 v[20:21], 1, v[20:21]
	v_add_co_u32_e32 v20, vcc, v1, v20
	v_addc_co_u32_e32 v21, vcc, v18, v21, vcc
	flat_load_ushort v20, v[20:21]
.LBB25_517:                             ;   in Loop: Header=BB25_13 Depth=1
	s_or_b64 exec, exec, s[42:43]
	s_waitcnt vmcnt(0) lgkmcnt(0)
	ds_write_b16 v241, v19 offset:17408
	ds_write_b16 v242, v20 offset:17408
.LBB25_518:                             ;   in Loop: Header=BB25_13 Depth=1
	s_mul_i32 s9, s66, s97
	s_mul_hi_u32 s42, s66, s96
	s_add_i32 s43, s42, s9
	s_mul_i32 s42, s66, s96
	s_lshl_b64 s[42:43], s[42:43], 2
	v_readlane_b32 s6, v254, 46
	s_add_u32 s9, s6, s42
	v_readlane_b32 s6, v254, 48
	s_addc_u32 s42, s6, s43
	v_mov_b32_e32 v1, s42
	v_add_co_u32_e32 v18, vcc, s9, v70
	v_addc_co_u32_e32 v1, vcc, v1, v71, vcc
	v_lshlrev_b32_e32 v36, 2, v58
	v_add_co_u32_e32 v18, vcc, v18, v36
	s_mov_b64 s[46:47], src_private_base
	v_addc_co_u32_e32 v1, vcc, 0, v1, vcc
	v_mov_b32_e32 v24, s47
	v_cmp_gt_i32_e64 s[76:77], s8, v152
	s_mov_b32 s43, 0
	v_cndmask_b32_e64 v19, v24, v1, s[76:77]
	v_mov_b32_e32 v1, s43
	buffer_store_dword v227, off, s[0:3], 0
	buffer_store_dword v227, off, s[0:3], 0 offset:4
	buffer_store_dword v227, off, s[0:3], 0 offset:8
	;; [unrolled: 1-line block ×3, first 2 shown]
	v_cndmask_b32_e64 v18, v1, v18, s[76:77]
	flat_load_dwordx4 v[18:21], v[18:19]
	v_mov_b32_e32 v22, s42
	v_add_co_u32_e32 v23, vcc, s9, v72
	v_addc_co_u32_e32 v22, vcc, v22, v73, vcc
	v_add_co_u32_e32 v25, vcc, v23, v36
	v_add_u32_e32 v23, 16, v152
	v_addc_co_u32_e32 v22, vcc, 0, v22, vcc
	v_cmp_gt_i32_e64 s[78:79], s8, v23
	v_cndmask_b32_e64 v23, v24, v22, s[78:79]
	v_cndmask_b32_e64 v22, v1, v25, s[78:79]
	v_add_u32_e32 v37, 0x2000, v154
	v_add_u32_e32 v55, 0x3000, v154
	s_waitcnt vmcnt(0) lgkmcnt(0)
	ds_write_b128 v153, v[18:21]
	flat_load_dwordx4 v[18:21], v[22:23]
	v_mov_b32_e32 v22, s42
	v_add_co_u32_e32 v23, vcc, s9, v74
	v_addc_co_u32_e32 v22, vcc, v22, v75, vcc
	v_add_co_u32_e32 v25, vcc, v23, v36
	v_add_u32_e32 v23, 32, v152
	v_addc_co_u32_e32 v22, vcc, 0, v22, vcc
	v_cmp_gt_i32_e64 s[80:81], s8, v23
	v_cndmask_b32_e64 v23, v24, v22, s[80:81]
	v_cndmask_b32_e64 v22, v1, v25, s[80:81]
	s_waitcnt vmcnt(0) lgkmcnt(0)
	ds_write_b128 v244, v[18:21]
	flat_load_dwordx4 v[18:21], v[22:23]
	v_mov_b32_e32 v22, s42
	v_add_co_u32_e32 v23, vcc, s9, v76
	v_addc_co_u32_e32 v22, vcc, v22, v77, vcc
	v_add_co_u32_e32 v25, vcc, v23, v36
	v_add_u32_e32 v23, 48, v152
	v_addc_co_u32_e32 v22, vcc, 0, v22, vcc
	v_cmp_gt_i32_e64 s[82:83], s8, v23
	v_cndmask_b32_e64 v23, v24, v22, s[82:83]
	v_cndmask_b32_e64 v22, v1, v25, s[82:83]
	v_add_u32_e32 v1, 0x1000, v154
	s_waitcnt vmcnt(0) lgkmcnt(0)
	ds_write_b128 v246, v[18:21]
	flat_load_dwordx4 v[18:21], v[22:23]
	s_waitcnt vmcnt(0) lgkmcnt(0)
	ds_write_b128 v248, v[18:21]
	s_waitcnt lgkmcnt(0)
	s_barrier
	ds_read2_b64 v[18:21], v154 offset1:4
	ds_read2_b64 v[26:29], v1 offset0:32 offset1:36
	ds_read2_b64 v[38:41], v37 offset0:64 offset1:68
	;; [unrolled: 1-line block ×3, first 2 shown]
	s_waitcnt lgkmcnt(3)
	v_mfma_f32_16x16x16f16 v[22:25], v[18:19], v[14:15], 0
	s_waitcnt lgkmcnt(2)
	v_mfma_f32_16x16x16f16 v[30:33], v[26:27], v[14:15], 0
	s_waitcnt lgkmcnt(1)
	v_mfma_f32_16x16x16f16 v[42:45], v[38:39], v[14:15], 0
	s_waitcnt lgkmcnt(0)
	v_mfma_f32_16x16x16f16 v[50:53], v[46:47], v[14:15], 0
	v_mfma_f32_16x16x16f16 v[18:21], v[20:21], v[16:17], v[22:25]
	v_mfma_f32_16x16x16f16 v[22:25], v[28:29], v[16:17], v[30:33]
	;; [unrolled: 1-line block ×3, first 2 shown]
	s_nop 5
	ds_read2_b64 v[30:33], v154 offset0:8 offset1:12
	ds_read2_b64 v[38:41], v1 offset0:40 offset1:44
	v_mfma_f32_16x16x16f16 v[14:17], v[48:49], v[16:17], v[50:53]
	ds_read2_b64 v[42:45], v37 offset0:72 offset1:76
	ds_read2_b64 v[46:49], v55 offset0:104 offset1:108
	s_waitcnt lgkmcnt(3)
	v_mfma_f32_16x16x16f16 v[18:21], v[30:31], v[10:11], v[18:21]
	s_waitcnt lgkmcnt(2)
	v_mfma_f32_16x16x16f16 v[22:25], v[38:39], v[10:11], v[22:25]
	;; [unrolled: 2-line block ×4, first 2 shown]
	v_mfma_f32_16x16x16f16 v[18:21], v[32:33], v[12:13], v[18:21]
	ds_read2_b64 v[30:33], v1 offset0:48 offset1:52
	v_mfma_f32_16x16x16f16 v[22:25], v[40:41], v[12:13], v[22:25]
	ds_read2_b64 v[38:41], v37 offset0:80 offset1:84
	;; [unrolled: 2-line block ×3, first 2 shown]
	v_mfma_f32_16x16x16f16 v[10:13], v[48:49], v[12:13], v[14:17]
	s_nop 6
	ds_read2_b64 v[14:17], v154 offset0:16 offset1:20
	s_waitcnt lgkmcnt(0)
	v_mfma_f32_16x16x16f16 v[18:21], v[14:15], v[6:7], v[18:21]
	v_mfma_f32_16x16x16f16 v[22:25], v[30:31], v[6:7], v[22:25]
	;; [unrolled: 1-line block ×6, first 2 shown]
	ds_read2_b64 v[30:33], v37 offset0:88 offset1:92
	v_mfma_f32_16x16x16f16 v[22:25], v[40:41], v[8:9], v[26:29]
	ds_read2_b64 v[38:41], v55 offset0:120 offset1:124
	v_mfma_f32_16x16x16f16 v[6:9], v[44:45], v[8:9], v[10:13]
	s_nop 4
	ds_read2_b64 v[26:29], v1 offset0:56 offset1:60
                                        ; implicit-def: $vgpr1
	s_waitcnt lgkmcnt(0)
	v_mfma_f32_16x16x16f16 v[18:21], v[26:27], v[2:3], v[18:21]
	ds_read2_b64 v[10:13], v154 offset0:24 offset1:28
	s_waitcnt lgkmcnt(0)
	s_barrier
	v_mfma_f32_16x16x16f16 v[14:17], v[10:11], v[2:3], v[14:17]
	v_mfma_f32_16x16x16f16 v[22:25], v[30:31], v[2:3], v[22:25]
	v_mfma_f32_16x16x16f16 v[42:45], v[38:39], v[2:3], v[6:9]
	v_mfma_f32_16x16x16f16 v[6:9], v[12:13], v[4:5], v[14:17]
	v_mfma_f32_16x16x16f16 v[10:13], v[28:29], v[4:5], v[18:21]
	s_nop 7
	s_nop 1
	v_cmp_nlt_f32_e64 s[42:43], |v6|, s71
	v_mfma_f32_16x16x16f16 v[14:17], v[32:33], v[4:5], v[22:25]
	v_mfma_f32_16x16x16f16 v[2:5], v[40:41], v[4:5], v[42:45]
	s_and_saveexec_b64 s[46:47], s[42:43]
	s_xor_b64 s[42:43], exec, s[46:47]
	s_cbranch_execz .LBB25_520
; %bb.519:                              ;   in Loop: Header=BB25_13 Depth=1
	v_add_f32_e64 v1, |v6|, |v6|
	v_mul_f32_e32 v18, 0x3fb8aa3b, v1
	v_rndne_f32_e32 v19, v18
	v_sub_f32_e32 v20, v18, v19
	v_fma_f32 v18, v1, s75, -v18
	v_fmac_f32_e32 v18, 0x32a5705f, v1
	v_add_f32_e32 v18, v20, v18
	v_cvt_i32_f32_e32 v19, v19
	v_exp_f32_e32 v18, v18
	v_cmp_ngt_f32_e32 vcc, s74, v1
	v_ldexp_f32 v18, v18, v19
	v_cndmask_b32_e32 v18, 0, v18, vcc
	v_cmp_nlt_f32_e32 vcc, s65, v1
	v_cndmask_b32_e32 v1, v212, v18, vcc
	v_add_f32_e32 v1, 1.0, v1
	v_rcp_f32_e32 v1, v1
	v_fma_f32 v1, v1, -2.0, 1.0
.LBB25_520:                             ;   in Loop: Header=BB25_13 Depth=1
	s_andn2_saveexec_b64 s[42:43], s[42:43]
; %bb.521:                              ;   in Loop: Header=BB25_13 Depth=1
	v_mul_f32_e32 v1, v6, v6
	v_mov_b32_e32 v18, 0x3ca908c9
	v_fmac_f32_e32 v18, 0xbbbac73d, v1
	v_fma_f32 v18, v1, v18, v209
	v_fma_f32 v18, v1, v18, v210
	v_fma_f32 v18, v1, v18, v211
	v_mul_f32_e64 v18, |v6|, v18
	v_fma_f32 v1, v1, v18, |v6|
; %bb.522:                              ;   in Loop: Header=BB25_13 Depth=1
	s_or_b64 exec, exec, s[42:43]
	v_cmp_nlt_f32_e64 s[42:43], |v7|, s71
                                        ; implicit-def: $vgpr21
	s_and_saveexec_b64 s[46:47], s[42:43]
	s_xor_b64 s[42:43], exec, s[46:47]
	s_cbranch_execz .LBB25_524
; %bb.523:                              ;   in Loop: Header=BB25_13 Depth=1
	v_add_f32_e64 v18, |v7|, |v7|
	v_mul_f32_e32 v19, 0x3fb8aa3b, v18
	v_rndne_f32_e32 v20, v19
	v_sub_f32_e32 v21, v19, v20
	v_fma_f32 v19, v18, s75, -v19
	v_fmac_f32_e32 v19, 0x32a5705f, v18
	v_add_f32_e32 v19, v21, v19
	v_cvt_i32_f32_e32 v20, v20
	v_exp_f32_e32 v19, v19
	v_cmp_ngt_f32_e32 vcc, s74, v18
	v_ldexp_f32 v19, v19, v20
	v_cndmask_b32_e32 v19, 0, v19, vcc
	v_cmp_nlt_f32_e32 vcc, s65, v18
	v_cndmask_b32_e32 v18, v212, v19, vcc
	v_add_f32_e32 v18, 1.0, v18
	v_rcp_f32_e32 v18, v18
	v_fma_f32 v21, v18, -2.0, 1.0
.LBB25_524:                             ;   in Loop: Header=BB25_13 Depth=1
	s_andn2_saveexec_b64 s[42:43], s[42:43]
; %bb.525:                              ;   in Loop: Header=BB25_13 Depth=1
	v_mul_f32_e32 v18, v7, v7
	v_mov_b32_e32 v19, 0x3ca908c9
	v_fmac_f32_e32 v19, 0xbbbac73d, v18
	v_fma_f32 v19, v18, v19, v209
	v_fma_f32 v19, v18, v19, v210
	;; [unrolled: 1-line block ×3, first 2 shown]
	v_mul_f32_e64 v19, |v7|, v19
	v_fma_f32 v21, v18, v19, |v7|
; %bb.526:                              ;   in Loop: Header=BB25_13 Depth=1
	s_or_b64 exec, exec, s[42:43]
	v_cmp_nlt_f32_e64 s[42:43], |v8|, s71
                                        ; implicit-def: $vgpr32
	s_and_saveexec_b64 s[46:47], s[42:43]
	s_xor_b64 s[42:43], exec, s[46:47]
	s_cbranch_execz .LBB25_528
; %bb.527:                              ;   in Loop: Header=BB25_13 Depth=1
	v_add_f32_e64 v18, |v8|, |v8|
	v_mul_f32_e32 v19, 0x3fb8aa3b, v18
	v_rndne_f32_e32 v20, v19
	v_sub_f32_e32 v22, v19, v20
	v_fma_f32 v19, v18, s75, -v19
	v_fmac_f32_e32 v19, 0x32a5705f, v18
	v_add_f32_e32 v19, v22, v19
	v_cvt_i32_f32_e32 v20, v20
	v_exp_f32_e32 v19, v19
	v_cmp_ngt_f32_e32 vcc, s74, v18
	v_ldexp_f32 v19, v19, v20
	v_cndmask_b32_e32 v19, 0, v19, vcc
	v_cmp_nlt_f32_e32 vcc, s65, v18
	v_cndmask_b32_e32 v18, v212, v19, vcc
	v_add_f32_e32 v18, 1.0, v18
	v_rcp_f32_e32 v18, v18
	v_fma_f32 v32, v18, -2.0, 1.0
.LBB25_528:                             ;   in Loop: Header=BB25_13 Depth=1
	s_andn2_saveexec_b64 s[42:43], s[42:43]
; %bb.529:                              ;   in Loop: Header=BB25_13 Depth=1
	v_mul_f32_e32 v18, v8, v8
	v_mov_b32_e32 v19, 0x3ca908c9
	v_fmac_f32_e32 v19, 0xbbbac73d, v18
	v_fma_f32 v19, v18, v19, v209
	v_fma_f32 v19, v18, v19, v210
	;; [unrolled: 1-line block ×3, first 2 shown]
	v_mul_f32_e64 v19, |v8|, v19
	v_fma_f32 v32, v18, v19, |v8|
; %bb.530:                              ;   in Loop: Header=BB25_13 Depth=1
	s_or_b64 exec, exec, s[42:43]
	v_cmp_nlt_f32_e64 s[42:43], |v9|, s71
                                        ; implicit-def: $vgpr33
	s_and_saveexec_b64 s[46:47], s[42:43]
	s_xor_b64 s[42:43], exec, s[46:47]
	s_cbranch_execz .LBB25_532
; %bb.531:                              ;   in Loop: Header=BB25_13 Depth=1
	v_add_f32_e64 v18, |v9|, |v9|
	v_mul_f32_e32 v19, 0x3fb8aa3b, v18
	v_rndne_f32_e32 v20, v19
	v_sub_f32_e32 v22, v19, v20
	v_fma_f32 v19, v18, s75, -v19
	v_fmac_f32_e32 v19, 0x32a5705f, v18
	v_add_f32_e32 v19, v22, v19
	v_cvt_i32_f32_e32 v20, v20
	v_exp_f32_e32 v19, v19
	v_cmp_ngt_f32_e32 vcc, s74, v18
	v_ldexp_f32 v19, v19, v20
	v_cndmask_b32_e32 v19, 0, v19, vcc
	v_cmp_nlt_f32_e32 vcc, s65, v18
	v_cndmask_b32_e32 v18, v212, v19, vcc
	v_add_f32_e32 v18, 1.0, v18
	v_rcp_f32_e32 v18, v18
	v_fma_f32 v33, v18, -2.0, 1.0
.LBB25_532:                             ;   in Loop: Header=BB25_13 Depth=1
	s_andn2_saveexec_b64 s[42:43], s[42:43]
; %bb.533:                              ;   in Loop: Header=BB25_13 Depth=1
	v_mul_f32_e32 v18, v9, v9
	v_mov_b32_e32 v19, 0x3ca908c9
	v_fmac_f32_e32 v19, 0xbbbac73d, v18
	v_fma_f32 v19, v18, v19, v209
	v_fma_f32 v19, v18, v19, v210
	;; [unrolled: 1-line block ×3, first 2 shown]
	v_mul_f32_e64 v19, |v9|, v19
	v_fma_f32 v33, v18, v19, |v9|
; %bb.534:                              ;   in Loop: Header=BB25_13 Depth=1
	s_or_b64 exec, exec, s[42:43]
	v_cmp_nlt_f32_e64 s[42:43], |v10|, s71
                                        ; implicit-def: $vgpr26
	s_and_saveexec_b64 s[46:47], s[42:43]
	s_xor_b64 s[42:43], exec, s[46:47]
	s_cbranch_execz .LBB25_536
; %bb.535:                              ;   in Loop: Header=BB25_13 Depth=1
	v_add_f32_e64 v18, |v10|, |v10|
	v_mul_f32_e32 v19, 0x3fb8aa3b, v18
	v_rndne_f32_e32 v20, v19
	v_sub_f32_e32 v22, v19, v20
	v_fma_f32 v19, v18, s75, -v19
	v_fmac_f32_e32 v19, 0x32a5705f, v18
	v_add_f32_e32 v19, v22, v19
	v_cvt_i32_f32_e32 v20, v20
	v_exp_f32_e32 v19, v19
	v_cmp_ngt_f32_e32 vcc, s74, v18
	v_ldexp_f32 v19, v19, v20
	v_cndmask_b32_e32 v19, 0, v19, vcc
	v_cmp_nlt_f32_e32 vcc, s65, v18
	v_cndmask_b32_e32 v18, v212, v19, vcc
	v_add_f32_e32 v18, 1.0, v18
	v_rcp_f32_e32 v18, v18
	v_fma_f32 v26, v18, -2.0, 1.0
.LBB25_536:                             ;   in Loop: Header=BB25_13 Depth=1
	s_andn2_saveexec_b64 s[42:43], s[42:43]
; %bb.537:                              ;   in Loop: Header=BB25_13 Depth=1
	v_mul_f32_e32 v18, v10, v10
	v_mov_b32_e32 v19, 0x3ca908c9
	v_fmac_f32_e32 v19, 0xbbbac73d, v18
	v_fma_f32 v19, v18, v19, v209
	v_fma_f32 v19, v18, v19, v210
	;; [unrolled: 1-line block ×3, first 2 shown]
	v_mul_f32_e64 v19, |v10|, v19
	v_fma_f32 v26, v18, v19, |v10|
; %bb.538:                              ;   in Loop: Header=BB25_13 Depth=1
	s_or_b64 exec, exec, s[42:43]
	v_cmp_nlt_f32_e64 s[42:43], |v11|, s71
                                        ; implicit-def: $vgpr27
	s_and_saveexec_b64 s[46:47], s[42:43]
	s_xor_b64 s[42:43], exec, s[46:47]
	s_cbranch_execz .LBB25_540
; %bb.539:                              ;   in Loop: Header=BB25_13 Depth=1
	v_add_f32_e64 v18, |v11|, |v11|
	v_mul_f32_e32 v19, 0x3fb8aa3b, v18
	v_rndne_f32_e32 v20, v19
	v_sub_f32_e32 v22, v19, v20
	v_fma_f32 v19, v18, s75, -v19
	v_fmac_f32_e32 v19, 0x32a5705f, v18
	v_add_f32_e32 v19, v22, v19
	v_cvt_i32_f32_e32 v20, v20
	v_exp_f32_e32 v19, v19
	v_cmp_ngt_f32_e32 vcc, s74, v18
	v_ldexp_f32 v19, v19, v20
	v_cndmask_b32_e32 v19, 0, v19, vcc
	v_cmp_nlt_f32_e32 vcc, s65, v18
	v_cndmask_b32_e32 v18, v212, v19, vcc
	v_add_f32_e32 v18, 1.0, v18
	v_rcp_f32_e32 v18, v18
	v_fma_f32 v27, v18, -2.0, 1.0
.LBB25_540:                             ;   in Loop: Header=BB25_13 Depth=1
	s_andn2_saveexec_b64 s[42:43], s[42:43]
; %bb.541:                              ;   in Loop: Header=BB25_13 Depth=1
	v_mul_f32_e32 v18, v11, v11
	v_mov_b32_e32 v19, 0x3ca908c9
	v_fmac_f32_e32 v19, 0xbbbac73d, v18
	v_fma_f32 v19, v18, v19, v209
	v_fma_f32 v19, v18, v19, v210
	;; [unrolled: 1-line block ×3, first 2 shown]
	v_mul_f32_e64 v19, |v11|, v19
	v_fma_f32 v27, v18, v19, |v11|
; %bb.542:                              ;   in Loop: Header=BB25_13 Depth=1
	s_or_b64 exec, exec, s[42:43]
	v_cmp_nlt_f32_e64 s[42:43], |v12|, s71
                                        ; implicit-def: $vgpr28
	s_and_saveexec_b64 s[46:47], s[42:43]
	s_xor_b64 s[42:43], exec, s[46:47]
	s_cbranch_execz .LBB25_544
; %bb.543:                              ;   in Loop: Header=BB25_13 Depth=1
	v_add_f32_e64 v18, |v12|, |v12|
	v_mul_f32_e32 v19, 0x3fb8aa3b, v18
	v_rndne_f32_e32 v20, v19
	v_sub_f32_e32 v22, v19, v20
	v_fma_f32 v19, v18, s75, -v19
	v_fmac_f32_e32 v19, 0x32a5705f, v18
	v_add_f32_e32 v19, v22, v19
	v_cvt_i32_f32_e32 v20, v20
	v_exp_f32_e32 v19, v19
	v_cmp_ngt_f32_e32 vcc, s74, v18
	v_ldexp_f32 v19, v19, v20
	v_cndmask_b32_e32 v19, 0, v19, vcc
	v_cmp_nlt_f32_e32 vcc, s65, v18
	v_cndmask_b32_e32 v18, v212, v19, vcc
	v_add_f32_e32 v18, 1.0, v18
	v_rcp_f32_e32 v18, v18
	v_fma_f32 v28, v18, -2.0, 1.0
.LBB25_544:                             ;   in Loop: Header=BB25_13 Depth=1
	s_andn2_saveexec_b64 s[42:43], s[42:43]
; %bb.545:                              ;   in Loop: Header=BB25_13 Depth=1
	v_mul_f32_e32 v18, v12, v12
	v_mov_b32_e32 v19, 0x3ca908c9
	v_fmac_f32_e32 v19, 0xbbbac73d, v18
	v_fma_f32 v19, v18, v19, v209
	v_fma_f32 v19, v18, v19, v210
	;; [unrolled: 1-line block ×3, first 2 shown]
	v_mul_f32_e64 v19, |v12|, v19
	v_fma_f32 v28, v18, v19, |v12|
; %bb.546:                              ;   in Loop: Header=BB25_13 Depth=1
	s_or_b64 exec, exec, s[42:43]
	v_cmp_nlt_f32_e64 s[42:43], |v13|, s71
                                        ; implicit-def: $vgpr29
	s_and_saveexec_b64 s[46:47], s[42:43]
	s_xor_b64 s[42:43], exec, s[46:47]
	s_cbranch_execz .LBB25_548
; %bb.547:                              ;   in Loop: Header=BB25_13 Depth=1
	v_add_f32_e64 v18, |v13|, |v13|
	v_mul_f32_e32 v19, 0x3fb8aa3b, v18
	v_rndne_f32_e32 v20, v19
	v_sub_f32_e32 v22, v19, v20
	v_fma_f32 v19, v18, s75, -v19
	v_fmac_f32_e32 v19, 0x32a5705f, v18
	v_add_f32_e32 v19, v22, v19
	v_cvt_i32_f32_e32 v20, v20
	v_exp_f32_e32 v19, v19
	v_cmp_ngt_f32_e32 vcc, s74, v18
	v_ldexp_f32 v19, v19, v20
	v_cndmask_b32_e32 v19, 0, v19, vcc
	v_cmp_nlt_f32_e32 vcc, s65, v18
	v_cndmask_b32_e32 v18, v212, v19, vcc
	v_add_f32_e32 v18, 1.0, v18
	v_rcp_f32_e32 v18, v18
	v_fma_f32 v29, v18, -2.0, 1.0
.LBB25_548:                             ;   in Loop: Header=BB25_13 Depth=1
	s_andn2_saveexec_b64 s[42:43], s[42:43]
; %bb.549:                              ;   in Loop: Header=BB25_13 Depth=1
	v_mul_f32_e32 v18, v13, v13
	v_mov_b32_e32 v19, 0x3ca908c9
	v_fmac_f32_e32 v19, 0xbbbac73d, v18
	v_fma_f32 v19, v18, v19, v209
	v_fma_f32 v19, v18, v19, v210
	;; [unrolled: 1-line block ×3, first 2 shown]
	v_mul_f32_e64 v19, |v13|, v19
	v_fma_f32 v29, v18, v19, |v13|
; %bb.550:                              ;   in Loop: Header=BB25_13 Depth=1
	s_or_b64 exec, exec, s[42:43]
	v_cmp_nlt_f32_e64 s[42:43], |v14|, s71
                                        ; implicit-def: $vgpr22
	s_and_saveexec_b64 s[46:47], s[42:43]
	s_xor_b64 s[42:43], exec, s[46:47]
	s_cbranch_execz .LBB25_552
; %bb.551:                              ;   in Loop: Header=BB25_13 Depth=1
	v_add_f32_e64 v18, |v14|, |v14|
	v_mul_f32_e32 v19, 0x3fb8aa3b, v18
	v_rndne_f32_e32 v20, v19
	v_sub_f32_e32 v22, v19, v20
	v_fma_f32 v19, v18, s75, -v19
	v_fmac_f32_e32 v19, 0x32a5705f, v18
	v_add_f32_e32 v19, v22, v19
	v_cvt_i32_f32_e32 v20, v20
	v_exp_f32_e32 v19, v19
	v_cmp_ngt_f32_e32 vcc, s74, v18
	v_ldexp_f32 v19, v19, v20
	v_cndmask_b32_e32 v19, 0, v19, vcc
	v_cmp_nlt_f32_e32 vcc, s65, v18
	v_cndmask_b32_e32 v18, v212, v19, vcc
	v_add_f32_e32 v18, 1.0, v18
	v_rcp_f32_e32 v18, v18
	v_fma_f32 v22, v18, -2.0, 1.0
.LBB25_552:                             ;   in Loop: Header=BB25_13 Depth=1
	s_andn2_saveexec_b64 s[42:43], s[42:43]
; %bb.553:                              ;   in Loop: Header=BB25_13 Depth=1
	v_mul_f32_e32 v18, v14, v14
	v_mov_b32_e32 v19, 0x3ca908c9
	v_fmac_f32_e32 v19, 0xbbbac73d, v18
	v_fma_f32 v19, v18, v19, v209
	v_fma_f32 v19, v18, v19, v210
	;; [unrolled: 1-line block ×3, first 2 shown]
	v_mul_f32_e64 v19, |v14|, v19
	v_fma_f32 v22, v18, v19, |v14|
; %bb.554:                              ;   in Loop: Header=BB25_13 Depth=1
	s_or_b64 exec, exec, s[42:43]
	v_cmp_nlt_f32_e64 s[42:43], |v15|, s71
                                        ; implicit-def: $vgpr23
	s_and_saveexec_b64 s[46:47], s[42:43]
	s_xor_b64 s[42:43], exec, s[46:47]
	s_cbranch_execz .LBB25_556
; %bb.555:                              ;   in Loop: Header=BB25_13 Depth=1
	v_add_f32_e64 v18, |v15|, |v15|
	v_mul_f32_e32 v19, 0x3fb8aa3b, v18
	v_rndne_f32_e32 v20, v19
	v_sub_f32_e32 v23, v19, v20
	v_fma_f32 v19, v18, s75, -v19
	v_fmac_f32_e32 v19, 0x32a5705f, v18
	v_add_f32_e32 v19, v23, v19
	v_cvt_i32_f32_e32 v20, v20
	v_exp_f32_e32 v19, v19
	v_cmp_ngt_f32_e32 vcc, s74, v18
	v_ldexp_f32 v19, v19, v20
	v_cndmask_b32_e32 v19, 0, v19, vcc
	v_cmp_nlt_f32_e32 vcc, s65, v18
	v_cndmask_b32_e32 v18, v212, v19, vcc
	v_add_f32_e32 v18, 1.0, v18
	v_rcp_f32_e32 v18, v18
	v_fma_f32 v23, v18, -2.0, 1.0
.LBB25_556:                             ;   in Loop: Header=BB25_13 Depth=1
	s_andn2_saveexec_b64 s[42:43], s[42:43]
; %bb.557:                              ;   in Loop: Header=BB25_13 Depth=1
	v_mul_f32_e32 v18, v15, v15
	v_mov_b32_e32 v19, 0x3ca908c9
	v_fmac_f32_e32 v19, 0xbbbac73d, v18
	v_fma_f32 v19, v18, v19, v209
	v_fma_f32 v19, v18, v19, v210
	;; [unrolled: 1-line block ×3, first 2 shown]
	v_mul_f32_e64 v19, |v15|, v19
	v_fma_f32 v23, v18, v19, |v15|
; %bb.558:                              ;   in Loop: Header=BB25_13 Depth=1
	s_or_b64 exec, exec, s[42:43]
	v_cmp_nlt_f32_e64 s[42:43], |v16|, s71
                                        ; implicit-def: $vgpr24
	s_and_saveexec_b64 s[46:47], s[42:43]
	s_xor_b64 s[42:43], exec, s[46:47]
	s_cbranch_execz .LBB25_560
; %bb.559:                              ;   in Loop: Header=BB25_13 Depth=1
	v_add_f32_e64 v18, |v16|, |v16|
	v_mul_f32_e32 v19, 0x3fb8aa3b, v18
	v_rndne_f32_e32 v20, v19
	v_sub_f32_e32 v24, v19, v20
	v_fma_f32 v19, v18, s75, -v19
	v_fmac_f32_e32 v19, 0x32a5705f, v18
	v_add_f32_e32 v19, v24, v19
	v_cvt_i32_f32_e32 v20, v20
	v_exp_f32_e32 v19, v19
	v_cmp_ngt_f32_e32 vcc, s74, v18
	v_ldexp_f32 v19, v19, v20
	v_cndmask_b32_e32 v19, 0, v19, vcc
	v_cmp_nlt_f32_e32 vcc, s65, v18
	v_cndmask_b32_e32 v18, v212, v19, vcc
	v_add_f32_e32 v18, 1.0, v18
	v_rcp_f32_e32 v18, v18
	v_fma_f32 v24, v18, -2.0, 1.0
.LBB25_560:                             ;   in Loop: Header=BB25_13 Depth=1
	s_andn2_saveexec_b64 s[42:43], s[42:43]
; %bb.561:                              ;   in Loop: Header=BB25_13 Depth=1
	v_mul_f32_e32 v18, v16, v16
	v_mov_b32_e32 v19, 0x3ca908c9
	v_fmac_f32_e32 v19, 0xbbbac73d, v18
	v_fma_f32 v19, v18, v19, v209
	v_fma_f32 v19, v18, v19, v210
	;; [unrolled: 1-line block ×3, first 2 shown]
	v_mul_f32_e64 v19, |v16|, v19
	v_fma_f32 v24, v18, v19, |v16|
; %bb.562:                              ;   in Loop: Header=BB25_13 Depth=1
	s_or_b64 exec, exec, s[42:43]
	v_cmp_nlt_f32_e64 s[42:43], |v17|, s71
                                        ; implicit-def: $vgpr25
	s_and_saveexec_b64 s[46:47], s[42:43]
	s_xor_b64 s[42:43], exec, s[46:47]
	s_cbranch_execz .LBB25_564
; %bb.563:                              ;   in Loop: Header=BB25_13 Depth=1
	v_add_f32_e64 v18, |v17|, |v17|
	v_mul_f32_e32 v19, 0x3fb8aa3b, v18
	v_rndne_f32_e32 v20, v19
	v_sub_f32_e32 v25, v19, v20
	v_fma_f32 v19, v18, s75, -v19
	v_fmac_f32_e32 v19, 0x32a5705f, v18
	v_add_f32_e32 v19, v25, v19
	v_cvt_i32_f32_e32 v20, v20
	v_exp_f32_e32 v19, v19
	v_cmp_ngt_f32_e32 vcc, s74, v18
	v_ldexp_f32 v19, v19, v20
	v_cndmask_b32_e32 v19, 0, v19, vcc
	v_cmp_nlt_f32_e32 vcc, s65, v18
	v_cndmask_b32_e32 v18, v212, v19, vcc
	v_add_f32_e32 v18, 1.0, v18
	v_rcp_f32_e32 v18, v18
	v_fma_f32 v25, v18, -2.0, 1.0
.LBB25_564:                             ;   in Loop: Header=BB25_13 Depth=1
	s_andn2_saveexec_b64 s[42:43], s[42:43]
; %bb.565:                              ;   in Loop: Header=BB25_13 Depth=1
	v_mul_f32_e32 v18, v17, v17
	v_mov_b32_e32 v19, 0x3ca908c9
	v_fmac_f32_e32 v19, 0xbbbac73d, v18
	v_fma_f32 v19, v18, v19, v209
	v_fma_f32 v19, v18, v19, v210
	;; [unrolled: 1-line block ×3, first 2 shown]
	v_mul_f32_e64 v19, |v17|, v19
	v_fma_f32 v25, v18, v19, |v17|
; %bb.566:                              ;   in Loop: Header=BB25_13 Depth=1
	s_or_b64 exec, exec, s[42:43]
	v_cmp_nlt_f32_e64 s[42:43], |v2|, s71
                                        ; implicit-def: $vgpr18
	s_and_saveexec_b64 s[46:47], s[42:43]
	s_xor_b64 s[42:43], exec, s[46:47]
	s_cbranch_execz .LBB25_568
; %bb.567:                              ;   in Loop: Header=BB25_13 Depth=1
	v_add_f32_e64 v18, |v2|, |v2|
	v_mul_f32_e32 v19, 0x3fb8aa3b, v18
	v_rndne_f32_e32 v20, v19
	v_sub_f32_e32 v30, v19, v20
	v_fma_f32 v19, v18, s75, -v19
	v_fmac_f32_e32 v19, 0x32a5705f, v18
	v_add_f32_e32 v19, v30, v19
	v_cvt_i32_f32_e32 v20, v20
	v_exp_f32_e32 v19, v19
	v_cmp_ngt_f32_e32 vcc, s74, v18
	v_ldexp_f32 v19, v19, v20
	v_cndmask_b32_e32 v19, 0, v19, vcc
	v_cmp_nlt_f32_e32 vcc, s65, v18
	v_cndmask_b32_e32 v18, v212, v19, vcc
	v_add_f32_e32 v18, 1.0, v18
	v_rcp_f32_e32 v18, v18
	v_fma_f32 v18, v18, -2.0, 1.0
.LBB25_568:                             ;   in Loop: Header=BB25_13 Depth=1
	s_andn2_saveexec_b64 s[42:43], s[42:43]
; %bb.569:                              ;   in Loop: Header=BB25_13 Depth=1
	v_mul_f32_e32 v18, v2, v2
	v_mov_b32_e32 v19, 0x3ca908c9
	v_fmac_f32_e32 v19, 0xbbbac73d, v18
	v_fma_f32 v19, v18, v19, v209
	v_fma_f32 v19, v18, v19, v210
	;; [unrolled: 1-line block ×3, first 2 shown]
	v_mul_f32_e64 v19, |v2|, v19
	v_fma_f32 v18, v18, v19, |v2|
; %bb.570:                              ;   in Loop: Header=BB25_13 Depth=1
	s_or_b64 exec, exec, s[42:43]
	v_cmp_nlt_f32_e64 s[42:43], |v3|, s71
                                        ; implicit-def: $vgpr19
	s_and_saveexec_b64 s[46:47], s[42:43]
	s_xor_b64 s[42:43], exec, s[46:47]
	s_cbranch_execz .LBB25_572
; %bb.571:                              ;   in Loop: Header=BB25_13 Depth=1
	v_add_f32_e64 v19, |v3|, |v3|
	v_mul_f32_e32 v20, 0x3fb8aa3b, v19
	v_rndne_f32_e32 v30, v20
	v_sub_f32_e32 v31, v20, v30
	v_fma_f32 v20, v19, s75, -v20
	v_fmac_f32_e32 v20, 0x32a5705f, v19
	v_add_f32_e32 v20, v31, v20
	v_cvt_i32_f32_e32 v30, v30
	v_exp_f32_e32 v20, v20
	v_cmp_ngt_f32_e32 vcc, s74, v19
	v_ldexp_f32 v20, v20, v30
	v_cndmask_b32_e32 v20, 0, v20, vcc
	v_cmp_nlt_f32_e32 vcc, s65, v19
	v_cndmask_b32_e32 v19, v212, v20, vcc
	v_add_f32_e32 v19, 1.0, v19
	v_rcp_f32_e32 v19, v19
	v_fma_f32 v19, v19, -2.0, 1.0
.LBB25_572:                             ;   in Loop: Header=BB25_13 Depth=1
	s_andn2_saveexec_b64 s[42:43], s[42:43]
; %bb.573:                              ;   in Loop: Header=BB25_13 Depth=1
	v_mul_f32_e32 v19, v3, v3
	v_mov_b32_e32 v20, 0x3ca908c9
	v_fmac_f32_e32 v20, 0xbbbac73d, v19
	v_fma_f32 v20, v19, v20, v209
	v_fma_f32 v20, v19, v20, v210
	;; [unrolled: 1-line block ×3, first 2 shown]
	v_mul_f32_e64 v20, |v3|, v20
	v_fma_f32 v19, v19, v20, |v3|
; %bb.574:                              ;   in Loop: Header=BB25_13 Depth=1
	s_or_b64 exec, exec, s[42:43]
	v_cmp_nlt_f32_e64 s[42:43], |v4|, s71
                                        ; implicit-def: $vgpr20
	s_and_saveexec_b64 s[46:47], s[42:43]
	s_xor_b64 s[42:43], exec, s[46:47]
	s_cbranch_execz .LBB25_576
; %bb.575:                              ;   in Loop: Header=BB25_13 Depth=1
	v_add_f32_e64 v20, |v4|, |v4|
	v_mul_f32_e32 v30, 0x3fb8aa3b, v20
	v_rndne_f32_e32 v31, v30
	v_sub_f32_e32 v37, v30, v31
	v_fma_f32 v30, v20, s75, -v30
	v_fmac_f32_e32 v30, 0x32a5705f, v20
	v_add_f32_e32 v30, v37, v30
	v_cvt_i32_f32_e32 v31, v31
	v_exp_f32_e32 v30, v30
	v_cmp_ngt_f32_e32 vcc, s74, v20
	v_ldexp_f32 v30, v30, v31
	v_cndmask_b32_e32 v30, 0, v30, vcc
	v_cmp_nlt_f32_e32 vcc, s65, v20
	v_cndmask_b32_e32 v20, v212, v30, vcc
	v_add_f32_e32 v20, 1.0, v20
	v_rcp_f32_e32 v20, v20
	v_fma_f32 v20, v20, -2.0, 1.0
.LBB25_576:                             ;   in Loop: Header=BB25_13 Depth=1
	s_andn2_saveexec_b64 s[42:43], s[42:43]
; %bb.577:                              ;   in Loop: Header=BB25_13 Depth=1
	v_mul_f32_e32 v20, v4, v4
	v_mov_b32_e32 v30, 0x3ca908c9
	v_fmac_f32_e32 v30, 0xbbbac73d, v20
	v_fma_f32 v30, v20, v30, v209
	v_fma_f32 v30, v20, v30, v210
	;; [unrolled: 1-line block ×3, first 2 shown]
	v_mul_f32_e64 v30, |v4|, v30
	v_fma_f32 v20, v20, v30, |v4|
; %bb.578:                              ;   in Loop: Header=BB25_13 Depth=1
	s_or_b64 exec, exec, s[42:43]
	v_cmp_nlt_f32_e64 s[42:43], |v5|, s71
                                        ; implicit-def: $vgpr37
	s_and_saveexec_b64 s[46:47], s[42:43]
	s_xor_b64 s[42:43], exec, s[46:47]
	s_cbranch_execz .LBB25_580
; %bb.579:                              ;   in Loop: Header=BB25_13 Depth=1
	v_add_f32_e64 v30, |v5|, |v5|
	v_mul_f32_e32 v31, 0x3fb8aa3b, v30
	v_rndne_f32_e32 v37, v31
	v_sub_f32_e32 v38, v31, v37
	v_fma_f32 v31, v30, s75, -v31
	v_fmac_f32_e32 v31, 0x32a5705f, v30
	v_add_f32_e32 v31, v38, v31
	v_cvt_i32_f32_e32 v37, v37
	v_exp_f32_e32 v31, v31
	v_cmp_ngt_f32_e32 vcc, s74, v30
	v_ldexp_f32 v31, v31, v37
	v_cndmask_b32_e32 v31, 0, v31, vcc
	v_cmp_nlt_f32_e32 vcc, s65, v30
	v_cndmask_b32_e32 v30, v212, v31, vcc
	v_add_f32_e32 v30, 1.0, v30
	v_rcp_f32_e32 v30, v30
	v_fma_f32 v37, v30, -2.0, 1.0
.LBB25_580:                             ;   in Loop: Header=BB25_13 Depth=1
	s_andn2_saveexec_b64 s[42:43], s[42:43]
; %bb.581:                              ;   in Loop: Header=BB25_13 Depth=1
	v_mul_f32_e32 v30, v5, v5
	v_mov_b32_e32 v31, 0x3ca908c9
	v_fmac_f32_e32 v31, 0xbbbac73d, v30
	v_fma_f32 v31, v30, v31, v209
	v_fma_f32 v31, v30, v31, v210
	;; [unrolled: 1-line block ×3, first 2 shown]
	v_mul_f32_e64 v31, |v5|, v31
	v_fma_f32 v37, v30, v31, |v5|
; %bb.582:                              ;   in Loop: Header=BB25_13 Depth=1
	s_or_b64 exec, exec, s[42:43]
	v_bfi_b32 v2, s70, v18, v2
	v_mul_f32_e32 v18, s73, v2
	v_bfi_b32 v2, s70, v19, v3
	v_mul_f32_e32 v19, s73, v2
	;; [unrolled: 2-line block ×6, first 2 shown]
	v_bfi_b32 v2, s70, v25, v17
	v_bfi_b32 v1, s70, v1, v6
	v_mul_f32_e32 v25, s73, v2
	v_bfi_b32 v2, s70, v26, v10
	v_mul_f32_e32 v30, s73, v1
	;; [unrolled: 2-line block ×9, first 2 shown]
	v_mul_f32_e32 v21, s73, v1
	s_and_b64 vcc, exec, s[44:45]
	s_cbranch_vccz .LBB25_584
; %bb.583:                              ;   in Loop: Header=BB25_13 Depth=1
	v_add_u32_e32 v4, 0x4400, v160
	v_add_u32_e32 v1, 0x4400, v158
	ds_read_b32 v6, v156 offset:17408
	ds_read_b32 v8, v179 offset:17408
	ds_read2_b32 v[2:3], v1 offset1:1
	ds_read2_b32 v[4:5], v4 offset1:1
	v_add_u32_e32 v1, 0x4400, v180
	s_mov_b64 s[42:43], 0
	s_waitcnt lgkmcnt(2)
	v_cvt_f32_f16_sdwa v9, v8 dst_sel:DWORD dst_unused:UNUSED_PAD src0_sel:WORD_1
	s_waitcnt lgkmcnt(1)
	v_cvt_f32_f16_e32 v10, v2
	v_cvt_f32_f16_e32 v12, v3
	v_cvt_f32_f16_sdwa v13, v3 dst_sel:DWORD dst_unused:UNUSED_PAD src0_sel:WORD_1
	v_cvt_f32_f16_sdwa v11, v2 dst_sel:DWORD dst_unused:UNUSED_PAD src0_sel:WORD_1
	ds_read2_b32 v[2:3], v1 offset1:1
	v_cvt_f32_f16_sdwa v7, v6 dst_sel:DWORD dst_unused:UNUSED_PAD src0_sel:WORD_1
	v_cvt_f32_f16_e32 v6, v6
	v_cvt_f32_f16_e32 v8, v8
	v_pk_fma_f32 v[12:13], v[80:81], v[12:13], v[28:29] op_sel_hi:[0,1,1]
	s_waitcnt lgkmcnt(0)
	v_cvt_f32_f16_e32 v38, v2
	v_pk_fma_f32 v[14:15], v[80:81], v[6:7], v[30:31] op_sel_hi:[0,1,1]
	v_cvt_f32_f16_e32 v6, v4
	v_cvt_f32_f16_sdwa v7, v4 dst_sel:DWORD dst_unused:UNUSED_PAD src0_sel:WORD_1
	v_cvt_f32_f16_e32 v4, v5
	v_cvt_f32_f16_sdwa v5, v5 dst_sel:DWORD dst_unused:UNUSED_PAD src0_sel:WORD_1
	;; [unrolled: 2-line block ×3, first 2 shown]
	v_cvt_f32_f16_sdwa v39, v2 dst_sel:DWORD dst_unused:UNUSED_PAD src0_sel:WORD_1
	v_pk_fma_f32 v[16:17], v[80:81], v[8:9], v[32:33] op_sel_hi:[0,1,1]
	v_pk_fma_f32 v[10:11], v[80:81], v[10:11], v[26:27] op_sel_hi:[0,1,1]
	;; [unrolled: 1-line block ×6, first 2 shown]
	s_branch .LBB25_585
.LBB25_584:                             ;   in Loop: Header=BB25_13 Depth=1
	s_mov_b64 s[42:43], -1
                                        ; implicit-def: $vgpr14_vgpr15_vgpr16_vgpr17
                                        ; implicit-def: $vgpr10_vgpr11_vgpr12_vgpr13
                                        ; implicit-def: $vgpr6_vgpr7_vgpr8_vgpr9
                                        ; implicit-def: $vgpr2_vgpr3_vgpr4_vgpr5
.LBB25_585:                             ;   in Loop: Header=BB25_13 Depth=1
	v_writelane_b32 v255, s90, 18
	v_writelane_b32 v255, s91, 19
	s_andn2_b64 vcc, exec, s[42:43]
	s_cbranch_vccnz .LBB25_587
; %bb.586:                              ;   in Loop: Header=BB25_13 Depth=1
	v_pk_mov_b32 v[2:3], v[18:19], v[18:19] op_sel:[0,1]
	v_pk_mov_b32 v[6:7], v[22:23], v[22:23] op_sel:[0,1]
	;; [unrolled: 1-line block ×8, first 2 shown]
.LBB25_587:                             ;   in Loop: Header=BB25_13 Depth=1
	v_add_f32_e32 v1, 0x40051340, v14
	v_max_f32_e32 v18, v34, v34
	v_cmp_gt_u32_e64 s[56:57], s8, v155
	v_max_f32_e32 v1, v18, v1
	v_cndmask_b32_e64 v1, v34, v1, s[56:57]
	v_mov_b32_e32 v18, v202
	v_cmp_gt_u32_e64 s[54:55], s8, v18
	v_add_f32_e32 v18, 0x40051340, v15
	v_max_f32_e32 v19, v1, v1
	v_max_f32_e32 v18, v19, v18
	v_cndmask_b32_e64 v1, v1, v18, s[54:55]
	v_mov_b32_e32 v18, v144
	v_cmp_gt_u32_e64 s[52:53], s8, v18
	v_add_f32_e32 v18, 0x40051340, v16
	v_max_f32_e32 v19, v1, v1
	v_max_f32_e32 v18, v19, v18
	v_cndmask_b32_e64 v1, v1, v18, s[52:53]
	v_add_f32_e32 v18, 0x40051340, v17
	v_max_f32_e32 v19, v1, v1
	v_cmp_gt_u32_e64 s[50:51], s8, v182
	v_max_f32_e32 v18, v19, v18
	v_cndmask_b32_e64 v1, v1, v18, s[50:51]
	v_add_f32_e32 v18, 0x40051340, v10
	v_max_f32_e32 v19, v1, v1
	v_cmp_gt_u32_e64 s[60:61], s8, v157
	v_max_f32_e32 v18, v19, v18
	v_cndmask_b32_e64 v1, v1, v18, s[60:61]
	v_mov_b32_e32 v18, v225
	v_cmp_gt_u32_e64 s[48:49], s8, v18
	v_add_f32_e32 v18, 0x40051340, v11
	v_max_f32_e32 v19, v1, v1
	v_max_f32_e32 v18, v19, v18
	v_cndmask_b32_e64 v1, v1, v18, s[48:49]
	v_mov_b32_e32 v18, v207
	v_cmp_gt_u32_e64 s[46:47], s8, v18
	v_add_f32_e32 v18, 0x40051340, v12
	v_max_f32_e32 v19, v1, v1
	v_max_f32_e32 v18, v19, v18
	v_cndmask_b32_e64 v1, v1, v18, s[46:47]
	v_mov_b32_e32 v18, v205
	v_cmp_gt_u32_e64 s[42:43], s8, v18
	v_add_f32_e32 v18, 0x40051340, v13
	v_max_f32_e32 v19, v1, v1
	v_max_f32_e32 v18, v19, v18
	v_cndmask_b32_e64 v1, v1, v18, s[42:43]
	v_add_f32_e32 v18, 0x40051340, v6
	v_max_f32_e32 v19, v1, v1
	v_cmp_gt_u32_e64 s[96:97], s8, v159
	v_max_f32_e32 v18, v19, v18
	v_cndmask_b32_e64 v1, v1, v18, s[96:97]
	v_mov_b32_e32 v18, v0
	v_cmp_gt_u32_e64 s[94:95], s8, v18
	v_add_f32_e32 v18, 0x40051340, v7
	v_max_f32_e32 v19, v1, v1
	v_max_f32_e32 v18, v19, v18
	v_cndmask_b32_e64 v1, v1, v18, s[94:95]
	v_mov_b32_e32 v18, v203
	v_cmp_gt_u32_e64 s[92:93], s8, v18
	v_add_f32_e32 v18, 0x40051340, v8
	v_max_f32_e32 v19, v1, v1
	v_max_f32_e32 v18, v19, v18
	v_cndmask_b32_e64 v1, v1, v18, s[92:93]
	v_mov_b32_e32 v18, v249
	v_cmp_gt_u32_e64 s[90:91], s8, v18
	v_add_f32_e32 v18, 0x40051340, v9
	v_max_f32_e32 v19, v1, v1
	;; [unrolled: 23-line block ×3, first 2 shown]
	v_max_f32_e32 v18, v19, v18
	v_cndmask_b32_e64 v1, v1, v18, s[44:45]
	v_and_b32_e32 v18, 64, v226
	v_add_u32_e32 v18, 64, v18
	v_xor_b32_e32 v19, 32, v226
	v_cmp_lt_i32_e32 vcc, v19, v18
	v_cndmask_b32_e32 v19, v226, v19, vcc
	v_lshlrev_b32_e32 v19, 2, v19
	ds_bpermute_b32 v20, v19, v1
	v_max_f32_e32 v1, v1, v1
	v_cndmask_b32_e64 v16, v16, v16, s[54:55]
	v_cndmask_b32_e64 v17, v17, v17, s[54:55]
	;; [unrolled: 1-line block ×3, first 2 shown]
	s_waitcnt lgkmcnt(0)
	v_max_f32_e32 v20, v20, v20
	v_max_f32_e32 v20, v1, v20
	v_xor_b32_e32 v1, 16, v226
	v_cmp_lt_i32_e32 vcc, v1, v18
	v_cndmask_b32_e32 v1, v226, v1, vcc
	v_lshlrev_b32_e32 v1, 2, v1
	ds_bpermute_b32 v18, v1, v20
	v_cndmask_b32_e64 v12, v12, v12, s[60:61]
	v_cndmask_b32_e64 v13, v13, v13, s[60:61]
	;; [unrolled: 1-line block ×4, first 2 shown]
	s_waitcnt lgkmcnt(0)
	v_max_f32_e32 v18, v18, v18
	v_max_f32_e32 v18, v20, v18
	v_sub_f32_e32 v14, v14, v18
	v_mul_f32_e32 v20, 0x3fb8aa3b, v14
	v_fma_f32 v21, v14, s75, -v20
	v_rndne_f32_e32 v22, v20
	v_fmac_f32_e32 v21, 0x32a5705f, v14
	v_sub_f32_e32 v20, v20, v22
	v_add_f32_e32 v20, v20, v21
	v_exp_f32_e32 v20, v20
	v_cvt_i32_f32_e32 v21, v22
	v_cmp_ngt_f32_e32 vcc, s74, v14
	v_sub_f32_e32 v15, v15, v18
	v_sub_f32_e32 v16, v16, v18
	v_ldexp_f32 v20, v20, v21
	v_cndmask_b32_e32 v20, 0, v20, vcc
	v_cmp_nlt_f32_e32 vcc, s65, v14
	v_cndmask_b32_e32 v14, v212, v20, vcc
	v_mul_f32_e32 v20, 0x3fb8aa3b, v15
	v_fma_f32 v21, v15, s75, -v20
	v_rndne_f32_e32 v22, v20
	v_fmac_f32_e32 v21, 0x32a5705f, v15
	v_sub_f32_e32 v20, v20, v22
	v_add_f32_e32 v20, v20, v21
	v_exp_f32_e32 v20, v20
	v_cvt_i32_f32_e32 v21, v22
	v_cmp_ngt_f32_e32 vcc, s74, v15
	v_cndmask_b32_e64 v14, 0, v14, s[56:57]
	v_sub_f32_e32 v10, v10, v18
	v_ldexp_f32 v20, v20, v21
	v_cndmask_b32_e32 v20, 0, v20, vcc
	v_cmp_nlt_f32_e32 vcc, s65, v15
	v_cndmask_b32_e32 v20, v212, v20, vcc
	v_mov_b32_e32 v15, s67
	v_add_f32_e32 v21, v20, v14
	v_cndmask_b32_e64 v37, v15, v20, s[54:55]
	v_mul_f32_e32 v20, 0x3fb8aa3b, v16
	v_cndmask_b32_e64 v15, v14, v21, s[54:55]
	v_fma_f32 v21, v16, s75, -v20
	v_rndne_f32_e32 v22, v20
	v_fmac_f32_e32 v21, 0x32a5705f, v16
	v_sub_f32_e32 v20, v20, v22
	v_add_f32_e32 v20, v20, v21
	v_exp_f32_e32 v20, v20
	v_cvt_i32_f32_e32 v21, v22
	v_cmp_ngt_f32_e32 vcc, s74, v16
	v_sub_f32_e32 v11, v11, v18
	v_sub_f32_e32 v6, v6, v18
	v_ldexp_f32 v20, v20, v21
	v_cndmask_b32_e32 v20, 0, v20, vcc
	v_cmp_nlt_f32_e32 vcc, s65, v16
	v_cndmask_b32_e32 v20, v212, v20, vcc
	v_add_f32_e32 v21, v15, v20
	v_mov_b32_e32 v16, s67
	v_cndmask_b32_e64 v38, v16, v20, s[52:53]
	v_cndmask_b32_e64 v16, v15, v21, s[52:53]
	v_sub_f32_e32 v15, v17, v18
	v_mul_f32_e32 v17, 0x3fb8aa3b, v15
	v_fma_f32 v20, v15, s75, -v17
	v_rndne_f32_e32 v21, v17
	v_fmac_f32_e32 v20, 0x32a5705f, v15
	v_sub_f32_e32 v17, v17, v21
	v_add_f32_e32 v17, v17, v20
	v_exp_f32_e32 v17, v17
	v_cvt_i32_f32_e32 v20, v21
	v_cmp_ngt_f32_e32 vcc, s74, v15
	v_sub_f32_e32 v7, v7, v18
	v_cndmask_b32_e64 v9, v9, v9, s[96:97]
	v_ldexp_f32 v17, v17, v20
	v_cndmask_b32_e32 v17, 0, v17, vcc
	v_cmp_nlt_f32_e32 vcc, s65, v15
	v_cndmask_b32_e32 v17, v212, v17, vcc
	v_mov_b32_e32 v15, s67
	v_add_f32_e32 v20, v16, v17
	v_cndmask_b32_e64 v15, v15, v17, s[50:51]
	v_mul_f32_e32 v17, 0x3fb8aa3b, v10
	v_cndmask_b32_e64 v16, v16, v20, s[50:51]
	v_fma_f32 v20, v10, s75, -v17
	v_rndne_f32_e32 v21, v17
	v_fmac_f32_e32 v20, 0x32a5705f, v10
	v_sub_f32_e32 v17, v17, v21
	v_add_f32_e32 v17, v17, v20
	v_exp_f32_e32 v17, v17
	v_cvt_i32_f32_e32 v20, v21
	v_cmp_ngt_f32_e32 vcc, s74, v10
	v_sub_f32_e32 v2, v2, v18
	v_cndmask_b32_e64 v3, v3, v3, s[88:89]
	v_ldexp_f32 v17, v17, v20
	v_cndmask_b32_e32 v17, 0, v17, vcc
	v_cmp_nlt_f32_e32 vcc, s65, v10
	v_cndmask_b32_e32 v17, v212, v17, vcc
	v_add_f32_e32 v20, v17, v16
	v_mov_b32_e32 v10, s67
	v_cndmask_b32_e64 v39, v10, v17, s[60:61]
	v_cndmask_b32_e64 v10, v16, v20, s[60:61]
	v_mul_f32_e32 v16, 0x3fb8aa3b, v11
	v_fma_f32 v17, v11, s75, -v16
	v_rndne_f32_e32 v20, v16
	v_fmac_f32_e32 v17, 0x32a5705f, v11
	v_sub_f32_e32 v16, v16, v20
	v_add_f32_e32 v16, v16, v17
	v_exp_f32_e32 v16, v16
	v_cvt_i32_f32_e32 v17, v20
	v_cmp_ngt_f32_e32 vcc, s74, v11
	v_sub_f32_e32 v3, v3, v18
	v_cndmask_b32_e64 v4, v4, v4, s[88:89]
	v_ldexp_f32 v16, v16, v17
	v_cndmask_b32_e32 v16, 0, v16, vcc
	v_cmp_nlt_f32_e32 vcc, s65, v11
	v_cndmask_b32_e32 v16, v212, v16, vcc
	v_add_f32_e32 v17, v16, v10
	v_mov_b32_e32 v11, s67
	v_cndmask_b32_e64 v40, v11, v16, s[48:49]
	v_cndmask_b32_e64 v11, v10, v17, s[48:49]
	v_sub_f32_e32 v10, v12, v18
	v_mul_f32_e32 v12, 0x3fb8aa3b, v10
	v_fma_f32 v16, v10, s75, -v12
	v_rndne_f32_e32 v17, v12
	v_fmac_f32_e32 v16, 0x32a5705f, v10
	v_sub_f32_e32 v12, v12, v17
	v_add_f32_e32 v12, v12, v16
	v_exp_f32_e32 v12, v12
	v_cvt_i32_f32_e32 v16, v17
	v_cmp_ngt_f32_e32 vcc, s74, v10
	v_cndmask_b32_e64 v5, v5, v5, s[88:89]
	v_readlane_b32 s6, v254, 36
	v_ldexp_f32 v12, v12, v16
	v_cndmask_b32_e32 v12, 0, v12, vcc
	v_cmp_nlt_f32_e32 vcc, s65, v10
	v_cndmask_b32_e32 v12, v212, v12, vcc
	v_add_f32_e32 v16, v12, v11
	v_mov_b32_e32 v10, s67
	v_cndmask_b32_e64 v10, v10, v12, s[46:47]
	v_cndmask_b32_e64 v12, v11, v16, s[46:47]
	v_sub_f32_e32 v11, v13, v18
	v_mul_f32_e32 v13, 0x3fb8aa3b, v11
	v_fma_f32 v16, v11, s75, -v13
	v_rndne_f32_e32 v17, v13
	v_fmac_f32_e32 v16, 0x32a5705f, v11
	v_sub_f32_e32 v13, v13, v17
	v_add_f32_e32 v13, v13, v16
	v_exp_f32_e32 v13, v13
	v_cvt_i32_f32_e32 v16, v17
	v_cmp_ngt_f32_e32 vcc, s74, v11
	buffer_store_dword v227, off, s[0:3], 0
	buffer_store_dword v227, off, s[0:3], 0 offset:4
	buffer_store_dword v227, off, s[0:3], 0 offset:8
	;; [unrolled: 1-line block ×3, first 2 shown]
	v_ldexp_f32 v13, v13, v16
	v_cndmask_b32_e32 v13, 0, v13, vcc
	v_cmp_nlt_f32_e32 vcc, s65, v11
	v_cndmask_b32_e32 v13, v212, v13, vcc
	v_mov_b32_e32 v11, s67
	v_add_f32_e32 v16, v13, v12
	v_cndmask_b32_e64 v11, v11, v13, s[42:43]
	v_mul_f32_e32 v13, 0x3fb8aa3b, v6
	v_cndmask_b32_e64 v12, v12, v16, s[42:43]
	v_fma_f32 v16, v6, s75, -v13
	v_rndne_f32_e32 v17, v13
	v_fmac_f32_e32 v16, 0x32a5705f, v6
	v_sub_f32_e32 v13, v13, v17
	v_add_f32_e32 v13, v13, v16
	v_exp_f32_e32 v13, v13
	v_cvt_i32_f32_e32 v16, v17
	v_cmp_ngt_f32_e32 vcc, s74, v6
	s_mov_b64 s[42:43], src_private_base
	s_mov_b32 s42, 0
	v_ldexp_f32 v13, v13, v16
	v_cndmask_b32_e32 v13, 0, v13, vcc
	v_cmp_nlt_f32_e32 vcc, s65, v6
	v_cndmask_b32_e32 v13, v212, v13, vcc
	v_add_f32_e32 v16, v13, v12
	v_mov_b32_e32 v6, s67
	v_cndmask_b32_e64 v13, v6, v13, s[96:97]
	v_cndmask_b32_e64 v6, v12, v16, s[96:97]
	v_mul_f32_e32 v12, 0x3fb8aa3b, v7
	v_fma_f32 v16, v7, s75, -v12
	v_rndne_f32_e32 v17, v12
	v_fmac_f32_e32 v16, 0x32a5705f, v7
	v_sub_f32_e32 v12, v12, v17
	v_add_f32_e32 v12, v12, v16
	v_exp_f32_e32 v12, v12
	v_cvt_i32_f32_e32 v16, v17
	v_cmp_ngt_f32_e32 vcc, s74, v7
	v_ldexp_f32 v12, v12, v16
	v_cndmask_b32_e32 v12, 0, v12, vcc
	v_cmp_nlt_f32_e32 vcc, s65, v7
	v_cndmask_b32_e32 v12, v212, v12, vcc
	v_add_f32_e32 v16, v12, v6
	v_mov_b32_e32 v7, s67
	v_cndmask_b32_e64 v12, v7, v12, s[94:95]
	v_cndmask_b32_e64 v7, v6, v16, s[94:95]
	v_sub_f32_e32 v6, v8, v18
	v_mul_f32_e32 v8, 0x3fb8aa3b, v6
	v_fma_f32 v16, v6, s75, -v8
	v_rndne_f32_e32 v17, v8
	v_fmac_f32_e32 v16, 0x32a5705f, v6
	v_sub_f32_e32 v8, v8, v17
	v_add_f32_e32 v8, v8, v16
	v_exp_f32_e32 v8, v8
	v_cvt_i32_f32_e32 v16, v17
	v_cmp_ngt_f32_e32 vcc, s74, v6
	v_readlane_b32 s94, v254, 24
	v_readlane_b32 s95, v254, 25
	v_ldexp_f32 v8, v8, v16
	v_cndmask_b32_e32 v8, 0, v8, vcc
	v_cmp_nlt_f32_e32 vcc, s65, v6
	v_cndmask_b32_e32 v8, v212, v8, vcc
	v_add_f32_e32 v16, v8, v7
	v_mov_b32_e32 v6, s67
	v_cndmask_b32_e64 v41, v6, v8, s[92:93]
	v_cndmask_b32_e64 v6, v7, v16, s[92:93]
	v_sub_f32_e32 v7, v9, v18
	v_mul_f32_e32 v8, 0x3fb8aa3b, v7
	v_fma_f32 v9, v7, s75, -v8
	v_rndne_f32_e32 v16, v8
	v_fmac_f32_e32 v9, 0x32a5705f, v7
	v_sub_f32_e32 v8, v8, v16
	v_add_f32_e32 v8, v8, v9
	v_exp_f32_e32 v8, v8
	v_cvt_i32_f32_e32 v9, v16
	v_cmp_ngt_f32_e32 vcc, s74, v7
	s_mul_i32 s8, s66, s95
	s_mul_hi_u32 s9, s66, s94
	v_ldexp_f32 v8, v8, v9
	v_cndmask_b32_e32 v8, 0, v8, vcc
	v_cmp_nlt_f32_e32 vcc, s65, v7
	v_cndmask_b32_e32 v8, v212, v8, vcc
	v_mov_b32_e32 v7, s67
	v_add_f32_e32 v9, v8, v6
	v_cndmask_b32_e64 v42, v7, v8, s[90:91]
	v_mul_f32_e32 v7, 0x3fb8aa3b, v2
	v_cndmask_b32_e64 v6, v6, v9, s[90:91]
	v_fma_f32 v8, v2, s75, -v7
	v_rndne_f32_e32 v9, v7
	v_fmac_f32_e32 v8, 0x32a5705f, v2
	v_sub_f32_e32 v7, v7, v9
	v_add_f32_e32 v7, v7, v8
	v_exp_f32_e32 v7, v7
	v_cvt_i32_f32_e32 v8, v9
	v_cmp_ngt_f32_e32 vcc, s74, v2
	s_add_i32 s9, s9, s8
	s_mul_i32 s8, s66, s94
	v_ldexp_f32 v7, v7, v8
	v_cndmask_b32_e32 v7, 0, v7, vcc
	v_cmp_nlt_f32_e32 vcc, s65, v2
	v_cndmask_b32_e32 v7, v212, v7, vcc
	v_add_f32_e32 v8, v7, v6
	v_mov_b32_e32 v2, s67
	v_cndmask_b32_e64 v43, v2, v7, s[88:89]
	v_cndmask_b32_e64 v2, v6, v8, s[88:89]
	v_mul_f32_e32 v6, 0x3fb8aa3b, v3
	v_fma_f32 v7, v3, s75, -v6
	v_rndne_f32_e32 v8, v6
	v_fmac_f32_e32 v7, 0x32a5705f, v3
	v_sub_f32_e32 v6, v6, v8
	v_add_f32_e32 v6, v6, v7
	v_exp_f32_e32 v6, v6
	v_cvt_i32_f32_e32 v7, v8
	v_cmp_ngt_f32_e32 vcc, s74, v3
	s_lshl_b64 s[8:9], s[8:9], 2
	s_add_u32 s8, s6, s8
	v_ldexp_f32 v6, v6, v7
	v_cndmask_b32_e32 v6, 0, v6, vcc
	v_cmp_nlt_f32_e32 vcc, s65, v3
	v_cndmask_b32_e32 v6, v212, v6, vcc
	v_add_f32_e32 v7, v6, v2
	v_mov_b32_e32 v3, s67
	v_cndmask_b32_e64 v44, v3, v6, s[86:87]
	v_cndmask_b32_e64 v3, v2, v7, s[86:87]
	v_sub_f32_e32 v2, v4, v18
	v_mul_f32_e32 v4, 0x3fb8aa3b, v2
	v_fma_f32 v6, v2, s75, -v4
	v_rndne_f32_e32 v7, v4
	v_fmac_f32_e32 v6, 0x32a5705f, v2
	v_sub_f32_e32 v4, v4, v7
	v_add_f32_e32 v4, v4, v6
	v_exp_f32_e32 v4, v4
	v_cvt_i32_f32_e32 v6, v7
	v_cmp_ngt_f32_e32 vcc, s74, v2
	v_readlane_b32 s6, v254, 38
	s_addc_u32 s9, s6, s9
	v_ldexp_f32 v4, v4, v6
	v_cndmask_b32_e32 v4, 0, v4, vcc
	v_cmp_nlt_f32_e32 vcc, s65, v2
	v_cndmask_b32_e32 v4, v212, v4, vcc
	v_add_f32_e32 v6, v4, v3
	v_mov_b32_e32 v2, s67
	v_cndmask_b32_e64 v45, v2, v4, s[84:85]
	v_cndmask_b32_e64 v2, v3, v6, s[84:85]
	v_sub_f32_e32 v3, v5, v18
	v_mul_f32_e32 v4, 0x3fb8aa3b, v3
	v_fma_f32 v5, v3, s75, -v4
	v_rndne_f32_e32 v6, v4
	v_fmac_f32_e32 v5, 0x32a5705f, v3
	v_sub_f32_e32 v4, v4, v6
	v_add_f32_e32 v4, v4, v5
	v_exp_f32_e32 v4, v4
	v_cvt_i32_f32_e32 v5, v6
	v_cmp_ngt_f32_e32 vcc, s74, v3
	v_ldexp_f32 v4, v4, v5
	v_cndmask_b32_e32 v4, 0, v4, vcc
	v_cmp_nlt_f32_e32 vcc, s65, v3
	v_cndmask_b32_e32 v4, v212, v4, vcc
	v_add_f32_e32 v5, v4, v2
	v_mov_b32_e32 v3, s67
	v_cndmask_b32_e64 v26, v2, v5, s[44:45]
	v_sub_f32_e32 v2, v34, v18
	v_cndmask_b32_e64 v3, v3, v4, s[44:45]
	v_mul_f32_e32 v4, 0x3fb8aa3b, v2
	v_fma_f32 v5, v2, s75, -v4
	v_rndne_f32_e32 v6, v4
	v_fmac_f32_e32 v5, 0x32a5705f, v2
	v_sub_f32_e32 v4, v4, v6
	v_add_f32_e32 v4, v4, v5
	v_exp_f32_e32 v4, v4
	v_cvt_i32_f32_e32 v5, v6
	v_cmp_ngt_f32_e32 vcc, s74, v2
	s_mov_b32 s44, 0xc1a00000
	v_cvt_f16_f32_e32 v3, v3
	v_ldexp_f32 v4, v4, v5
	v_cndmask_b32_e32 v4, 0, v4, vcc
	v_cmp_nlt_f32_e32 vcc, s65, v2
	v_cndmask_b32_e32 v4, v212, v4, vcc
	v_cmp_le_f32_e32 vcc, s44, v2
	v_cndmask_b32_e32 v2, 0, v4, vcc
	v_fmac_f32_e32 v26, v35, v2
	v_cvt_f16_f32_e32 v2, v2
	v_cvt_f16_f32_e32 v4, v37
	;; [unrolled: 1-line block ×3, first 2 shown]
	v_mov_b32_e32 v35, s43
	v_pk_mul_f16 v34, v2, v60 op_sel_hi:[0,1]
	v_pk_mul_f16 v33, v2, v200 op_sel_hi:[0,1]
	;; [unrolled: 1-line block ×16, first 2 shown]
	v_cvt_f16_f32_e32 v2, v14
	v_mov_b32_e32 v37, s42
	v_pack_b32_f16 v8, v2, v4
	v_cvt_f16_f32_e32 v2, v38
	v_cvt_f16_f32_e32 v4, v15
	v_pack_b32_f16 v9, v2, v4
	v_cvt_f16_f32_e32 v2, v39
	v_cvt_f16_f32_e32 v4, v40
	;; [unrolled: 3-line block ×3, first 2 shown]
	v_cvt_f16_f32_e32 v10, v44
	v_mov_b32_e32 v11, s9
	v_pack_b32_f16 v7, v2, v4
	v_cvt_f16_f32_e32 v2, v13
	v_cvt_f16_f32_e32 v4, v12
	v_pack_b32_f16 v4, v2, v4
	v_cvt_f16_f32_e32 v2, v41
	v_pack_b32_f16 v5, v2, v5
	;; [unrolled: 2-line block ×4, first 2 shown]
	v_add_co_u32_e32 v10, vcc, s8, v62
	v_addc_co_u32_e32 v11, vcc, v11, v63, vcc
	v_add_co_u32_e32 v10, vcc, v10, v36
	v_addc_co_u32_e32 v11, vcc, 0, v11, vcc
	v_cndmask_b32_e64 v39, v35, v11, s[76:77]
	v_cndmask_b32_e64 v38, v37, v10, s[76:77]
	v_add_co_u32_e32 v10, vcc, s8, v64
	v_mov_b32_e32 v11, s9
	v_addc_co_u32_e32 v11, vcc, v11, v65, vcc
	v_add_co_u32_e32 v10, vcc, v10, v36
	v_addc_co_u32_e32 v11, vcc, 0, v11, vcc
	v_cndmask_b32_e64 v15, v35, v11, s[78:79]
	v_cndmask_b32_e64 v14, v37, v10, s[78:79]
	v_add_co_u32_e32 v10, vcc, s8, v66
	v_mov_b32_e32 v11, s9
	;; [unrolled: 7-line block ×3, first 2 shown]
	v_addc_co_u32_e32 v11, vcc, v11, v69, vcc
	v_add_co_u32_e32 v10, vcc, v10, v36
	v_cndmask_b32_e64 v10, v37, v10, s[82:83]
	flat_load_dwordx4 v[36:39], v[38:39]
	v_addc_co_u32_e32 v11, vcc, 0, v11, vcc
	v_cndmask_b32_e64 v11, v35, v11, s[82:83]
	v_readlane_b32 s8, v254, 39
	v_readlane_b32 s9, v254, 40
	s_cmp_lg_u64 s[8:9], 0
	s_waitcnt vmcnt(0) lgkmcnt(0)
	ds_write_b128 v153, v[36:39]
	flat_load_dwordx4 v[36:39], v[14:15]
	s_waitcnt vmcnt(0) lgkmcnt(0)
	ds_write_b128 v244, v[36:39]
	flat_load_dwordx4 v[12:15], v[12:13]
	;; [unrolled: 3-line block ×3, first 2 shown]
	s_waitcnt vmcnt(0) lgkmcnt(0)
	ds_write_b128 v248, v[10:13]
	s_waitcnt lgkmcnt(0)
	s_barrier
	ds_read_u16 v14, v183 offset:544
	v_cvt_f32_f16_e32 v12, v33
	v_cvt_f32_f16_sdwa v13, v33 dst_sel:DWORD dst_unused:UNUSED_PAD src0_sel:WORD_1
	ds_read_u16 v15, v184
	ds_read_u16 v33, v184 offset:32
	v_cvt_f32_f16_e32 v10, v34
	v_cvt_f32_f16_sdwa v11, v34 dst_sel:DWORD dst_unused:UNUSED_PAD src0_sel:WORD_1
	s_waitcnt lgkmcnt(1)
	v_perm_b32 v15, v15, v14, s64
	ds_read_u16 v14, v185
	ds_read_u16 v34, v185 offset:32
	ds_read_u16 v35, v181 offset:272
	;; [unrolled: 1-line block ×3, first 2 shown]
	s_waitcnt lgkmcnt(1)
	v_perm_b32 v14, v35, v14, s64
	s_nop 1
	v_mfma_f32_16x16x16f16 v[10:13], v[14:15], v[8:9], v[10:13]
	ds_read_u16 v14, v185 offset:4352
	ds_read_u16 v35, v181 offset:4624
	;; [unrolled: 1-line block ×4, first 2 shown]
	s_waitcnt lgkmcnt(2)
	v_perm_b32 v14, v35, v14, s64
	s_waitcnt lgkmcnt(0)
	v_perm_b32 v15, v37, v15, s64
	s_nop 2
	v_cvt_f16_f32_e32 v10, v10
	v_cvt_f16_f32_e32 v11, v11
	;; [unrolled: 1-line block ×4, first 2 shown]
	v_cvt_f32_f16_e32 v10, v10
	v_cvt_f32_f16_e32 v11, v11
	;; [unrolled: 1-line block ×4, first 2 shown]
	s_nop 1
	v_mfma_f32_16x16x16f16 v[10:13], v[14:15], v[6:7], v[10:13]
	ds_read_u16 v14, v185 offset:8704
	ds_read_u16 v35, v181 offset:8976
	;; [unrolled: 1-line block ×4, first 2 shown]
	s_waitcnt lgkmcnt(2)
	v_perm_b32 v14, v35, v14, s64
	s_waitcnt lgkmcnt(0)
	v_perm_b32 v15, v37, v15, s64
	s_nop 2
	v_cvt_f16_f32_e32 v10, v10
	v_cvt_f16_f32_e32 v11, v11
	;; [unrolled: 1-line block ×4, first 2 shown]
	v_cvt_f32_f16_e32 v10, v10
	v_cvt_f32_f16_e32 v11, v11
	;; [unrolled: 1-line block ×4, first 2 shown]
	s_nop 1
	v_mfma_f32_16x16x16f16 v[10:13], v[14:15], v[4:5], v[10:13]
	ds_read_u16 v14, v185 offset:13056
	ds_read_u16 v35, v181 offset:13328
	;; [unrolled: 1-line block ×4, first 2 shown]
	s_waitcnt lgkmcnt(2)
	v_perm_b32 v14, v35, v14, s64
	ds_read_u16 v35, v186 offset:544
	s_waitcnt lgkmcnt(1)
	v_perm_b32 v15, v37, v15, s64
	s_nop 1
	v_cvt_f16_f32_e32 v10, v10
	v_cvt_f16_f32_e32 v11, v11
	;; [unrolled: 1-line block ×4, first 2 shown]
	v_cvt_f32_f16_e32 v10, v10
	v_cvt_f32_f16_e32 v11, v11
	;; [unrolled: 1-line block ×4, first 2 shown]
	s_waitcnt lgkmcnt(0)
	v_perm_b32 v33, v33, v35, s64
	v_cvt_f32_f16_sdwa v35, v29 dst_sel:DWORD dst_unused:UNUSED_PAD src0_sel:WORD_1
	v_mfma_f32_16x16x16f16 v[10:13], v[14:15], v[2:3], v[10:13]
	v_cvt_f32_f16_e32 v14, v31
	v_cvt_f32_f16_sdwa v15, v31 dst_sel:DWORD dst_unused:UNUSED_PAD src0_sel:WORD_1
	s_nop 7
	s_nop 0
	v_cvt_f16_f32_e32 v10, v10
	v_cvt_f16_f32_e32 v11, v11
	;; [unrolled: 1-line block ×4, first 2 shown]
	v_pack_b32_f16 v10, v10, v11
	v_pack_b32_f16 v11, v12, v13
	v_cvt_f32_f16_e32 v12, v32
	v_cvt_f32_f16_sdwa v13, v32 dst_sel:DWORD dst_unused:UNUSED_PAD src0_sel:WORD_1
	v_perm_b32 v32, v36, v34, s64
	s_nop 1
	v_mfma_f32_16x16x16f16 v[12:15], v[32:33], v[8:9], v[12:15]
	ds_read_u16 v31, v185 offset:4384
	ds_read_u16 v32, v181 offset:4656
	;; [unrolled: 1-line block ×4, first 2 shown]
	s_waitcnt lgkmcnt(2)
	v_perm_b32 v32, v32, v31, s64
	s_waitcnt lgkmcnt(0)
	v_perm_b32 v33, v34, v33, s64
	s_nop 2
	v_cvt_f16_f32_e32 v12, v12
	v_cvt_f16_f32_e32 v13, v13
	;; [unrolled: 1-line block ×4, first 2 shown]
	v_cvt_f32_f16_e32 v12, v12
	v_cvt_f32_f16_e32 v13, v13
	;; [unrolled: 1-line block ×4, first 2 shown]
	s_nop 1
	v_mfma_f32_16x16x16f16 v[12:15], v[32:33], v[6:7], v[12:15]
	ds_read_u16 v31, v185 offset:8736
	ds_read_u16 v32, v181 offset:9008
	;; [unrolled: 1-line block ×4, first 2 shown]
	s_waitcnt lgkmcnt(2)
	v_perm_b32 v32, v32, v31, s64
	s_waitcnt lgkmcnt(0)
	v_perm_b32 v33, v34, v33, s64
	s_nop 2
	v_cvt_f16_f32_e32 v12, v12
	v_cvt_f16_f32_e32 v13, v13
	;; [unrolled: 1-line block ×4, first 2 shown]
	v_cvt_f32_f16_e32 v12, v12
	v_cvt_f32_f16_e32 v13, v13
	;; [unrolled: 1-line block ×4, first 2 shown]
	s_nop 1
	v_mfma_f32_16x16x16f16 v[12:15], v[32:33], v[4:5], v[12:15]
	ds_read_u16 v31, v185 offset:13088
	ds_read_u16 v32, v181 offset:13360
	;; [unrolled: 1-line block ×4, first 2 shown]
	s_waitcnt lgkmcnt(2)
	v_perm_b32 v32, v32, v31, s64
	s_waitcnt lgkmcnt(0)
	v_perm_b32 v33, v34, v33, s64
	v_cvt_f32_f16_e32 v34, v29
	s_nop 1
	v_cvt_f16_f32_e32 v12, v12
	v_cvt_f16_f32_e32 v13, v13
	;; [unrolled: 1-line block ×4, first 2 shown]
	v_cvt_f32_f16_e32 v12, v12
	v_cvt_f32_f16_e32 v13, v13
	;; [unrolled: 1-line block ×4, first 2 shown]
	s_nop 1
	v_mfma_f32_16x16x16f16 v[12:15], v[32:33], v[2:3], v[12:15]
	v_cvt_f32_f16_e32 v32, v30
	v_cvt_f32_f16_sdwa v33, v30 dst_sel:DWORD dst_unused:UNUSED_PAD src0_sel:WORD_1
	s_nop 7
	s_nop 0
	v_cvt_f16_f32_e32 v12, v12
	v_cvt_f16_f32_e32 v13, v13
	;; [unrolled: 1-line block ×4, first 2 shown]
	v_pack_b32_f16 v12, v12, v13
	v_pack_b32_f16 v13, v14, v15
	ds_read_u16 v14, v185 offset:64
	ds_read_u16 v31, v181 offset:336
	ds_read_u16 v15, v188 offset:544
	ds_read_u16 v36, v184 offset:64
	s_waitcnt lgkmcnt(2)
	v_perm_b32 v14, v31, v14, s64
	s_waitcnt lgkmcnt(0)
	v_perm_b32 v15, v36, v15, s64
	s_nop 1
	v_mfma_f32_16x16x16f16 v[30:33], v[14:15], v[8:9], v[32:35]
	s_nop 6
	ds_read_u16 v34, v185 offset:4416
	ds_read_u16 v35, v181 offset:4688
	;; [unrolled: 1-line block ×4, first 2 shown]
	v_cvt_f16_f32_e32 v14, v30
	v_cvt_f16_f32_e32 v15, v31
	;; [unrolled: 1-line block ×4, first 2 shown]
	v_cvt_f32_f16_e32 v30, v14
	v_cvt_f32_f16_e32 v31, v15
	s_waitcnt lgkmcnt(0)
	v_perm_b32 v15, v37, v36, s64
	v_perm_b32 v14, v35, v34, s64
	v_cvt_f32_f16_e32 v32, v29
	v_cvt_f32_f16_e32 v33, v33
	ds_read_u16 v34, v185 offset:8768
	ds_read_u16 v35, v181 offset:9040
	ds_read_u16 v36, v168 offset:544
	ds_read_u16 v37, v184 offset:8768
	v_mfma_f32_16x16x16f16 v[30:33], v[14:15], v[6:7], v[30:33]
	s_nop 7
	s_nop 2
	v_cvt_f16_f32_e32 v14, v30
	v_cvt_f16_f32_e32 v15, v31
	;; [unrolled: 1-line block ×4, first 2 shown]
	v_cvt_f32_f16_e32 v30, v14
	v_cvt_f32_f16_e32 v31, v15
	s_waitcnt lgkmcnt(0)
	v_perm_b32 v15, v37, v36, s64
	v_perm_b32 v14, v35, v34, s64
	v_cvt_f32_f16_e32 v32, v29
	v_cvt_f32_f16_e32 v33, v33
	ds_read_u16 v34, v185 offset:13120
	ds_read_u16 v35, v181 offset:13392
	;; [unrolled: 1-line block ×4, first 2 shown]
	v_mfma_f32_16x16x16f16 v[30:33], v[14:15], v[4:5], v[30:33]
	s_nop 7
	s_nop 2
	v_cvt_f16_f32_e32 v14, v30
	v_cvt_f16_f32_e32 v15, v31
	;; [unrolled: 1-line block ×4, first 2 shown]
	v_cvt_f32_f16_e32 v30, v14
	v_cvt_f32_f16_e32 v31, v15
	s_waitcnt lgkmcnt(0)
	v_perm_b32 v15, v37, v36, s64
	v_perm_b32 v14, v35, v34, s64
	v_cvt_f32_f16_e32 v32, v29
	v_cvt_f32_f16_e32 v33, v33
	s_nop 1
	v_mfma_f32_16x16x16f16 v[30:33], v[14:15], v[2:3], v[30:33]
	s_nop 7
	s_nop 2
	v_cvt_f16_f32_e32 v14, v30
	v_cvt_f16_f32_e32 v15, v31
	;; [unrolled: 1-line block ×4, first 2 shown]
	v_cvt_f32_f16_sdwa v31, v17 dst_sel:DWORD dst_unused:UNUSED_PAD src0_sel:WORD_1
	v_pack_b32_f16 v14, v14, v15
	v_cvt_f32_f16_e32 v32, v16
	v_pack_b32_f16 v15, v29, v30
	ds_read_u16 v29, v185 offset:96
	ds_read_u16 v34, v181 offset:368
	ds_read_u16 v35, v170 offset:544
	ds_read_u16 v36, v184 offset:96
	v_cvt_f32_f16_e32 v30, v17
	v_cvt_f32_f16_sdwa v33, v16 dst_sel:DWORD dst_unused:UNUSED_PAD src0_sel:WORD_1
	s_waitcnt lgkmcnt(2)
	v_perm_b32 v16, v34, v29, s64
	s_waitcnt lgkmcnt(0)
	v_perm_b32 v17, v36, v35, s64
	ds_read_u16 v34, v185 offset:4448
	ds_read_u16 v35, v181 offset:4720
	ds_read_u16 v36, v171 offset:544
	ds_read_u16 v37, v184 offset:4448
	v_mfma_f32_16x16x16f16 v[30:33], v[16:17], v[8:9], v[30:33]
	s_nop 7
	s_nop 2
	v_cvt_f16_f32_e32 v16, v30
	v_cvt_f16_f32_e32 v17, v31
	v_cvt_f16_f32_e32 v29, v32
	v_cvt_f16_f32_e32 v33, v33
	v_cvt_f32_f16_e32 v30, v16
	v_cvt_f32_f16_e32 v31, v17
	s_waitcnt lgkmcnt(0)
	v_perm_b32 v17, v37, v36, s64
	v_perm_b32 v16, v35, v34, s64
	v_cvt_f32_f16_e32 v32, v29
	v_cvt_f32_f16_e32 v33, v33
	ds_read_u16 v34, v185 offset:8800
	ds_read_u16 v35, v181 offset:9072
	ds_read_u16 v36, v173 offset:544
	ds_read_u16 v37, v184 offset:8800
	v_mfma_f32_16x16x16f16 v[30:33], v[16:17], v[6:7], v[30:33]
	s_nop 7
	s_nop 2
	v_cvt_f16_f32_e32 v16, v30
	v_cvt_f16_f32_e32 v17, v31
	v_cvt_f16_f32_e32 v29, v32
	v_cvt_f16_f32_e32 v33, v33
	v_cvt_f32_f16_e32 v30, v16
	v_cvt_f32_f16_e32 v31, v17
	s_waitcnt lgkmcnt(0)
	v_perm_b32 v17, v37, v36, s64
	v_perm_b32 v16, v35, v34, s64
	v_cvt_f32_f16_e32 v32, v29
	v_cvt_f32_f16_e32 v33, v33
	;; [unrolled: 18-line block ×3, first 2 shown]
	s_nop 1
	v_mfma_f32_16x16x16f16 v[30:33], v[16:17], v[2:3], v[30:33]
	s_nop 7
	s_nop 2
	v_cvt_f16_f32_e32 v16, v30
	v_cvt_f16_f32_e32 v17, v31
	;; [unrolled: 1-line block ×4, first 2 shown]
	v_cvt_f32_f16_sdwa v31, v21 dst_sel:DWORD dst_unused:UNUSED_PAD src0_sel:WORD_1
	v_pack_b32_f16 v16, v16, v17
	v_cvt_f32_f16_e32 v32, v20
	v_pack_b32_f16 v17, v29, v30
	ds_read_u16 v29, v185 offset:128
	ds_read_u16 v34, v181 offset:400
	;; [unrolled: 1-line block ×4, first 2 shown]
	v_cvt_f32_f16_e32 v30, v21
	v_cvt_f32_f16_sdwa v33, v20 dst_sel:DWORD dst_unused:UNUSED_PAD src0_sel:WORD_1
	s_waitcnt lgkmcnt(2)
	v_perm_b32 v20, v34, v29, s64
	s_waitcnt lgkmcnt(0)
	v_perm_b32 v21, v36, v35, s64
	ds_read_u16 v34, v185 offset:4480
	ds_read_u16 v35, v181 offset:4752
	ds_read_u16 v36, v176 offset:544
	ds_read_u16 v37, v184 offset:4480
	v_mfma_f32_16x16x16f16 v[30:33], v[20:21], v[8:9], v[30:33]
	s_nop 7
	s_nop 2
	v_cvt_f16_f32_e32 v20, v30
	v_cvt_f16_f32_e32 v21, v31
	v_cvt_f16_f32_e32 v29, v32
	v_cvt_f16_f32_e32 v33, v33
	v_cvt_f32_f16_e32 v30, v20
	v_cvt_f32_f16_e32 v31, v21
	s_waitcnt lgkmcnt(0)
	v_perm_b32 v21, v37, v36, s64
	v_perm_b32 v20, v35, v34, s64
	v_cvt_f32_f16_e32 v32, v29
	v_cvt_f32_f16_e32 v33, v33
	ds_read_u16 v34, v185 offset:8832
	ds_read_u16 v35, v181 offset:9104
	ds_read_u16 v36, v177 offset:544
	ds_read_u16 v37, v184 offset:8832
	v_mfma_f32_16x16x16f16 v[30:33], v[20:21], v[6:7], v[30:33]
	s_nop 7
	s_nop 2
	v_cvt_f16_f32_e32 v20, v30
	v_cvt_f16_f32_e32 v21, v31
	v_cvt_f16_f32_e32 v29, v32
	v_cvt_f16_f32_e32 v33, v33
	v_cvt_f32_f16_e32 v30, v20
	v_cvt_f32_f16_e32 v31, v21
	s_waitcnt lgkmcnt(0)
	v_perm_b32 v21, v37, v36, s64
	v_perm_b32 v20, v35, v34, s64
	v_cvt_f32_f16_e32 v32, v29
	v_cvt_f32_f16_e32 v33, v33
	;; [unrolled: 18-line block ×3, first 2 shown]
	s_nop 1
	v_mfma_f32_16x16x16f16 v[30:33], v[20:21], v[2:3], v[30:33]
	s_nop 7
	s_nop 2
	v_cvt_f16_f32_e32 v20, v30
	v_cvt_f16_f32_e32 v21, v31
	;; [unrolled: 1-line block ×4, first 2 shown]
	v_cvt_f32_f16_sdwa v31, v23 dst_sel:DWORD dst_unused:UNUSED_PAD src0_sel:WORD_1
	v_pack_b32_f16 v20, v20, v21
	v_cvt_f32_f16_e32 v32, v22
	v_pack_b32_f16 v21, v29, v30
	ds_read_u16 v29, v185 offset:160
	ds_read_u16 v34, v181 offset:432
	;; [unrolled: 1-line block ×4, first 2 shown]
	v_cvt_f32_f16_e32 v30, v23
	v_cvt_f32_f16_sdwa v33, v22 dst_sel:DWORD dst_unused:UNUSED_PAD src0_sel:WORD_1
	s_waitcnt lgkmcnt(2)
	v_perm_b32 v22, v34, v29, s64
	s_waitcnt lgkmcnt(0)
	v_perm_b32 v23, v36, v35, s64
	ds_read_u16 v34, v185 offset:4512
	ds_read_u16 v35, v181 offset:4784
	ds_read_u16 v36, v189 offset:544
	ds_read_u16 v37, v184 offset:4512
	v_mfma_f32_16x16x16f16 v[30:33], v[22:23], v[8:9], v[30:33]
	s_nop 7
	s_nop 2
	v_cvt_f16_f32_e32 v22, v30
	v_cvt_f16_f32_e32 v23, v31
	v_cvt_f16_f32_e32 v29, v32
	v_cvt_f16_f32_e32 v33, v33
	v_cvt_f32_f16_e32 v30, v22
	v_cvt_f32_f16_e32 v31, v23
	s_waitcnt lgkmcnt(0)
	v_perm_b32 v23, v37, v36, s64
	v_perm_b32 v22, v35, v34, s64
	v_cvt_f32_f16_e32 v32, v29
	v_cvt_f32_f16_e32 v33, v33
	ds_read_u16 v34, v185 offset:8864
	ds_read_u16 v35, v181 offset:9136
	ds_read_u16 v36, v190 offset:544
	ds_read_u16 v37, v184 offset:8864
	v_mfma_f32_16x16x16f16 v[30:33], v[22:23], v[6:7], v[30:33]
	s_nop 7
	s_nop 2
	v_cvt_f16_f32_e32 v22, v30
	v_cvt_f16_f32_e32 v23, v31
	v_cvt_f16_f32_e32 v29, v32
	v_cvt_f16_f32_e32 v33, v33
	v_cvt_f32_f16_e32 v30, v22
	v_cvt_f32_f16_e32 v31, v23
	s_waitcnt lgkmcnt(0)
	v_perm_b32 v23, v37, v36, s64
	v_perm_b32 v22, v35, v34, s64
	v_cvt_f32_f16_e32 v32, v29
	v_cvt_f32_f16_e32 v33, v33
	;; [unrolled: 18-line block ×3, first 2 shown]
	s_nop 1
	v_mfma_f32_16x16x16f16 v[30:33], v[22:23], v[2:3], v[30:33]
	s_nop 7
	s_nop 2
	v_cvt_f16_f32_e32 v22, v30
	v_cvt_f16_f32_e32 v23, v31
	;; [unrolled: 1-line block ×4, first 2 shown]
	v_cvt_f32_f16_sdwa v31, v25 dst_sel:DWORD dst_unused:UNUSED_PAD src0_sel:WORD_1
	v_pack_b32_f16 v22, v22, v23
	v_cvt_f32_f16_e32 v32, v24
	v_pack_b32_f16 v23, v29, v30
	ds_read_u16 v29, v185 offset:192
	ds_read_u16 v34, v181 offset:464
	ds_read_u16 v35, v192 offset:544
	ds_read_u16 v36, v184 offset:192
	v_cvt_f32_f16_e32 v30, v25
	v_cvt_f32_f16_sdwa v33, v24 dst_sel:DWORD dst_unused:UNUSED_PAD src0_sel:WORD_1
	s_waitcnt lgkmcnt(2)
	v_perm_b32 v24, v34, v29, s64
	s_waitcnt lgkmcnt(0)
	v_perm_b32 v25, v36, v35, s64
	ds_read_u16 v34, v185 offset:4544
	ds_read_u16 v35, v181 offset:4816
	ds_read_u16 v36, v193 offset:544
	ds_read_u16 v37, v184 offset:4544
	v_mfma_f32_16x16x16f16 v[30:33], v[24:25], v[8:9], v[30:33]
	s_nop 7
	s_nop 2
	v_cvt_f16_f32_e32 v24, v30
	v_cvt_f16_f32_e32 v25, v31
	v_cvt_f16_f32_e32 v29, v32
	v_cvt_f16_f32_e32 v33, v33
	v_cvt_f32_f16_e32 v30, v24
	v_cvt_f32_f16_e32 v31, v25
	s_waitcnt lgkmcnt(0)
	v_perm_b32 v25, v37, v36, s64
	v_perm_b32 v24, v35, v34, s64
	v_cvt_f32_f16_e32 v32, v29
	v_cvt_f32_f16_e32 v33, v33
	ds_read_u16 v34, v185 offset:8896
	ds_read_u16 v35, v181 offset:9168
	ds_read_u16 v36, v194 offset:544
	ds_read_u16 v37, v184 offset:8896
	v_mfma_f32_16x16x16f16 v[30:33], v[24:25], v[6:7], v[30:33]
	s_nop 7
	s_nop 2
	v_cvt_f16_f32_e32 v24, v30
	v_cvt_f16_f32_e32 v25, v31
	v_cvt_f16_f32_e32 v29, v32
	v_cvt_f16_f32_e32 v33, v33
	v_cvt_f32_f16_e32 v30, v24
	v_cvt_f32_f16_e32 v31, v25
	s_waitcnt lgkmcnt(0)
	v_perm_b32 v25, v37, v36, s64
	v_perm_b32 v24, v35, v34, s64
	v_cvt_f32_f16_e32 v32, v29
	v_cvt_f32_f16_e32 v33, v33
	;; [unrolled: 18-line block ×3, first 2 shown]
	s_nop 1
	v_mfma_f32_16x16x16f16 v[30:33], v[24:25], v[2:3], v[30:33]
	s_nop 7
	s_nop 2
	v_cvt_f16_f32_e32 v24, v30
	v_cvt_f16_f32_e32 v25, v31
	v_cvt_f16_f32_e32 v29, v32
	v_cvt_f16_f32_e32 v30, v33
	v_cvt_f32_f16_sdwa v31, v28 dst_sel:DWORD dst_unused:UNUSED_PAD src0_sel:WORD_1
	v_pack_b32_f16 v24, v24, v25
	v_cvt_f32_f16_e32 v32, v27
	v_pack_b32_f16 v25, v29, v30
	ds_read_u16 v34, v185 offset:224
	ds_read_u16 v35, v181 offset:496
	;; [unrolled: 1-line block ×4, first 2 shown]
	v_cvt_f32_f16_e32 v30, v28
	v_cvt_f32_f16_sdwa v33, v27 dst_sel:DWORD dst_unused:UNUSED_PAD src0_sel:WORD_1
	s_waitcnt lgkmcnt(2)
	v_perm_b32 v28, v35, v34, s64
	s_waitcnt lgkmcnt(0)
	v_perm_b32 v29, v36, v29, s64
	s_nop 1
	v_mfma_f32_16x16x16f16 v[28:31], v[28:29], v[8:9], v[30:33]
	s_nop 6
	ds_read_u16 v32, v185 offset:4576
	ds_read_u16 v33, v181 offset:4848
	;; [unrolled: 1-line block ×4, first 2 shown]
	v_cvt_f16_f32_e32 v8, v28
	v_cvt_f16_f32_e32 v9, v29
	;; [unrolled: 1-line block ×4, first 2 shown]
	v_cvt_f32_f16_e32 v28, v8
	v_cvt_f32_f16_e32 v29, v9
	s_waitcnt lgkmcnt(0)
	v_perm_b32 v9, v35, v34, s64
	v_perm_b32 v8, v33, v32, s64
	v_cvt_f32_f16_e32 v30, v27
	v_cvt_f32_f16_e32 v31, v31
	s_nop 1
	v_mfma_f32_16x16x16f16 v[6:9], v[8:9], v[6:7], v[28:31]
	ds_read_u16 v27, v185 offset:8928
	s_nop 5
	ds_read_u16 v28, v181 offset:9200
	ds_read_u16 v29, v198 offset:544
	;; [unrolled: 1-line block ×3, first 2 shown]
	s_waitcnt lgkmcnt(2)
	v_perm_b32 v28, v28, v27, s64
	s_waitcnt lgkmcnt(0)
	v_perm_b32 v29, v30, v29, s64
	v_cvt_f16_f32_e32 v6, v6
	v_cvt_f16_f32_e32 v7, v7
	;; [unrolled: 1-line block ×4, first 2 shown]
	v_cvt_f32_f16_e32 v6, v6
	v_cvt_f32_f16_e32 v7, v7
	;; [unrolled: 1-line block ×4, first 2 shown]
	s_nop 1
	v_mfma_f32_16x16x16f16 v[28:31], v[28:29], v[4:5], v[6:9]
	s_nop 7
	s_nop 2
	v_cvt_f16_f32_e32 v7, v28
	ds_read_u16 v4, v185 offset:13280
	ds_read_u16 v5, v181 offset:13552
	;; [unrolled: 1-line block ×4, first 2 shown]
	v_cvt_f16_f32_e32 v8, v29
	v_cvt_f16_f32_e32 v9, v30
	;; [unrolled: 1-line block ×3, first 2 shown]
	v_cvt_f32_f16_e32 v30, v7
	s_waitcnt lgkmcnt(0)
	v_perm_b32 v7, v28, v6, s64
	v_perm_b32 v6, v5, v4, s64
	v_cvt_f32_f16_e32 v31, v8
	v_cvt_f32_f16_e32 v32, v9
	;; [unrolled: 1-line block ×3, first 2 shown]
	s_barrier
	s_nop 0
	v_mfma_f32_16x16x16f16 v[2:5], v[6:7], v[2:3], v[30:33]
	s_nop 7
	s_nop 2
	v_cvt_f16_f32_e32 v2, v2
	v_cvt_f16_f32_e32 v3, v3
	;; [unrolled: 1-line block ×4, first 2 shown]
	v_pack_b32_f16 v2, v2, v3
	v_pack_b32_f16 v3, v4, v5
	ds_bpermute_b32 v4, v19, v26
	s_waitcnt lgkmcnt(0)
	v_add_f32_e32 v4, v26, v4
	ds_bpermute_b32 v1, v1, v4
	s_waitcnt lgkmcnt(0)
	v_add_f32_e32 v19, v4, v1
	s_cbranch_scc0 .LBB25_589
; %bb.588:                              ;   in Loop: Header=BB25_13 Depth=1
	global_load_dword v1, v227, s[8:9]
	v_max_f32_e32 v4, v18, v18
	s_mov_b32 s6, 0xc1a00000
	s_mov_b64 s[42:43], 0
	s_waitcnt vmcnt(0)
	v_max_f32_e32 v5, v1, v1
	v_max_f32_e32 v4, v4, v5
	v_sub_f32_e32 v5, v18, v4
	v_sub_f32_e32 v1, v1, v4
	v_mul_f32_e32 v6, 0x3fb8aa3b, v5
	v_mul_f32_e32 v7, 0x3fb8aa3b, v1
	v_fma_f32 v8, v5, s75, -v6
	v_rndne_f32_e32 v9, v6
	v_fma_f32 v26, v1, s75, -v7
	v_rndne_f32_e32 v27, v7
	v_fmac_f32_e32 v8, 0x32a5705f, v5
	v_sub_f32_e32 v6, v6, v9
	v_fmac_f32_e32 v26, 0x32a5705f, v1
	v_sub_f32_e32 v7, v7, v27
	v_add_f32_e32 v6, v6, v8
	v_cvt_i32_f32_e32 v9, v9
	v_add_f32_e32 v7, v7, v26
	v_exp_f32_e32 v6, v6
	v_cvt_i32_f32_e32 v27, v27
	v_exp_f32_e32 v7, v7
	v_cmp_ngt_f32_e32 vcc, s74, v5
	v_ldexp_f32 v6, v6, v9
	v_cndmask_b32_e32 v6, 0, v6, vcc
	v_ldexp_f32 v7, v7, v27
	v_cmp_ngt_f32_e32 vcc, s74, v1
	v_cndmask_b32_e32 v7, 0, v7, vcc
	v_cmp_nlt_f32_e32 vcc, s65, v5
	v_cndmask_b32_e32 v6, v212, v6, vcc
	v_cmp_le_f32_e32 vcc, s44, v5
	v_cndmask_b32_e32 v6, 0, v6, vcc
	v_cvt_f16_f32_e32 v37, v6
	v_cmp_nlt_f32_e32 vcc, s65, v1
	v_cndmask_b32_e32 v5, v212, v7, vcc
	v_fmac_f32_e32 v5, v19, v6
	v_pk_mul_f16 v6, v37, v10 op_sel_hi:[0,1]
	v_pk_mul_f16 v7, v37, v11 op_sel_hi:[0,1]
	v_pk_mul_f16 v8, v37, v12 op_sel_hi:[0,1]
	v_pk_mul_f16 v9, v37, v13 op_sel_hi:[0,1]
	v_pk_mul_f16 v26, v37, v14 op_sel_hi:[0,1]
	v_pk_mul_f16 v27, v37, v15 op_sel_hi:[0,1]
	v_pk_mul_f16 v28, v37, v16 op_sel_hi:[0,1]
	v_pk_mul_f16 v29, v37, v17 op_sel_hi:[0,1]
	v_pk_mul_f16 v30, v37, v20 op_sel_hi:[0,1]
	v_pk_mul_f16 v31, v37, v21 op_sel_hi:[0,1]
	v_pk_mul_f16 v32, v37, v22 op_sel_hi:[0,1]
	v_pk_mul_f16 v33, v37, v23 op_sel_hi:[0,1]
	v_pk_mul_f16 v34, v37, v24 op_sel_hi:[0,1]
	v_pk_mul_f16 v35, v37, v25 op_sel_hi:[0,1]
	v_pk_mul_f16 v36, v37, v2 op_sel_hi:[0,1]
	v_pk_mul_f16 v37, v37, v3 op_sel_hi:[0,1]
	s_branch .LBB25_590
.LBB25_589:                             ;   in Loop: Header=BB25_13 Depth=1
	s_mov_b32 s6, 0xc1a00000
	s_mov_b64 s[42:43], -1
                                        ; implicit-def: $vgpr4_vgpr5
                                        ; implicit-def: $vgpr6_vgpr7
                                        ; implicit-def: $vgpr8_vgpr9
                                        ; implicit-def: $vgpr26_vgpr27
                                        ; implicit-def: $vgpr28_vgpr29
                                        ; implicit-def: $vgpr30_vgpr31
                                        ; implicit-def: $vgpr32_vgpr33
                                        ; implicit-def: $vgpr34_vgpr35
                                        ; implicit-def: $vgpr36_vgpr37
.LBB25_590:                             ;   in Loop: Header=BB25_13 Depth=1
	v_readlane_b32 s96, v254, 26
	v_readlane_b32 s90, v255, 18
	;; [unrolled: 1-line block ×7, first 2 shown]
	s_andn2_b64 vcc, exec, s[42:43]
	v_readlane_b32 s93, v254, 29
	s_cbranch_vccnz .LBB25_592
; %bb.591:                              ;   in Loop: Header=BB25_13 Depth=1
	v_pk_mov_b32 v[36:37], v[2:3], v[2:3] op_sel:[0,1]
	v_pk_mov_b32 v[34:35], v[24:25], v[24:25] op_sel:[0,1]
	;; [unrolled: 1-line block ×9, first 2 shown]
.LBB25_592:                             ;   in Loop: Header=BB25_13 Depth=1
	s_mov_b64 s[42:43], exec
	v_readlane_b32 s8, v254, 20
	v_readlane_b32 s9, v254, 21
	s_and_b64 s[8:9], s[42:43], s[8:9]
	s_mov_b64 exec, s[8:9]
	s_cbranch_execz .LBB25_594
; %bb.593:                              ;   in Loop: Header=BB25_13 Depth=1
	buffer_load_dword v1, off, s[0:3], 0 offset:100 ; 4-byte Folded Reload
	s_waitcnt vmcnt(0)
	ds_write2_b32 v1, v4, v5 offset0:64 offset1:65
.LBB25_594:                             ;   in Loop: Header=BB25_13 Depth=1
	s_or_b64 exec, exec, s[42:43]
	v_mov_b32_e32 v1, 50
	s_waitcnt lgkmcnt(0)
	s_barrier
	ds_write2_b32 v150, v6, v7 offset1:1
	ds_write2_b32 v150, v8, v9 offset0:8 offset1:9
	ds_write2_b32 v150, v26, v27 offset0:16 offset1:17
	ds_write2_b32 v150, v28, v29 offset0:24 offset1:25
	ds_write2_b32 v150, v30, v31 offset0:32 offset1:33
	ds_write2_b32 v150, v32, v33 offset0:40 offset1:41
	ds_write2_b32 v150, v34, v35 offset0:48 offset1:49
	ds_write2_b32 v150, v36, v37 offset0:56 offset1:57
	s_waitcnt lgkmcnt(0)
	s_barrier
	s_mov_b64 s[42:43], exec
	v_readlane_b32 s8, v254, 50
	v_readlane_b32 s9, v254, 51
	s_and_b64 s[8:9], s[42:43], s[8:9]
	s_mov_b64 exec, s[8:9]
	s_cbranch_execz .LBB25_596
; %bb.595:                              ;   in Loop: Header=BB25_13 Depth=1
	buffer_load_dword v1, off, s[0:3], 0 offset:24 ; 4-byte Folded Reload
	buffer_load_dword v2, off, s[0:3], 0 offset:16 ; 4-byte Folded Reload
	v_readlane_b32 s8, v254, 8
	v_mov_b32_e32 v5, s66
	s_waitcnt vmcnt(1)
	ds_read_b32 v1, v1 offset:260
	s_waitcnt vmcnt(0)
	ds_read_b32 v4, v2
	v_mad_u64_u32 v[2:3], s[8:9], s8, v224, v[54:55]
	v_ashrrev_i32_e32 v3, 31, v2
	v_lshlrev_b64 v[2:3], 3, v[2:3]
	v_add_co_u32_e32 v2, vcc, s7, v2
	v_addc_co_u32_e32 v3, vcc, v5, v3, vcc
	s_waitcnt lgkmcnt(0)
	v_cvt_f32_f16_sdwa v5, v4 dst_sel:DWORD dst_unused:UNUSED_PAD src0_sel:WORD_1
	v_cvt_f32_f16_e32 v4, v4
	v_pk_add_f32 v[4:5], v[4:5], 0 op_sel_hi:[1,0]
	v_div_scale_f32 v6, s[8:9], v1, v1, v5
	v_rcp_f32_e32 v7, v6
	v_fma_f32 v8, -v6, v7, 1.0
	v_fmac_f32_e32 v7, v8, v7
	v_div_scale_f32 v8, vcc, v5, v1, v5
	v_mul_f32_e32 v9, v8, v7
	v_fma_f32 v10, -v6, v9, v8
	v_fmac_f32_e32 v9, v10, v7
	v_fma_f32 v6, -v6, v9, v8
	v_div_fmas_f32 v6, v6, v7, v9
	v_div_fixup_f32 v5, v6, v1, v5
	v_div_scale_f32 v6, s[8:9], v1, v1, v4
	v_rcp_f32_e32 v7, v6
	v_fma_f32 v8, -v6, v7, 1.0
	v_fmac_f32_e32 v7, v8, v7
	v_div_scale_f32 v8, vcc, v4, v1, v4
	v_mul_f32_e32 v9, v8, v7
	v_fma_f32 v10, -v6, v9, v8
	v_fmac_f32_e32 v9, v10, v7
	v_fma_f32 v6, -v6, v9, v8
	v_div_fmas_f32 v6, v6, v7, v9
	v_div_fixup_f32 v4, v6, v1, v4
	v_mov_b32_e32 v1, 0
	global_store_dwordx2 v[2:3], v[4:5], off
.LBB25_596:                             ;   in Loop: Header=BB25_13 Depth=1
	s_or_b64 exec, exec, s[42:43]
	v_cmp_gt_i32_e32 vcc, 50, v1
	s_mov_b64 s[44:45], -1
	s_and_saveexec_b64 s[42:43], vcc
; %bb.597:                              ;   in Loop: Header=BB25_13 Depth=1
	v_cmp_eq_u32_e32 vcc, 0, v1
	s_orn2_b64 s[44:45], vcc, exec
; %bb.598:                              ;   in Loop: Header=BB25_13 Depth=1
	s_or_b64 exec, exec, s[42:43]
                                        ; implicit-def: $vgpr2_vgpr3
	s_and_saveexec_b64 s[42:43], s[44:45]
	s_cbranch_execz .LBB25_686
; %bb.599:                              ;   in Loop: Header=BB25_13 Depth=1
	v_mov_b32_e32 v1, 50
	s_mov_b64 s[44:45], exec
	v_readlane_b32 s8, v254, 52
	v_readlane_b32 s9, v254, 53
	s_and_b64 s[8:9], s[44:45], s[8:9]
	s_mov_b64 exec, s[8:9]
	s_cbranch_execz .LBB25_601
; %bb.600:                              ;   in Loop: Header=BB25_13 Depth=1
	buffer_load_dword v1, off, s[0:3], 0 offset:24 ; 4-byte Folded Reload
	v_readlane_b32 s8, v254, 8
	v_mad_u64_u32 v[2:3], s[8:9], s8, v223, v[54:55]
	v_ashrrev_i32_e32 v3, 31, v2
	v_lshlrev_b64 v[2:3], 3, v[2:3]
	v_add_co_u32_e32 v2, vcc, s7, v2
	v_mov_b32_e32 v5, s66
	v_addc_co_u32_e32 v3, vcc, v5, v3, vcc
	s_waitcnt vmcnt(0)
	ds_read_b32 v1, v1 offset:1348
	ds_read_b32 v4, v252
	s_waitcnt lgkmcnt(0)
	v_cvt_f32_f16_sdwa v5, v4 dst_sel:DWORD dst_unused:UNUSED_PAD src0_sel:WORD_1
	v_cvt_f32_f16_e32 v4, v4
	v_pk_add_f32 v[4:5], v[4:5], 0 op_sel_hi:[1,0]
	v_div_scale_f32 v6, s[8:9], v1, v1, v5
	v_rcp_f32_e32 v7, v6
	v_fma_f32 v8, -v6, v7, 1.0
	v_fmac_f32_e32 v7, v8, v7
	v_div_scale_f32 v8, vcc, v5, v1, v5
	v_mul_f32_e32 v9, v8, v7
	v_fma_f32 v10, -v6, v9, v8
	v_fmac_f32_e32 v9, v10, v7
	v_fma_f32 v6, -v6, v9, v8
	v_div_fmas_f32 v6, v6, v7, v9
	v_div_fixup_f32 v5, v6, v1, v5
	v_div_scale_f32 v6, s[8:9], v1, v1, v4
	v_rcp_f32_e32 v7, v6
	v_fma_f32 v8, -v6, v7, 1.0
	v_fmac_f32_e32 v7, v8, v7
	v_div_scale_f32 v8, vcc, v4, v1, v4
	v_mul_f32_e32 v9, v8, v7
	v_fma_f32 v10, -v6, v9, v8
	v_fmac_f32_e32 v9, v10, v7
	v_fma_f32 v6, -v6, v9, v8
	v_div_fmas_f32 v6, v6, v7, v9
	v_div_fixup_f32 v4, v6, v1, v4
	v_mov_b32_e32 v1, 0
	global_store_dwordx2 v[2:3], v[4:5], off
.LBB25_601:                             ;   in Loop: Header=BB25_13 Depth=1
	s_or_b64 exec, exec, s[44:45]
	v_cmp_gt_i32_e32 vcc, 50, v1
	s_mov_b64 s[48:49], -1
	s_and_saveexec_b64 s[44:45], vcc
; %bb.602:                              ;   in Loop: Header=BB25_13 Depth=1
	v_cmp_eq_u32_e32 vcc, 0, v1
	s_orn2_b64 s[48:49], vcc, exec
; %bb.603:                              ;   in Loop: Header=BB25_13 Depth=1
	s_or_b64 exec, exec, s[44:45]
	s_mov_b64 s[46:47], s[90:91]
                                        ; implicit-def: $vgpr2_vgpr3
	s_and_saveexec_b64 s[44:45], s[48:49]
	s_cbranch_execz .LBB25_685
; %bb.604:                              ;   in Loop: Header=BB25_13 Depth=1
	v_mov_b32_e32 v1, 50
	s_mov_b64 s[46:47], exec
	v_readlane_b32 s8, v254, 54
	v_readlane_b32 s9, v254, 55
	s_and_b64 s[8:9], s[46:47], s[8:9]
	s_mov_b64 exec, s[8:9]
	s_cbranch_execz .LBB25_606
; %bb.605:                              ;   in Loop: Header=BB25_13 Depth=1
	buffer_load_dword v1, off, s[0:3], 0 offset:24 ; 4-byte Folded Reload
	v_readlane_b32 s8, v254, 8
	v_mad_u64_u32 v[2:3], s[8:9], s8, v222, v[54:55]
	v_ashrrev_i32_e32 v3, 31, v2
	v_lshlrev_b64 v[2:3], 3, v[2:3]
	v_add_co_u32_e32 v2, vcc, s7, v2
	v_mov_b32_e32 v5, s66
	v_addc_co_u32_e32 v3, vcc, v5, v3, vcc
	s_waitcnt vmcnt(0)
	ds_read_b32 v1, v1 offset:2436
	ds_read_b32 v4, v208
	s_waitcnt lgkmcnt(0)
	v_cvt_f32_f16_sdwa v5, v4 dst_sel:DWORD dst_unused:UNUSED_PAD src0_sel:WORD_1
	v_cvt_f32_f16_e32 v4, v4
	v_pk_add_f32 v[4:5], v[4:5], 0 op_sel_hi:[1,0]
	v_div_scale_f32 v6, s[8:9], v1, v1, v5
	v_rcp_f32_e32 v7, v6
	v_fma_f32 v8, -v6, v7, 1.0
	v_fmac_f32_e32 v7, v8, v7
	v_div_scale_f32 v8, vcc, v5, v1, v5
	v_mul_f32_e32 v9, v8, v7
	v_fma_f32 v10, -v6, v9, v8
	v_fmac_f32_e32 v9, v10, v7
	v_fma_f32 v6, -v6, v9, v8
	v_div_fmas_f32 v6, v6, v7, v9
	v_div_fixup_f32 v5, v6, v1, v5
	v_div_scale_f32 v6, s[8:9], v1, v1, v4
	v_rcp_f32_e32 v7, v6
	v_fma_f32 v8, -v6, v7, 1.0
	v_fmac_f32_e32 v7, v8, v7
	v_div_scale_f32 v8, vcc, v4, v1, v4
	v_mul_f32_e32 v9, v8, v7
	v_fma_f32 v10, -v6, v9, v8
	v_fmac_f32_e32 v9, v10, v7
	v_fma_f32 v6, -v6, v9, v8
	v_div_fmas_f32 v6, v6, v7, v9
	v_div_fixup_f32 v4, v6, v1, v4
	v_mov_b32_e32 v1, 0
	global_store_dwordx2 v[2:3], v[4:5], off
.LBB25_606:                             ;   in Loop: Header=BB25_13 Depth=1
	s_or_b64 exec, exec, s[46:47]
	v_cmp_gt_i32_e32 vcc, 50, v1
	s_mov_b64 s[50:51], -1
	s_and_saveexec_b64 s[46:47], vcc
; %bb.607:                              ;   in Loop: Header=BB25_13 Depth=1
	v_cmp_eq_u32_e32 vcc, 0, v1
	s_orn2_b64 s[50:51], vcc, exec
; %bb.608:                              ;   in Loop: Header=BB25_13 Depth=1
	s_or_b64 exec, exec, s[46:47]
	s_mov_b64 s[48:49], s[90:91]
	;; [unrolled: 62-line block ×3, first 2 shown]
                                        ; implicit-def: $vgpr2_vgpr3
	s_and_saveexec_b64 s[48:49], s[52:53]
	s_cbranch_execz .LBB25_683
; %bb.614:                              ;   in Loop: Header=BB25_13 Depth=1
	v_mov_b32_e32 v1, 50
	s_mov_b64 s[50:51], exec
	v_readlane_b32 s8, v254, 58
	v_readlane_b32 s9, v254, 59
	s_and_b64 s[8:9], s[50:51], s[8:9]
	s_mov_b64 exec, s[8:9]
	s_cbranch_execz .LBB25_616
; %bb.615:                              ;   in Loop: Header=BB25_13 Depth=1
	buffer_load_dword v1, off, s[0:3], 0 offset:160 ; 4-byte Folded Reload
	buffer_load_dword v2, off, s[0:3], 0 offset:156 ; 4-byte Folded Reload
	v_readlane_b32 s8, v254, 8
	v_mov_b32_e32 v5, s66
	s_waitcnt vmcnt(1)
	ds_read_b32 v1, v1 offset:260
	s_waitcnt vmcnt(0)
	ds_read_b32 v4, v2
	v_mad_u64_u32 v[2:3], s[8:9], s8, v220, v[54:55]
	v_ashrrev_i32_e32 v3, 31, v2
	v_lshlrev_b64 v[2:3], 3, v[2:3]
	v_add_co_u32_e32 v2, vcc, s7, v2
	v_addc_co_u32_e32 v3, vcc, v5, v3, vcc
	s_waitcnt lgkmcnt(0)
	v_cvt_f32_f16_sdwa v5, v4 dst_sel:DWORD dst_unused:UNUSED_PAD src0_sel:WORD_1
	v_cvt_f32_f16_e32 v4, v4
	v_pk_add_f32 v[4:5], v[4:5], 0 op_sel_hi:[1,0]
	v_div_scale_f32 v6, s[8:9], v1, v1, v5
	v_rcp_f32_e32 v7, v6
	v_fma_f32 v8, -v6, v7, 1.0
	v_fmac_f32_e32 v7, v8, v7
	v_div_scale_f32 v8, vcc, v5, v1, v5
	v_mul_f32_e32 v9, v8, v7
	v_fma_f32 v10, -v6, v9, v8
	v_fmac_f32_e32 v9, v10, v7
	v_fma_f32 v6, -v6, v9, v8
	v_div_fmas_f32 v6, v6, v7, v9
	v_div_fixup_f32 v5, v6, v1, v5
	v_div_scale_f32 v6, s[8:9], v1, v1, v4
	v_rcp_f32_e32 v7, v6
	v_fma_f32 v8, -v6, v7, 1.0
	v_fmac_f32_e32 v7, v8, v7
	v_div_scale_f32 v8, vcc, v4, v1, v4
	v_mul_f32_e32 v9, v8, v7
	v_fma_f32 v10, -v6, v9, v8
	v_fmac_f32_e32 v9, v10, v7
	v_fma_f32 v6, -v6, v9, v8
	v_div_fmas_f32 v6, v6, v7, v9
	v_div_fixup_f32 v4, v6, v1, v4
	v_mov_b32_e32 v1, 0
	global_store_dwordx2 v[2:3], v[4:5], off
.LBB25_616:                             ;   in Loop: Header=BB25_13 Depth=1
	s_or_b64 exec, exec, s[50:51]
	v_cmp_gt_i32_e32 vcc, 50, v1
	s_mov_b64 s[54:55], -1
	s_and_saveexec_b64 s[50:51], vcc
; %bb.617:                              ;   in Loop: Header=BB25_13 Depth=1
	v_cmp_eq_u32_e32 vcc, 0, v1
	s_orn2_b64 s[54:55], vcc, exec
; %bb.618:                              ;   in Loop: Header=BB25_13 Depth=1
	s_or_b64 exec, exec, s[50:51]
	s_mov_b64 s[52:53], s[90:91]
                                        ; implicit-def: $vgpr2_vgpr3
	s_and_saveexec_b64 s[50:51], s[54:55]
	s_cbranch_execz .LBB25_682
; %bb.619:                              ;   in Loop: Header=BB25_13 Depth=1
	v_mov_b32_e32 v1, 50
	s_mov_b64 s[52:53], exec
	v_readlane_b32 s8, v254, 60
	v_readlane_b32 s9, v254, 61
	s_and_b64 s[8:9], s[52:53], s[8:9]
	s_mov_b64 exec, s[8:9]
	s_cbranch_execz .LBB25_621
; %bb.620:                              ;   in Loop: Header=BB25_13 Depth=1
	buffer_load_dword v1, off, s[0:3], 0 offset:24 ; 4-byte Folded Reload
	v_readlane_b32 s8, v254, 8
	v_mad_u64_u32 v[2:3], s[8:9], s8, v219, v[54:55]
	v_ashrrev_i32_e32 v3, 31, v2
	v_lshlrev_b64 v[2:3], 3, v[2:3]
	v_add_co_u32_e32 v2, vcc, s7, v2
	v_mov_b32_e32 v5, s66
	v_addc_co_u32_e32 v3, vcc, v5, v3, vcc
	s_waitcnt vmcnt(0)
	ds_read_b32 v1, v1 offset:5700
	ds_read_b32 v4, v204 offset:2176
	s_waitcnt lgkmcnt(0)
	v_cvt_f32_f16_sdwa v5, v4 dst_sel:DWORD dst_unused:UNUSED_PAD src0_sel:WORD_1
	v_cvt_f32_f16_e32 v4, v4
	v_pk_add_f32 v[4:5], v[4:5], 0 op_sel_hi:[1,0]
	v_div_scale_f32 v6, s[8:9], v1, v1, v5
	v_rcp_f32_e32 v7, v6
	v_fma_f32 v8, -v6, v7, 1.0
	v_fmac_f32_e32 v7, v8, v7
	v_div_scale_f32 v8, vcc, v5, v1, v5
	v_mul_f32_e32 v9, v8, v7
	v_fma_f32 v10, -v6, v9, v8
	v_fmac_f32_e32 v9, v10, v7
	v_fma_f32 v6, -v6, v9, v8
	v_div_fmas_f32 v6, v6, v7, v9
	v_div_fixup_f32 v5, v6, v1, v5
	v_div_scale_f32 v6, s[8:9], v1, v1, v4
	v_rcp_f32_e32 v7, v6
	v_fma_f32 v8, -v6, v7, 1.0
	v_fmac_f32_e32 v7, v8, v7
	v_div_scale_f32 v8, vcc, v4, v1, v4
	v_mul_f32_e32 v9, v8, v7
	v_fma_f32 v10, -v6, v9, v8
	v_fmac_f32_e32 v9, v10, v7
	v_fma_f32 v6, -v6, v9, v8
	v_div_fmas_f32 v6, v6, v7, v9
	v_div_fixup_f32 v4, v6, v1, v4
	v_mov_b32_e32 v1, 0
	global_store_dwordx2 v[2:3], v[4:5], off
.LBB25_621:                             ;   in Loop: Header=BB25_13 Depth=1
	s_or_b64 exec, exec, s[52:53]
	v_cmp_gt_i32_e32 vcc, 50, v1
	s_mov_b64 s[56:57], -1
	s_and_saveexec_b64 s[52:53], vcc
; %bb.622:                              ;   in Loop: Header=BB25_13 Depth=1
	v_cmp_eq_u32_e32 vcc, 0, v1
	s_orn2_b64 s[56:57], vcc, exec
; %bb.623:                              ;   in Loop: Header=BB25_13 Depth=1
	s_or_b64 exec, exec, s[52:53]
	s_mov_b64 s[54:55], s[90:91]
                                        ; implicit-def: $vgpr2_vgpr3
	s_and_saveexec_b64 s[52:53], s[56:57]
	s_cbranch_execz .LBB25_681
; %bb.624:                              ;   in Loop: Header=BB25_13 Depth=1
	v_mov_b32_e32 v1, 50
	s_mov_b64 s[54:55], exec
	v_readlane_b32 s8, v254, 62
	v_readlane_b32 s9, v254, 63
	s_and_b64 s[8:9], s[54:55], s[8:9]
	s_mov_b64 exec, s[8:9]
	s_cbranch_execz .LBB25_626
; %bb.625:                              ;   in Loop: Header=BB25_13 Depth=1
	buffer_load_dword v1, off, s[0:3], 0 offset:24 ; 4-byte Folded Reload
	v_readlane_b32 s8, v254, 8
	v_mad_u64_u32 v[2:3], s[8:9], s8, v218, v[54:55]
	v_ashrrev_i32_e32 v3, 31, v2
	v_lshlrev_b64 v[2:3], 3, v[2:3]
	v_add_co_u32_e32 v2, vcc, s7, v2
	v_mov_b32_e32 v5, s66
	v_addc_co_u32_e32 v3, vcc, v5, v3, vcc
	s_waitcnt vmcnt(0)
	ds_read_b32 v1, v1 offset:6788
	ds_read_b32 v4, v204 offset:3264
	s_waitcnt lgkmcnt(0)
	v_cvt_f32_f16_sdwa v5, v4 dst_sel:DWORD dst_unused:UNUSED_PAD src0_sel:WORD_1
	v_cvt_f32_f16_e32 v4, v4
	v_pk_add_f32 v[4:5], v[4:5], 0 op_sel_hi:[1,0]
	v_div_scale_f32 v6, s[8:9], v1, v1, v5
	v_rcp_f32_e32 v7, v6
	v_fma_f32 v8, -v6, v7, 1.0
	v_fmac_f32_e32 v7, v8, v7
	v_div_scale_f32 v8, vcc, v5, v1, v5
	v_mul_f32_e32 v9, v8, v7
	v_fma_f32 v10, -v6, v9, v8
	v_fmac_f32_e32 v9, v10, v7
	v_fma_f32 v6, -v6, v9, v8
	v_div_fmas_f32 v6, v6, v7, v9
	v_div_fixup_f32 v5, v6, v1, v5
	v_div_scale_f32 v6, s[8:9], v1, v1, v4
	v_rcp_f32_e32 v7, v6
	v_fma_f32 v8, -v6, v7, 1.0
	v_fmac_f32_e32 v7, v8, v7
	v_div_scale_f32 v8, vcc, v4, v1, v4
	v_mul_f32_e32 v9, v8, v7
	v_fma_f32 v10, -v6, v9, v8
	v_fmac_f32_e32 v9, v10, v7
	v_fma_f32 v6, -v6, v9, v8
	v_div_fmas_f32 v6, v6, v7, v9
	v_div_fixup_f32 v4, v6, v1, v4
	v_mov_b32_e32 v1, 0
	global_store_dwordx2 v[2:3], v[4:5], off
.LBB25_626:                             ;   in Loop: Header=BB25_13 Depth=1
	;; [unrolled: 62-line block ×3, first 2 shown]
	s_or_b64 exec, exec, s[56:57]
	v_cmp_gt_i32_e32 vcc, 50, v1
	s_mov_b64 s[76:77], -1
	s_and_saveexec_b64 s[56:57], vcc
; %bb.632:                              ;   in Loop: Header=BB25_13 Depth=1
	v_cmp_eq_u32_e32 vcc, 0, v1
	s_orn2_b64 s[76:77], vcc, exec
; %bb.633:                              ;   in Loop: Header=BB25_13 Depth=1
	s_or_b64 exec, exec, s[56:57]
	s_mov_b64 s[60:61], s[90:91]
                                        ; implicit-def: $vgpr2_vgpr3
	s_and_saveexec_b64 s[56:57], s[76:77]
	s_cbranch_execz .LBB25_679
; %bb.634:                              ;   in Loop: Header=BB25_13 Depth=1
	v_mov_b32_e32 v1, 50
	s_mov_b64 s[60:61], exec
	v_readlane_b32 s8, v255, 2
	v_readlane_b32 s9, v255, 3
	s_and_b64 s[8:9], s[60:61], s[8:9]
	s_mov_b64 exec, s[8:9]
	s_cbranch_execz .LBB25_636
; %bb.635:                              ;   in Loop: Header=BB25_13 Depth=1
	buffer_load_dword v1, off, s[0:3], 0 offset:168 ; 4-byte Folded Reload
	buffer_load_dword v2, off, s[0:3], 0 offset:164 ; 4-byte Folded Reload
	v_readlane_b32 s8, v254, 8
	v_mov_b32_e32 v5, s66
	s_waitcnt vmcnt(1)
	ds_read_b32 v1, v1 offset:260
	s_waitcnt vmcnt(0)
	ds_read_b32 v4, v2
	v_mad_u64_u32 v[2:3], s[8:9], s8, v216, v[54:55]
	v_ashrrev_i32_e32 v3, 31, v2
	v_lshlrev_b64 v[2:3], 3, v[2:3]
	v_add_co_u32_e32 v2, vcc, s7, v2
	v_addc_co_u32_e32 v3, vcc, v5, v3, vcc
	s_waitcnt lgkmcnt(0)
	v_cvt_f32_f16_sdwa v5, v4 dst_sel:DWORD dst_unused:UNUSED_PAD src0_sel:WORD_1
	v_cvt_f32_f16_e32 v4, v4
	v_pk_add_f32 v[4:5], v[4:5], 0 op_sel_hi:[1,0]
	v_div_scale_f32 v6, s[8:9], v1, v1, v5
	v_rcp_f32_e32 v7, v6
	v_fma_f32 v8, -v6, v7, 1.0
	v_fmac_f32_e32 v7, v8, v7
	v_div_scale_f32 v8, vcc, v5, v1, v5
	v_mul_f32_e32 v9, v8, v7
	v_fma_f32 v10, -v6, v9, v8
	v_fmac_f32_e32 v9, v10, v7
	v_fma_f32 v6, -v6, v9, v8
	v_div_fmas_f32 v6, v6, v7, v9
	v_div_fixup_f32 v5, v6, v1, v5
	v_div_scale_f32 v6, s[8:9], v1, v1, v4
	v_rcp_f32_e32 v7, v6
	v_fma_f32 v8, -v6, v7, 1.0
	v_fmac_f32_e32 v7, v8, v7
	v_div_scale_f32 v8, vcc, v4, v1, v4
	v_mul_f32_e32 v9, v8, v7
	v_fma_f32 v10, -v6, v9, v8
	v_fmac_f32_e32 v9, v10, v7
	v_fma_f32 v6, -v6, v9, v8
	v_div_fmas_f32 v6, v6, v7, v9
	v_div_fixup_f32 v4, v6, v1, v4
	v_mov_b32_e32 v1, 0
	global_store_dwordx2 v[2:3], v[4:5], off
.LBB25_636:                             ;   in Loop: Header=BB25_13 Depth=1
	s_or_b64 exec, exec, s[60:61]
	v_cmp_gt_i32_e32 vcc, 50, v1
	s_mov_b64 s[78:79], -1
	s_and_saveexec_b64 s[60:61], vcc
; %bb.637:                              ;   in Loop: Header=BB25_13 Depth=1
	v_cmp_eq_u32_e32 vcc, 0, v1
	s_orn2_b64 s[78:79], vcc, exec
; %bb.638:                              ;   in Loop: Header=BB25_13 Depth=1
	s_or_b64 exec, exec, s[60:61]
	s_mov_b64 s[76:77], s[90:91]
                                        ; implicit-def: $vgpr2_vgpr3
	s_and_saveexec_b64 s[60:61], s[78:79]
	s_cbranch_execz .LBB25_678
; %bb.639:                              ;   in Loop: Header=BB25_13 Depth=1
	v_mov_b32_e32 v1, 50
	s_mov_b64 s[76:77], exec
	v_readlane_b32 s8, v255, 4
	v_readlane_b32 s9, v255, 5
	s_and_b64 s[8:9], s[76:77], s[8:9]
	s_mov_b64 exec, s[8:9]
	s_cbranch_execz .LBB25_641
; %bb.640:                              ;   in Loop: Header=BB25_13 Depth=1
	buffer_load_dword v1, off, s[0:3], 0 offset:24 ; 4-byte Folded Reload
	v_readlane_b32 s8, v254, 8
	v_mad_u64_u32 v[2:3], s[8:9], s8, v215, v[54:55]
	v_ashrrev_i32_e32 v3, 31, v2
	v_lshlrev_b64 v[2:3], 3, v[2:3]
	v_add_co_u32_e32 v2, vcc, s7, v2
	v_mov_b32_e32 v5, s66
	v_addc_co_u32_e32 v3, vcc, v5, v3, vcc
	s_waitcnt vmcnt(0)
	ds_read_b32 v1, v1 offset:10052
	ds_read_b32 v4, v204 offset:6528
	s_waitcnt lgkmcnt(0)
	v_cvt_f32_f16_sdwa v5, v4 dst_sel:DWORD dst_unused:UNUSED_PAD src0_sel:WORD_1
	v_cvt_f32_f16_e32 v4, v4
	v_pk_add_f32 v[4:5], v[4:5], 0 op_sel_hi:[1,0]
	v_div_scale_f32 v6, s[8:9], v1, v1, v5
	v_rcp_f32_e32 v7, v6
	v_fma_f32 v8, -v6, v7, 1.0
	v_fmac_f32_e32 v7, v8, v7
	v_div_scale_f32 v8, vcc, v5, v1, v5
	v_mul_f32_e32 v9, v8, v7
	v_fma_f32 v10, -v6, v9, v8
	v_fmac_f32_e32 v9, v10, v7
	v_fma_f32 v6, -v6, v9, v8
	v_div_fmas_f32 v6, v6, v7, v9
	v_div_fixup_f32 v5, v6, v1, v5
	v_div_scale_f32 v6, s[8:9], v1, v1, v4
	v_rcp_f32_e32 v7, v6
	v_fma_f32 v8, -v6, v7, 1.0
	v_fmac_f32_e32 v7, v8, v7
	v_div_scale_f32 v8, vcc, v4, v1, v4
	v_mul_f32_e32 v9, v8, v7
	v_fma_f32 v10, -v6, v9, v8
	v_fmac_f32_e32 v9, v10, v7
	v_fma_f32 v6, -v6, v9, v8
	v_div_fmas_f32 v6, v6, v7, v9
	v_div_fixup_f32 v4, v6, v1, v4
	v_mov_b32_e32 v1, 0
	global_store_dwordx2 v[2:3], v[4:5], off
.LBB25_641:                             ;   in Loop: Header=BB25_13 Depth=1
	s_or_b64 exec, exec, s[76:77]
	v_cmp_gt_i32_e32 vcc, 50, v1
	s_mov_b64 s[80:81], -1
	s_and_saveexec_b64 s[76:77], vcc
; %bb.642:                              ;   in Loop: Header=BB25_13 Depth=1
	v_cmp_eq_u32_e32 vcc, 0, v1
	s_orn2_b64 s[80:81], vcc, exec
; %bb.643:                              ;   in Loop: Header=BB25_13 Depth=1
	s_or_b64 exec, exec, s[76:77]
	s_mov_b64 s[78:79], s[90:91]
                                        ; implicit-def: $vgpr2_vgpr3
	s_and_saveexec_b64 s[76:77], s[80:81]
	s_cbranch_execz .LBB25_677
; %bb.644:                              ;   in Loop: Header=BB25_13 Depth=1
	v_mov_b32_e32 v1, 50
	s_mov_b64 s[78:79], exec
	v_readlane_b32 s8, v255, 6
	v_readlane_b32 s9, v255, 7
	s_and_b64 s[8:9], s[78:79], s[8:9]
	s_mov_b64 exec, s[8:9]
	s_cbranch_execz .LBB25_646
; %bb.645:                              ;   in Loop: Header=BB25_13 Depth=1
	buffer_load_dword v1, off, s[0:3], 0 offset:24 ; 4-byte Folded Reload
	v_readlane_b32 s8, v254, 8
	v_mad_u64_u32 v[2:3], s[8:9], s8, v99, v[54:55]
	v_ashrrev_i32_e32 v3, 31, v2
	v_lshlrev_b64 v[2:3], 3, v[2:3]
	v_add_co_u32_e32 v2, vcc, s7, v2
	v_mov_b32_e32 v5, s66
	v_addc_co_u32_e32 v3, vcc, v5, v3, vcc
	s_waitcnt vmcnt(0)
	ds_read_b32 v1, v1 offset:11140
	ds_read_b32 v4, v204 offset:7616
	s_waitcnt lgkmcnt(0)
	v_cvt_f32_f16_sdwa v5, v4 dst_sel:DWORD dst_unused:UNUSED_PAD src0_sel:WORD_1
	v_cvt_f32_f16_e32 v4, v4
	v_pk_add_f32 v[4:5], v[4:5], 0 op_sel_hi:[1,0]
	v_div_scale_f32 v6, s[8:9], v1, v1, v5
	v_rcp_f32_e32 v7, v6
	v_fma_f32 v8, -v6, v7, 1.0
	v_fmac_f32_e32 v7, v8, v7
	v_div_scale_f32 v8, vcc, v5, v1, v5
	v_mul_f32_e32 v9, v8, v7
	v_fma_f32 v10, -v6, v9, v8
	v_fmac_f32_e32 v9, v10, v7
	v_fma_f32 v6, -v6, v9, v8
	v_div_fmas_f32 v6, v6, v7, v9
	v_div_fixup_f32 v5, v6, v1, v5
	v_div_scale_f32 v6, s[8:9], v1, v1, v4
	v_rcp_f32_e32 v7, v6
	v_fma_f32 v8, -v6, v7, 1.0
	v_fmac_f32_e32 v7, v8, v7
	v_div_scale_f32 v8, vcc, v4, v1, v4
	v_mul_f32_e32 v9, v8, v7
	v_fma_f32 v10, -v6, v9, v8
	v_fmac_f32_e32 v9, v10, v7
	v_fma_f32 v6, -v6, v9, v8
	v_div_fmas_f32 v6, v6, v7, v9
	v_div_fixup_f32 v4, v6, v1, v4
	v_mov_b32_e32 v1, 0
	global_store_dwordx2 v[2:3], v[4:5], off
.LBB25_646:                             ;   in Loop: Header=BB25_13 Depth=1
	;; [unrolled: 62-line block ×3, first 2 shown]
	s_or_b64 exec, exec, s[80:81]
	v_cmp_gt_i32_e32 vcc, 50, v1
	s_mov_b64 s[84:85], -1
	s_and_saveexec_b64 s[80:81], vcc
; %bb.652:                              ;   in Loop: Header=BB25_13 Depth=1
	v_cmp_eq_u32_e32 vcc, 0, v1
	s_orn2_b64 s[84:85], vcc, exec
; %bb.653:                              ;   in Loop: Header=BB25_13 Depth=1
	s_or_b64 exec, exec, s[80:81]
	s_mov_b64 s[82:83], s[90:91]
                                        ; implicit-def: $vgpr2_vgpr3
	s_and_saveexec_b64 s[80:81], s[84:85]
	s_cbranch_execz .LBB25_675
; %bb.654:                              ;   in Loop: Header=BB25_13 Depth=1
	v_mov_b32_e32 v1, 50
	s_mov_b64 s[82:83], exec
	v_readlane_b32 s8, v255, 10
	v_readlane_b32 s9, v255, 11
	s_and_b64 s[8:9], s[82:83], s[8:9]
	s_mov_b64 exec, s[8:9]
	s_cbranch_execz .LBB25_656
; %bb.655:                              ;   in Loop: Header=BB25_13 Depth=1
	buffer_load_dword v1, off, s[0:3], 0 offset:176 ; 4-byte Folded Reload
	buffer_load_dword v2, off, s[0:3], 0 offset:172 ; 4-byte Folded Reload
	v_readlane_b32 s8, v254, 8
	v_mov_b32_e32 v5, s66
	s_waitcnt vmcnt(1)
	ds_read_b32 v1, v1 offset:260
	s_waitcnt vmcnt(0)
	ds_read_b32 v4, v2
	v_mad_u64_u32 v[2:3], s[8:9], s8, v95, v[54:55]
	v_ashrrev_i32_e32 v3, 31, v2
	v_lshlrev_b64 v[2:3], 3, v[2:3]
	v_add_co_u32_e32 v2, vcc, s7, v2
	v_addc_co_u32_e32 v3, vcc, v5, v3, vcc
	s_waitcnt lgkmcnt(0)
	v_cvt_f32_f16_sdwa v5, v4 dst_sel:DWORD dst_unused:UNUSED_PAD src0_sel:WORD_1
	v_cvt_f32_f16_e32 v4, v4
	v_pk_add_f32 v[4:5], v[4:5], 0 op_sel_hi:[1,0]
	v_div_scale_f32 v6, s[8:9], v1, v1, v5
	v_rcp_f32_e32 v7, v6
	v_fma_f32 v8, -v6, v7, 1.0
	v_fmac_f32_e32 v7, v8, v7
	v_div_scale_f32 v8, vcc, v5, v1, v5
	v_mul_f32_e32 v9, v8, v7
	v_fma_f32 v10, -v6, v9, v8
	v_fmac_f32_e32 v9, v10, v7
	v_fma_f32 v6, -v6, v9, v8
	v_div_fmas_f32 v6, v6, v7, v9
	v_div_fixup_f32 v5, v6, v1, v5
	v_div_scale_f32 v6, s[8:9], v1, v1, v4
	v_rcp_f32_e32 v7, v6
	v_fma_f32 v8, -v6, v7, 1.0
	v_fmac_f32_e32 v7, v8, v7
	v_div_scale_f32 v8, vcc, v4, v1, v4
	v_mul_f32_e32 v9, v8, v7
	v_fma_f32 v10, -v6, v9, v8
	v_fmac_f32_e32 v9, v10, v7
	v_fma_f32 v6, -v6, v9, v8
	v_div_fmas_f32 v6, v6, v7, v9
	v_div_fixup_f32 v4, v6, v1, v4
	v_mov_b32_e32 v1, 0
	global_store_dwordx2 v[2:3], v[4:5], off
.LBB25_656:                             ;   in Loop: Header=BB25_13 Depth=1
	s_or_b64 exec, exec, s[82:83]
	v_cmp_gt_i32_e32 vcc, 50, v1
	s_mov_b64 s[86:87], -1
	s_and_saveexec_b64 s[82:83], vcc
; %bb.657:                              ;   in Loop: Header=BB25_13 Depth=1
	v_cmp_eq_u32_e32 vcc, 0, v1
	s_orn2_b64 s[86:87], vcc, exec
; %bb.658:                              ;   in Loop: Header=BB25_13 Depth=1
	s_or_b64 exec, exec, s[82:83]
	s_mov_b64 s[84:85], s[90:91]
                                        ; implicit-def: $vgpr2_vgpr3
	s_and_saveexec_b64 s[82:83], s[86:87]
	s_cbranch_execz .LBB25_674
; %bb.659:                              ;   in Loop: Header=BB25_13 Depth=1
	v_mov_b32_e32 v1, 50
	s_mov_b64 s[84:85], exec
	v_readlane_b32 s8, v255, 12
	v_readlane_b32 s9, v255, 13
	s_and_b64 s[8:9], s[84:85], s[8:9]
	s_mov_b64 exec, s[8:9]
	s_cbranch_execz .LBB25_661
; %bb.660:                              ;   in Loop: Header=BB25_13 Depth=1
	buffer_load_dword v1, off, s[0:3], 0 offset:24 ; 4-byte Folded Reload
	v_readlane_b32 s8, v254, 8
	v_mad_u64_u32 v[2:3], s[8:9], s8, v93, v[54:55]
	v_ashrrev_i32_e32 v3, 31, v2
	v_lshlrev_b64 v[2:3], 3, v[2:3]
	v_add_co_u32_e32 v2, vcc, s7, v2
	v_mov_b32_e32 v5, s66
	v_addc_co_u32_e32 v3, vcc, v5, v3, vcc
	s_waitcnt vmcnt(0)
	ds_read_b32 v1, v1 offset:14404
	ds_read_b32 v4, v204 offset:10880
	s_waitcnt lgkmcnt(0)
	v_cvt_f32_f16_sdwa v5, v4 dst_sel:DWORD dst_unused:UNUSED_PAD src0_sel:WORD_1
	v_cvt_f32_f16_e32 v4, v4
	v_pk_add_f32 v[4:5], v[4:5], 0 op_sel_hi:[1,0]
	v_div_scale_f32 v6, s[8:9], v1, v1, v5
	v_rcp_f32_e32 v7, v6
	v_fma_f32 v8, -v6, v7, 1.0
	v_fmac_f32_e32 v7, v8, v7
	v_div_scale_f32 v8, vcc, v5, v1, v5
	v_mul_f32_e32 v9, v8, v7
	v_fma_f32 v10, -v6, v9, v8
	v_fmac_f32_e32 v9, v10, v7
	v_fma_f32 v6, -v6, v9, v8
	v_div_fmas_f32 v6, v6, v7, v9
	v_div_fixup_f32 v5, v6, v1, v5
	v_div_scale_f32 v6, s[8:9], v1, v1, v4
	v_rcp_f32_e32 v7, v6
	v_fma_f32 v8, -v6, v7, 1.0
	v_fmac_f32_e32 v7, v8, v7
	v_div_scale_f32 v8, vcc, v4, v1, v4
	v_mul_f32_e32 v9, v8, v7
	v_fma_f32 v10, -v6, v9, v8
	v_fmac_f32_e32 v9, v10, v7
	v_fma_f32 v6, -v6, v9, v8
	v_div_fmas_f32 v6, v6, v7, v9
	v_div_fixup_f32 v4, v6, v1, v4
	v_mov_b32_e32 v1, 0
	global_store_dwordx2 v[2:3], v[4:5], off
.LBB25_661:                             ;   in Loop: Header=BB25_13 Depth=1
	s_or_b64 exec, exec, s[84:85]
	v_cmp_gt_i32_e32 vcc, 50, v1
	s_mov_b64 s[88:89], -1
	s_and_saveexec_b64 s[84:85], vcc
; %bb.662:                              ;   in Loop: Header=BB25_13 Depth=1
	v_cmp_eq_u32_e32 vcc, 0, v1
	s_orn2_b64 s[88:89], vcc, exec
; %bb.663:                              ;   in Loop: Header=BB25_13 Depth=1
	s_or_b64 exec, exec, s[84:85]
	s_mov_b64 s[86:87], s[90:91]
                                        ; implicit-def: $vgpr2_vgpr3
	s_and_saveexec_b64 vcc, s[88:89]
	s_cbranch_execz .LBB25_673
; %bb.664:                              ;   in Loop: Header=BB25_13 Depth=1
	v_writelane_b32 v255, vcc_lo, 20
	v_writelane_b32 v255, vcc_hi, 21
	v_mov_b32_e32 v1, 50
	s_mov_b64 s[86:87], exec
	v_readlane_b32 s8, v255, 14
	v_readlane_b32 s9, v255, 15
	s_and_b64 s[8:9], s[86:87], s[8:9]
	s_mov_b64 exec, s[8:9]
	s_cbranch_execz .LBB25_666
; %bb.665:                              ;   in Loop: Header=BB25_13 Depth=1
	buffer_load_dword v1, off, s[0:3], 0 offset:24 ; 4-byte Folded Reload
	v_readlane_b32 s8, v254, 8
	v_mad_u64_u32 v[2:3], s[8:9], s8, v91, v[54:55]
	v_ashrrev_i32_e32 v3, 31, v2
	v_lshlrev_b64 v[2:3], 3, v[2:3]
	v_add_co_u32_e32 v2, vcc, s7, v2
	v_mov_b32_e32 v5, s66
	v_addc_co_u32_e32 v3, vcc, v5, v3, vcc
	s_waitcnt vmcnt(0)
	ds_read_b32 v1, v1 offset:15492
	ds_read_b32 v4, v204 offset:11968
	s_waitcnt lgkmcnt(0)
	v_cvt_f32_f16_sdwa v5, v4 dst_sel:DWORD dst_unused:UNUSED_PAD src0_sel:WORD_1
	v_cvt_f32_f16_e32 v4, v4
	v_pk_add_f32 v[4:5], v[4:5], 0 op_sel_hi:[1,0]
	v_div_scale_f32 v6, s[8:9], v1, v1, v5
	v_rcp_f32_e32 v7, v6
	v_fma_f32 v8, -v6, v7, 1.0
	v_fmac_f32_e32 v7, v8, v7
	v_div_scale_f32 v8, vcc, v5, v1, v5
	v_mul_f32_e32 v9, v8, v7
	v_fma_f32 v10, -v6, v9, v8
	v_fmac_f32_e32 v9, v10, v7
	v_fma_f32 v6, -v6, v9, v8
	v_div_fmas_f32 v6, v6, v7, v9
	v_div_fixup_f32 v5, v6, v1, v5
	v_div_scale_f32 v6, s[8:9], v1, v1, v4
	v_rcp_f32_e32 v7, v6
	v_fma_f32 v8, -v6, v7, 1.0
	v_fmac_f32_e32 v7, v8, v7
	v_div_scale_f32 v8, vcc, v4, v1, v4
	v_mul_f32_e32 v9, v8, v7
	v_fma_f32 v10, -v6, v9, v8
	v_fmac_f32_e32 v9, v10, v7
	v_fma_f32 v6, -v6, v9, v8
	v_div_fmas_f32 v6, v6, v7, v9
	v_div_fixup_f32 v4, v6, v1, v4
	v_mov_b32_e32 v1, 0
	global_store_dwordx2 v[2:3], v[4:5], off
.LBB25_666:                             ;   in Loop: Header=BB25_13 Depth=1
	s_or_b64 exec, exec, s[86:87]
	v_cmp_gt_i32_e32 vcc, 50, v1
	s_mov_b64 s[90:91], -1
	s_and_saveexec_b64 s[86:87], vcc
; %bb.667:                              ;   in Loop: Header=BB25_13 Depth=1
	v_cmp_eq_u32_e32 vcc, 0, v1
	s_orn2_b64 s[90:91], vcc, exec
; %bb.668:                              ;   in Loop: Header=BB25_13 Depth=1
	s_or_b64 exec, exec, s[86:87]
	v_readlane_b32 s84, v255, 18
	v_readlane_b32 s85, v255, 19
	s_mov_b64 s[88:89], s[84:85]
                                        ; implicit-def: $vgpr2_vgpr3
	s_and_saveexec_b64 s[86:87], s[90:91]
	v_readlane_b32 vcc_lo, v255, 20
	v_readlane_b32 vcc_hi, v255, 21
	s_cbranch_execz .LBB25_672
; %bb.669:                              ;   in Loop: Header=BB25_13 Depth=1
	s_mov_b64 s[90:91], s[84:85]
                                        ; implicit-def: $vgpr2_vgpr3
	s_mov_b64 s[88:89], exec
	v_readlane_b32 s8, v255, 16
	v_readlane_b32 s9, v255, 17
	s_and_b64 s[8:9], s[88:89], s[8:9]
	s_mov_b64 exec, s[8:9]
	s_cbranch_execz .LBB25_671
; %bb.670:                              ;   in Loop: Header=BB25_13 Depth=1
	buffer_load_dword v1, off, s[0:3], 0 offset:24 ; 4-byte Folded Reload
	s_or_b64 s[90:91], s[84:85], exec
	s_waitcnt vmcnt(0)
	ds_read_b32 v1, v1 offset:16580
	ds_read_b32 v2, v204 offset:13056
	s_waitcnt lgkmcnt(0)
	v_cvt_f32_f16_sdwa v3, v2 dst_sel:DWORD dst_unused:UNUSED_PAD src0_sel:WORD_1
	v_cvt_f32_f16_e32 v2, v2
	v_pk_add_f32 v[2:3], v[2:3], 0 op_sel_hi:[1,0]
	v_div_scale_f32 v4, s[8:9], v1, v1, v3
	v_rcp_f32_e32 v5, v4
	v_fma_f32 v6, -v4, v5, 1.0
	v_fmac_f32_e32 v5, v6, v5
	v_div_scale_f32 v6, vcc, v3, v1, v3
	v_mul_f32_e32 v7, v6, v5
	v_fma_f32 v8, -v4, v7, v6
	v_fmac_f32_e32 v7, v8, v5
	v_fma_f32 v4, -v4, v7, v6
	v_div_fmas_f32 v4, v4, v5, v7
	v_div_fixup_f32 v3, v4, v1, v3
	v_div_scale_f32 v4, s[8:9], v1, v1, v2
	v_rcp_f32_e32 v5, v4
	v_fma_f32 v6, -v4, v5, 1.0
	v_fmac_f32_e32 v5, v6, v5
	v_div_scale_f32 v6, vcc, v2, v1, v2
	v_mul_f32_e32 v7, v6, v5
	v_fma_f32 v8, -v4, v7, v6
	v_fmac_f32_e32 v7, v8, v5
	v_fma_f32 v4, -v4, v7, v6
	v_div_fmas_f32 v4, v4, v5, v7
	v_readlane_b32 vcc_lo, v255, 20
	v_readlane_b32 vcc_hi, v255, 21
	v_div_fixup_f32 v2, v4, v1, v2
.LBB25_671:                             ;   in Loop: Header=BB25_13 Depth=1
	s_or_b64 exec, exec, s[88:89]
	s_andn2_b64 s[8:9], s[84:85], exec
	s_and_b64 s[88:89], s[90:91], exec
	s_or_b64 s[88:89], s[8:9], s[88:89]
.LBB25_672:                             ;   in Loop: Header=BB25_13 Depth=1
	s_or_b64 exec, exec, s[86:87]
	s_andn2_b64 s[8:9], s[84:85], exec
	s_and_b64 s[86:87], s[88:89], exec
	s_or_b64 s[86:87], s[8:9], s[86:87]
	s_mov_b64 s[90:91], s[84:85]
.LBB25_673:                             ;   in Loop: Header=BB25_13 Depth=1
	s_or_b64 exec, exec, vcc
	s_andn2_b64 s[8:9], s[90:91], exec
	s_and_b64 s[84:85], s[86:87], exec
	s_or_b64 s[84:85], s[8:9], s[84:85]
.LBB25_674:                             ;   in Loop: Header=BB25_13 Depth=1
	s_or_b64 exec, exec, s[82:83]
	s_andn2_b64 s[8:9], s[90:91], exec
	s_and_b64 s[82:83], s[84:85], exec
	s_or_b64 s[82:83], s[8:9], s[82:83]
.LBB25_675:                             ;   in Loop: Header=BB25_13 Depth=1
	s_or_b64 exec, exec, s[80:81]
	s_andn2_b64 s[8:9], s[90:91], exec
	s_and_b64 s[80:81], s[82:83], exec
	s_or_b64 s[80:81], s[8:9], s[80:81]
.LBB25_676:                             ;   in Loop: Header=BB25_13 Depth=1
	s_or_b64 exec, exec, s[78:79]
	s_andn2_b64 s[8:9], s[90:91], exec
	s_and_b64 s[78:79], s[80:81], exec
	s_or_b64 s[78:79], s[8:9], s[78:79]
.LBB25_677:                             ;   in Loop: Header=BB25_13 Depth=1
	s_or_b64 exec, exec, s[76:77]
	s_andn2_b64 s[8:9], s[90:91], exec
	s_and_b64 s[76:77], s[78:79], exec
	s_or_b64 s[76:77], s[8:9], s[76:77]
.LBB25_678:                             ;   in Loop: Header=BB25_13 Depth=1
	s_or_b64 exec, exec, s[60:61]
	s_andn2_b64 s[8:9], s[90:91], exec
	s_and_b64 s[60:61], s[76:77], exec
	s_or_b64 s[60:61], s[8:9], s[60:61]
.LBB25_679:                             ;   in Loop: Header=BB25_13 Depth=1
	s_or_b64 exec, exec, s[56:57]
	s_andn2_b64 s[8:9], s[90:91], exec
	s_and_b64 s[56:57], s[60:61], exec
	s_or_b64 s[56:57], s[8:9], s[56:57]
.LBB25_680:                             ;   in Loop: Header=BB25_13 Depth=1
	s_or_b64 exec, exec, s[54:55]
	s_andn2_b64 s[8:9], s[90:91], exec
	s_and_b64 s[54:55], s[56:57], exec
	s_or_b64 s[54:55], s[8:9], s[54:55]
.LBB25_681:                             ;   in Loop: Header=BB25_13 Depth=1
	s_or_b64 exec, exec, s[52:53]
	s_andn2_b64 s[8:9], s[90:91], exec
	s_and_b64 s[52:53], s[54:55], exec
	s_or_b64 s[52:53], s[8:9], s[52:53]
.LBB25_682:                             ;   in Loop: Header=BB25_13 Depth=1
	s_or_b64 exec, exec, s[50:51]
	s_andn2_b64 s[8:9], s[90:91], exec
	s_and_b64 s[50:51], s[52:53], exec
	s_or_b64 s[50:51], s[8:9], s[50:51]
.LBB25_683:                             ;   in Loop: Header=BB25_13 Depth=1
	s_or_b64 exec, exec, s[48:49]
	s_andn2_b64 s[8:9], s[90:91], exec
	s_and_b64 s[48:49], s[50:51], exec
	s_or_b64 s[48:49], s[8:9], s[48:49]
.LBB25_684:                             ;   in Loop: Header=BB25_13 Depth=1
	s_or_b64 exec, exec, s[46:47]
	s_andn2_b64 s[8:9], s[90:91], exec
	s_and_b64 s[46:47], s[48:49], exec
	s_or_b64 s[46:47], s[8:9], s[46:47]
.LBB25_685:                             ;   in Loop: Header=BB25_13 Depth=1
	s_or_b64 exec, exec, s[44:45]
	s_andn2_b64 s[8:9], s[90:91], exec
	s_and_b64 s[44:45], s[46:47], exec
	s_or_b64 s[90:91], s[8:9], s[44:45]
.LBB25_686:                             ;   in Loop: Header=BB25_13 Depth=1
	s_or_b64 exec, exec, s[42:43]
.LBB25_687:                             ;   in Loop: Header=BB25_13 Depth=1
	s_and_saveexec_b64 s[42:43], s[90:91]
	s_cbranch_execz .LBB25_12
; %bb.688:                              ;   in Loop: Header=BB25_13 Depth=1
	v_readlane_b32 s8, v254, 8
	v_mad_u64_u32 v[4:5], s[8:9], s8, v214, v[54:55]
	v_ashrrev_i32_e32 v5, 31, v4
	v_lshlrev_b64 v[4:5], 3, v[4:5]
	v_mov_b32_e32 v1, s66
	v_add_co_u32_e32 v4, vcc, s7, v4
	v_addc_co_u32_e32 v5, vcc, v1, v5, vcc
	global_store_dwordx2 v[4:5], v[2:3], off
	s_branch .LBB25_12
.LBB25_689:
	s_andn2_b64 vcc, exec, s[8:9]
	s_cbranch_vccnz .LBB25_950
; %bb.690:
	v_readlane_b32 s11, v253, 7
	s_abs_i32 s4, s11
	v_cvt_f32_u32_e32 v0, s4
	v_readlane_b32 s6, v253, 12
	v_readlane_b32 s7, v253, 13
	s_sub_i32 s7, 0, s4
	v_rcp_iflag_f32_e32 v0, v0
	s_mov_b32 s14, s6
	s_xor_b32 s5, s6, s11
	s_abs_i32 s6, s6
	v_mul_f32_e32 v0, 0x4f7ffffe, v0
	v_cvt_u32_f32_e32 v0, v0
	s_ashr_i32 s5, s5, 31
	v_readlane_b32 s12, v253, 6
	v_readlane_b32 s13, v253, 3
	v_readfirstlane_b32 s8, v0
	s_mul_i32 s7, s7, s8
	s_mul_hi_u32 s7, s8, s7
	s_add_i32 s8, s8, s7
	s_mul_hi_u32 s7, s6, s8
	s_mul_i32 s8, s7, s4
	s_sub_i32 s6, s6, s8
	s_add_i32 s9, s7, 1
	s_sub_i32 s8, s6, s4
	s_cmp_ge_u32 s6, s4
	s_cselect_b32 s7, s9, s7
	s_cselect_b32 s6, s8, s6
	s_add_i32 s8, s7, 1
	s_cmp_ge_u32 s6, s4
	s_cselect_b32 s4, s8, s7
	s_abs_i32 s6, s12
	v_cvt_f32_u32_e32 v0, s6
	s_xor_b32 s4, s4, s5
	s_sub_i32 s7, 0, s6
	s_sub_i32 s10, s4, s5
	v_rcp_iflag_f32_e32 v0, v0
	s_mul_i32 s4, s10, s11
	s_sub_i32 s4, s14, s4
	s_abs_i32 s8, s4
	v_mul_f32_e32 v0, 0x4f7ffffe, v0
	v_cvt_u32_f32_e32 v0, v0
	s_xor_b32 s5, s4, s12
	s_ashr_i32 s5, s5, 31
	v_readlane_b32 s16, v253, 34
	v_readfirstlane_b32 s9, v0
	s_mul_i32 s7, s7, s9
	s_mul_hi_u32 s7, s9, s7
	s_add_i32 s9, s9, s7
	s_mul_hi_u32 s7, s8, s9
	s_mul_i32 s9, s7, s6
	s_sub_i32 s8, s8, s9
	s_add_i32 s11, s7, 1
	s_sub_i32 s9, s8, s6
	s_cmp_ge_u32 s8, s6
	s_cselect_b32 s7, s11, s7
	s_cselect_b32 s8, s9, s8
	s_add_i32 s9, s7, 1
	s_cmp_ge_u32 s8, s6
	s_cselect_b32 s6, s9, s7
	s_abs_i32 s7, s13
	v_cvt_f32_u32_e32 v0, s7
	s_xor_b32 s6, s6, s5
	s_sub_i32 s8, 0, s7
	s_sub_i32 s11, s6, s5
	v_rcp_iflag_f32_e32 v0, v0
	s_mul_i32 s5, s11, s12
	s_sub_i32 s5, s4, s5
	s_abs_i32 s6, s5
	v_mul_f32_e32 v0, 0x4f7ffffe, v0
	v_cvt_u32_f32_e32 v0, v0
	s_xor_b32 s4, s5, s13
	s_ashr_i32 s4, s4, 31
	v_readlane_b32 s22, v253, 40
	v_readfirstlane_b32 s9, v0
	s_mul_i32 s8, s8, s9
	s_mul_hi_u32 s8, s9, s8
	s_add_i32 s9, s9, s8
	s_mul_hi_u32 s8, s6, s9
	s_mul_i32 s9, s8, s7
	s_sub_i32 s6, s6, s9
	s_add_i32 s12, s8, 1
	s_sub_i32 s9, s6, s7
	s_cmp_ge_u32 s6, s7
	s_cselect_b32 s8, s12, s8
	s_cselect_b32 s6, s9, s6
	s_add_i32 s9, s8, 1
	s_cmp_ge_u32 s6, s7
	s_cselect_b32 s6, s9, s8
	s_xor_b32 s6, s6, s4
	s_sub_i32 s4, s6, s4
	s_mul_i32 s6, s4, s13
	s_sub_i32 s5, s5, s6
	s_abs_i32 s14, s5
	v_readlane_b32 s6, v253, 31
	s_ashr_i32 s12, s10, 31
	v_readlane_b32 s23, v253, 41
	s_mul_hi_u32 s13, s14, s6
	s_cmp_eq_u64 s[22:23], 0
	s_mov_b64 s[44:45], 0
	v_readlane_b32 s17, v253, 35
	v_readlane_b32 s18, v253, 36
	;; [unrolled: 1-line block ×13, first 2 shown]
	s_cbranch_scc1 .LBB25_692
; %bb.691:
	v_readlane_b32 s6, v253, 58
	s_abs_i32 s6, s6
	v_cvt_f32_u32_e32 v0, s6
	s_sub_i32 s8, 0, s6
	v_readlane_b32 s7, v253, 59
	s_abs_i32 s7, s10
	v_rcp_iflag_f32_e32 v0, v0
	v_readlane_b32 s16, v253, 22
	v_readlane_b32 s17, v253, 23
	v_mul_f32_e32 v0, 0x4f7ffffe, v0
	v_cvt_u32_f32_e32 v0, v0
	v_readfirstlane_b32 s9, v0
	s_mul_i32 s8, s8, s9
	s_mul_hi_u32 s8, s9, s8
	s_add_i32 s9, s9, s8
	s_mul_hi_u32 s8, s7, s9
	s_mul_i32 s8, s8, s6
	s_sub_i32 s7, s7, s8
	s_sub_i32 s8, s7, s6
	s_cmp_ge_u32 s7, s6
	s_cselect_b32 s7, s8, s7
	s_sub_i32 s8, s7, s6
	s_cmp_ge_u32 s7, s6
	s_cselect_b32 s6, s8, s7
	s_xor_b32 s6, s6, s12
	s_sub_i32 s6, s6, s12
	s_ashr_i32 s7, s6, 31
	s_mul_i32 s8, s6, s17
	s_mul_hi_u32 s9, s6, s16
	s_add_i32 s8, s9, s8
	s_mul_i32 s7, s7, s16
	s_add_i32 s8, s8, s7
	s_mul_i32 s6, s6, s16
	s_add_u32 s44, s22, s6
	s_addc_u32 s45, s23, s8
.LBB25_692:
	s_ashr_i32 s16, s5, 31
	v_readlane_b32 s5, v253, 2
	s_mul_i32 s15, s11, s5
	s_add_i32 s15, s15, s4
	v_readlane_b32 s4, v253, 54
	v_readlane_b32 s5, v253, 55
	s_mov_b32 s17, s5
	v_cmp_le_f32_e64 s[4:5], s17, 0
	v_readlane_b32 s6, v253, 56
	v_readlane_b32 s7, v253, 57
	s_and_b64 vcc, exec, s[4:5]
	v_mov_b32_e32 v50, 1.0
	s_cbranch_vccnz .LBB25_694
; %bb.693:
	s_sub_i32 s4, s15, s72
	s_lshl_b32 s4, s4, 1
	s_mov_b64 s[18:19], s[6:7]
	s_add_i32 s6, s15, 1
	s_or_b32 s7, s4, 1
	s_cmp_lt_u32 s15, s72
	s_cselect_b64 vcc, -1, 0
	s_and_b64 s[4:5], vcc, exec
	v_mov_b32_e32 v0, s19
	v_mov_b32_e32 v1, s18
	s_cselect_b32 s4, s6, s7
	v_cndmask_b32_e32 v16, v0, v1, vcc
	v_cvt_f32_i32_e32 v0, s4
	v_cmp_neq_f32_e32 vcc, 1.0, v16
	s_mov_b32 s4, 0x3f2aaaab
	s_movk_i32 s6, 0x204
	v_cndmask_b32_e32 v17, 1.0, v0, vcc
	v_cmp_eq_f32_e32 vcc, 0, v17
	v_cndmask_b32_e64 v18, |v16|, 1.0, vcc
	v_frexp_mant_f32_e32 v0, v18
	v_cmp_gt_f32_e64 s[4:5], s4, v0
	v_cndmask_b32_e64 v1, 1.0, 2.0, s[4:5]
	v_mul_f32_e32 v0, v0, v1
	v_add_f32_e32 v3, 1.0, v0
	v_rcp_f32_e32 v8, v3
	v_add_f32_e32 v1, -1.0, v3
	v_sub_f32_e32 v5, v0, v1
	v_add_f32_e32 v1, -1.0, v0
	v_mul_f32_e32 v9, v1, v8
	v_mul_f32_e32 v2, v3, v9
	v_fma_f32 v4, v9, v3, -v2
	v_fmac_f32_e32 v4, v9, v5
	v_add_f32_e32 v0, v2, v4
	v_sub_f32_e32 v3, v1, v0
	v_pk_add_f32 v[6:7], v[0:1], v[2:3] neg_lo:[0,1] neg_hi:[0,1]
	v_mov_b32_e32 v5, v0
	v_pk_add_f32 v[0:1], v[6:7], v[4:5] neg_lo:[0,1] neg_hi:[0,1]
	v_add_f32_e32 v0, v0, v1
	v_add_f32_e32 v0, v3, v0
	v_mul_f32_e32 v1, v8, v0
	v_add_f32_e32 v0, v9, v1
	v_sub_f32_e32 v2, v0, v9
	v_sub_f32_e32 v10, v1, v2
	v_mul_f32_e32 v1, v0, v0
	v_fma_f32 v3, v0, v0, -v1
	v_add_f32_e32 v2, v10, v10
	v_fmac_f32_e32 v3, v0, v2
	v_add_f32_e32 v2, v1, v3
	v_mov_b32_e32 v4, 0x3e91f4c4
	v_fmac_f32_e32 v4, 0x3e76c4e1, v2
	v_mov_b32_e32 v5, 0x3ecccdef
	v_fmac_f32_e32 v5, v2, v4
	v_sub_f32_e32 v1, v2, v1
	v_sub_f32_e32 v11, v3, v1
	v_mul_f32_e32 v1, v2, v5
	v_fma_f32 v3, v2, v5, -v1
	v_fmac_f32_e32 v3, v11, v5
	v_add_f32_e32 v4, v1, v3
	v_add_f32_e32 v5, 0x3f2aaaaa, v4
	v_sub_f32_e32 v1, v4, v1
	v_sub_f32_e32 v1, v3, v1
	v_add_f32_e32 v3, 0xbf2aaaaa, v5
	v_add_f32_e32 v1, 0x31739010, v1
	v_sub_f32_e32 v3, v4, v3
	v_pk_mul_f32 v[6:7], v[0:1], v[2:3]
	v_fma_f32 v4, v2, v0, -v6
	v_pk_add_f32 v[8:9], v[0:1], v[2:3]
	v_fmac_f32_e32 v4, v2, v10
	v_mov_b32_e32 v7, v9
	v_fmac_f32_e32 v4, v11, v0
	v_pk_add_f32 v[2:3], v[6:7], v[4:5]
	v_sub_f32_e32 v1, v2, v6
	v_sub_f32_e32 v1, v4, v1
	;; [unrolled: 1-line block ×3, first 2 shown]
	v_add_f32_e32 v7, v9, v4
	v_mov_b32_e32 v4, v3
	v_pk_mul_f32 v[4:5], v[2:3], v[4:5]
	v_cvt_f64_f32_e32 v[8:9], v18
	v_frexp_exp_i32_f64_e32 v5, v[8:9]
	v_subbrev_co_u32_e64 v5, s[4:5], 0, v5, s[4:5]
	v_cvt_f32_i32_e32 v5, v5
	v_fma_f32 v6, v2, v3, -v4
	v_fmac_f32_e32 v6, v2, v7
	s_mov_b32 s4, 0x3f317218
	v_mul_f32_e32 v2, 0x3f317218, v5
	v_fmac_f32_e32 v6, v1, v3
	v_fma_f32 v8, v5, s4, -v2
	v_fmac_f32_e32 v8, 0xb102e308, v5
	v_ldexp_f32 v9, v0, 1
	v_add_f32_e32 v3, v4, v6
	v_pk_add_f32 v[0:1], v[2:3], v[8:9]
	v_ldexp_f32 v12, v10, 1
	v_mov_b32_e32 v10, v3
	v_mov_b32_e32 v11, v1
	;; [unrolled: 1-line block ×3, first 2 shown]
	v_pk_add_f32 v[4:5], v[10:11], v[4:5] neg_lo:[0,1] neg_hi:[0,1]
	v_mov_b32_e32 v7, v3
	v_pk_add_f32 v[4:5], v[6:7], v[4:5] neg_lo:[0,1] neg_hi:[0,1]
	v_add_f32_e32 v3, v12, v4
	v_add_f32_e32 v3, v3, v5
	v_pk_add_f32 v[4:5], v[0:1], v[2:3] neg_lo:[0,1] neg_hi:[0,1]
	v_pk_add_f32 v[6:7], v[0:1], v[2:3]
	v_mov_b32_e32 v10, v4
	v_mov_b32_e32 v11, v7
	;; [unrolled: 1-line block ×3, first 2 shown]
	v_pk_add_f32 v[10:11], v[8:9], v[10:11]
	v_mov_b32_e32 v2, v11
	v_pk_add_f32 v[12:13], v[2:3], v[0:1] neg_lo:[0,1] neg_hi:[0,1]
	v_mov_b32_e32 v13, v12
	v_mov_b32_e32 v10, v7
	;; [unrolled: 1-line block ×4, first 2 shown]
	v_pk_add_f32 v[4:5], v[8:9], v[4:5] neg_lo:[0,1] neg_hi:[0,1]
	v_pk_add_f32 v[14:15], v[6:7], v[12:13] neg_lo:[0,1] neg_hi:[0,1]
	;; [unrolled: 1-line block ×3, first 2 shown]
	v_mov_b32_e32 v8, v3
	v_pk_add_f32 v[0:1], v[8:9], v[0:1] neg_lo:[0,1] neg_hi:[0,1]
	v_mov_b32_e32 v14, v4
	v_pk_add_f32 v[6:7], v[14:15], v[0:1]
	v_mov_b32_e32 v8, v7
	v_pk_add_f32 v[8:9], v[6:7], v[8:9]
	v_pk_add_f32 v[2:3], v[2:3], v[8:9]
	v_mov_b32_e32 v5, v11
	v_mov_b32_e32 v7, v2
	v_pk_add_f32 v[10:11], v[6:7], v[4:5] neg_lo:[0,1] neg_hi:[0,1]
	v_mov_b32_e32 v1, v8
	v_sub_f32_e32 v3, v6, v10
	v_pk_add_f32 v[0:1], v[0:1], v[10:11] neg_lo:[0,1] neg_hi:[0,1]
	v_sub_f32_e32 v3, v4, v3
	v_add_f32_e32 v0, v0, v3
	v_add_f32_e32 v0, v0, v1
	v_add_f32_e32 v1, v2, v0
	v_sub_f32_e32 v2, v1, v2
	v_sub_f32_e32 v0, v0, v2
	v_mul_f32_e32 v2, v17, v1
	v_fma_f32 v1, v17, v1, -v2
	v_fmac_f32_e32 v1, v17, v0
	v_add_f32_e32 v0, v2, v1
	v_cmp_class_f32_e64 s[4:5], v2, s6
	v_sub_f32_e32 v3, v0, v2
	v_cndmask_b32_e64 v0, v0, v2, s[4:5]
	s_mov_b32 s8, 0x42b17218
	v_mov_b32_e32 v2, 0x37000000
	v_cmp_eq_f32_e64 s[4:5], s8, v0
	v_cndmask_b32_e64 v2, 0, v2, s[4:5]
	v_sub_f32_e32 v1, v1, v3
	v_sub_f32_e32 v3, v0, v2
	s_mov_b32 s4, 0x3fb8aa3b
	v_mul_f32_e32 v4, 0x3fb8aa3b, v3
	v_fma_f32 v5, v3, s4, -v4
	v_rndne_f32_e32 v6, v4
	v_fmac_f32_e32 v5, 0x32a5705f, v3
	v_sub_f32_e32 v4, v4, v6
	v_add_f32_e32 v4, v4, v5
	v_exp_f32_e32 v4, v4
	v_cvt_i32_f32_e32 v5, v6
	s_mov_b32 s7, 0x7f800000
	v_cmp_neq_f32_e64 s[4:5], |v0|, s7
	v_cndmask_b32_e64 v0, 0, v1, s[4:5]
	s_mov_b32 s4, 0xc2ce8ed0
	v_ldexp_f32 v1, v4, v5
	v_cmp_ngt_f32_e64 s[4:5], s4, v3
	v_add_f32_e32 v0, v2, v0
	v_cndmask_b32_e64 v1, 0, v1, s[4:5]
	v_mov_b32_e32 v2, 0x7f800000
	v_cmp_nlt_f32_e64 s[4:5], s8, v3
	v_cndmask_b32_e64 v1, v2, v1, s[4:5]
	v_fma_f32 v0, v1, v0, v1
	v_cmp_class_f32_e64 s[4:5], v1, s6
	v_trunc_f32_e32 v3, v17
	v_cndmask_b32_e64 v0, v0, v1, s[4:5]
	v_cndmask_b32_e64 v1, v16, 1.0, vcc
	v_cmp_eq_f32_e32 vcc, v3, v17
	v_mul_f32_e32 v3, 0.5, v17
	v_trunc_f32_e32 v5, v3
	v_cmp_neq_f32_e64 s[4:5], v5, v3
	s_and_b64 s[4:5], vcc, s[4:5]
	v_cndmask_b32_e64 v3, 1.0, v1, s[4:5]
	s_brev_b32 s17, -2
	v_mov_b32_e32 v4, 0x7fc00000
	v_bfi_b32 v0, s17, v0, v3
	v_cndmask_b32_e32 v3, v4, v0, vcc
	v_cmp_gt_f32_e32 vcc, 0, v1
	v_cndmask_b32_e32 v0, v0, v3, vcc
	v_cmp_eq_f32_e32 vcc, s7, v18
	v_cmp_eq_f32_e64 s[6:7], 0, v1
	v_cmp_gt_f32_e64 s[8:9], 0, v17
	s_xor_b64 s[8:9], s[8:9], s[6:7]
	v_cndmask_b32_e64 v2, v2, 0, s[8:9]
	v_cndmask_b32_e64 v3, 0, v1, s[4:5]
	v_bfi_b32 v2, s17, v2, v3
	s_or_b64 vcc, vcc, s[6:7]
	v_cndmask_b32_e32 v0, v0, v2, vcc
	v_cmp_o_f32_e32 vcc, v1, v1
	v_cndmask_b32_e32 v50, v4, v0, vcc
.LBB25_694:
	v_readlane_b32 s8, v253, 32
	s_mul_i32 s5, s13, s8
	v_readlane_b32 s4, v253, 30
	s_sub_i32 s5, s14, s5
	s_xor_b32 s4, s16, s4
	s_add_i32 s6, s13, 1
	s_sub_i32 s7, s5, s8
	s_cmp_ge_u32 s5, s8
	s_cselect_b32 s6, s6, s13
	s_cselect_b32 s5, s7, s5
	s_add_i32 s7, s6, 1
	s_cmp_ge_u32 s5, s8
	s_cselect_b32 s5, s7, s6
	s_xor_b32 s5, s5, s4
	v_readlane_b32 s16, v253, 34
	s_sub_i32 s4, s5, s4
	v_readlane_b32 s26, v253, 44
	v_readlane_b32 s27, v253, 45
	;; [unrolled: 1-line block ×4, first 2 shown]
	s_cmp_eq_u64 s[26:27], 0
	v_mov_b32_e32 v16, s8
	v_readlane_b32 s18, v253, 36
	v_readlane_b32 s19, v253, 37
	v_readlane_b32 s20, v253, 38
	v_readlane_b32 s21, v253, 39
	v_readlane_b32 s22, v253, 40
	v_readlane_b32 s23, v253, 41
	v_readlane_b32 s24, v253, 42
	v_readlane_b32 s25, v253, 43
	v_readlane_b32 s28, v253, 46
	v_readlane_b32 s29, v253, 47
	v_readlane_b32 s30, v253, 48
	v_readlane_b32 s31, v253, 49
	s_cbranch_scc1 .LBB25_696
; %bb.695:
	v_readlane_b32 s5, v253, 0
	s_mul_i32 s5, s10, s5
	s_add_i32 s6, s4, s5
	s_ashr_i32 s7, s6, 31
	s_lshl_b64 s[6:7], s[6:7], 2
	s_add_u32 s6, s26, s6
	s_addc_u32 s7, s27, s7
	v_mov_b32_e32 v0, 0
	global_load_dword v0, v0, s[6:7]
	s_waitcnt vmcnt(0)
	v_ashrrev_i32_e32 v1, 31, v0
	v_lshrrev_b32_e32 v1, 26, v1
	v_add_u32_e32 v0, v0, v1
	v_ashrrev_i32_e32 v0, 6, v0
	v_min_i32_e32 v16, s8, v0
.LBB25_696:
	buffer_load_dword v0, off, s[0:3], 0 offset:152 ; 4-byte Folded Reload
	v_readlane_b32 s8, v253, 10
	v_readlane_b32 s9, v253, 11
	s_mul_i32 s5, s10, s9
	s_ashr_i32 s6, s5, 31
	s_add_u32 s5, s16, s5
	s_mul_i32 s15, s15, s8
	s_addc_u32 s7, s17, s6
	s_ashr_i32 s8, s15, 31
	s_add_u32 s6, s5, s15
	s_addc_u32 s7, s7, s8
	s_lshl_b32 s8, s4, 6
	v_add_u32_e32 v123, s8, v148
	v_readlane_b32 s16, v253, 50
	v_cmp_le_i32_e32 vcc, s16, v123
	v_readlane_b32 s17, v253, 51
	v_readlane_b32 s18, v253, 52
	;; [unrolled: 1-line block ×3, first 2 shown]
	s_waitcnt vmcnt(0)
	v_and_b32_e32 v48, 0x3ff, v0
	s_and_saveexec_b64 s[4:5], vcc
	s_xor_b64 s[4:5], exec, s[4:5]
	s_cbranch_execz .LBB25_698
; %bb.697:
	s_movk_i32 s9, 0x44
	v_mad_u32_u24 v0, v148, s9, v48
	v_lshl_add_u32 v0, v0, 2, 0
	v_mov_b32_e32 v1, 0
	ds_write_b32 v0, v1
.LBB25_698:
	s_andn2_saveexec_b64 s[4:5], s[4:5]
	s_cbranch_execz .LBB25_700
; %bb.699:
	v_mad_u64_u32 v[0:1], s[14:15], v123, s95, v[48:49]
	v_ashrrev_i32_e32 v1, 31, v0
	v_lshlrev_b64 v[0:1], 3, v[0:1]
	v_mov_b32_e32 v2, s7
	v_add_co_u32_e32 v0, vcc, s6, v0
	v_addc_co_u32_e32 v1, vcc, v2, v1, vcc
	global_load_dwordx2 v[0:1], v[0:1], off
	s_movk_i32 s9, 0x44
	v_mad_u32_u24 v2, v148, s9, v48
	s_waitcnt vmcnt(0)
	v_cvt_f16_f32_e32 v0, v0
	v_cvt_f16_f32_e32 v1, v1
	v_pack_b32_f16 v0, v0, v1
	v_pk_mul_f16 v0, v149, v0
	v_lshl_add_u32 v1, v2, 2, 0
	ds_write_b32 v1, v0
.LBB25_700:
	s_or_b64 exec, exec, s[4:5]
	v_add_u32_e32 v0, 4, v148
	v_add_u32_e32 v124, s8, v0
	v_readlane_b32 s16, v253, 50
	v_cmp_le_i32_e32 vcc, s16, v124
	v_readlane_b32 s17, v253, 51
	v_readlane_b32 s18, v253, 52
	v_readlane_b32 s19, v253, 53
	s_and_saveexec_b64 s[4:5], vcc
	s_xor_b64 s[4:5], exec, s[4:5]
	s_cbranch_execz .LBB25_702
; %bb.701:
	s_movk_i32 s9, 0x44
	v_add_u32_e32 v0, 4, v148
	v_mad_u32_u24 v0, v0, s9, v48
	v_lshl_add_u32 v0, v0, 2, 0
	v_mov_b32_e32 v1, 0
	ds_write_b32 v0, v1
.LBB25_702:
	s_andn2_saveexec_b64 s[4:5], s[4:5]
	s_cbranch_execz .LBB25_704
; %bb.703:
	v_mad_u64_u32 v[0:1], s[14:15], v124, s95, v[48:49]
	v_ashrrev_i32_e32 v1, 31, v0
	v_lshlrev_b64 v[0:1], 3, v[0:1]
	v_mov_b32_e32 v2, s7
	v_add_co_u32_e32 v0, vcc, s6, v0
	v_addc_co_u32_e32 v1, vcc, v2, v1, vcc
	global_load_dwordx2 v[0:1], v[0:1], off
	s_movk_i32 s9, 0x44
	v_add_u32_e32 v2, 4, v148
	v_mad_u32_u24 v2, v2, s9, v48
	s_waitcnt vmcnt(0)
	v_cvt_f16_f32_e32 v0, v0
	v_cvt_f16_f32_e32 v1, v1
	v_pack_b32_f16 v0, v0, v1
	v_pk_mul_f16 v0, v149, v0
	v_lshl_add_u32 v1, v2, 2, 0
	ds_write_b32 v1, v0
.LBB25_704:
	s_or_b64 exec, exec, s[4:5]
	v_add_u32_e32 v0, 8, v148
	v_add_u32_e32 v125, s8, v0
	v_readlane_b32 s16, v253, 50
	v_cmp_le_i32_e32 vcc, s16, v125
	v_readlane_b32 s17, v253, 51
	v_readlane_b32 s18, v253, 52
	v_readlane_b32 s19, v253, 53
	s_and_saveexec_b64 s[4:5], vcc
	s_xor_b64 s[4:5], exec, s[4:5]
	s_cbranch_execz .LBB25_706
; %bb.705:
	s_movk_i32 s9, 0x44
	v_add_u32_e32 v0, 8, v148
	v_mad_u32_u24 v0, v0, s9, v48
	v_lshl_add_u32 v0, v0, 2, 0
	v_mov_b32_e32 v1, 0
	ds_write_b32 v0, v1
.LBB25_706:
	s_andn2_saveexec_b64 s[4:5], s[4:5]
	s_cbranch_execz .LBB25_708
; %bb.707:
	v_mad_u64_u32 v[0:1], s[14:15], v125, s95, v[48:49]
	v_ashrrev_i32_e32 v1, 31, v0
	v_lshlrev_b64 v[0:1], 3, v[0:1]
	v_mov_b32_e32 v2, s7
	v_add_co_u32_e32 v0, vcc, s6, v0
	v_addc_co_u32_e32 v1, vcc, v2, v1, vcc
	global_load_dwordx2 v[0:1], v[0:1], off
	s_movk_i32 s9, 0x44
	v_add_u32_e32 v2, 8, v148
	v_mad_u32_u24 v2, v2, s9, v48
	s_waitcnt vmcnt(0)
	v_cvt_f16_f32_e32 v0, v0
	v_cvt_f16_f32_e32 v1, v1
	v_pack_b32_f16 v0, v0, v1
	v_pk_mul_f16 v0, v149, v0
	v_lshl_add_u32 v1, v2, 2, 0
	ds_write_b32 v1, v0
.LBB25_708:
	;; [unrolled: 40-line block ×14, first 2 shown]
	s_or_b64 exec, exec, s[4:5]
	v_add_u32_e32 v0, 60, v148
	v_add_u32_e32 v136, s8, v0
	v_readlane_b32 s16, v253, 50
	v_cmp_le_i32_e32 vcc, s16, v136
	v_readlane_b32 s17, v253, 51
	v_readlane_b32 s18, v253, 52
	;; [unrolled: 1-line block ×3, first 2 shown]
	s_and_saveexec_b64 s[4:5], vcc
	s_xor_b64 s[4:5], exec, s[4:5]
	s_cbranch_execz .LBB25_758
; %bb.757:
	s_movk_i32 s8, 0x44
	v_add_u32_e32 v0, 60, v148
	v_mad_u32_u24 v0, v0, s8, v48
	v_lshl_add_u32 v0, v0, 2, 0
	v_mov_b32_e32 v1, 0
	ds_write_b32 v0, v1
                                        ; implicit-def: $vgpr149
.LBB25_758:
	s_andn2_saveexec_b64 s[4:5], s[4:5]
	s_cbranch_execz .LBB25_760
; %bb.759:
	v_mad_u64_u32 v[0:1], s[8:9], v136, s95, v[48:49]
	v_ashrrev_i32_e32 v1, 31, v0
	v_lshlrev_b64 v[0:1], 3, v[0:1]
	v_mov_b32_e32 v2, s7
	v_add_co_u32_e32 v0, vcc, s6, v0
	v_addc_co_u32_e32 v1, vcc, v2, v1, vcc
	global_load_dwordx2 v[0:1], v[0:1], off
	s_movk_i32 s6, 0x44
	v_add_u32_e32 v2, 60, v148
	v_mad_u32_u24 v2, v2, s6, v48
	s_waitcnt vmcnt(0)
	v_cvt_f16_f32_e32 v0, v0
	v_cvt_f16_f32_e32 v1, v1
	v_pack_b32_f16 v0, v0, v1
	v_pk_mul_f16 v0, v149, v0
	v_lshl_add_u32 v1, v2, 2, 0
	ds_write_b32 v1, v0
.LBB25_760:
	s_or_b64 exec, exec, s[4:5]
	v_readlane_b32 s6, v253, 20
	v_readlane_b32 s7, v253, 21
	s_mul_i32 s4, s10, s7
	s_mul_hi_u32 s5, s10, s6
	v_readlane_b32 s16, v253, 34
	s_add_i32 s4, s5, s4
	s_mul_i32 s5, s12, s6
	v_readlane_b32 s17, v253, 35
	v_readlane_b32 s20, v253, 38
	;; [unrolled: 1-line block ×3, first 2 shown]
	s_add_i32 s4, s4, s5
	s_mul_i32 s5, s10, s6
	s_mov_b64 s[16:17], s[20:21]
	v_readlane_b32 s18, v253, 36
	v_readlane_b32 s19, v253, 37
	s_add_u32 s5, s16, s5
	s_mov_b64 s[14:15], s[18:19]
	s_addc_u32 s4, s17, s4
	v_readlane_b32 s16, v253, 26
	v_readlane_b32 s19, v253, 29
	s_mul_i32 s6, s11, s19
	s_ashr_i32 s7, s6, 31
	v_readlane_b32 s17, v253, 27
	s_add_u32 s33, s5, s6
	s_addc_u32 s53, s4, s7
	s_mul_i32 s4, s10, s17
	s_mul_hi_u32 s5, s10, s16
	s_add_i32 s4, s5, s4
	s_mul_i32 s12, s12, s16
	v_readlane_b32 s6, v253, 24
	s_add_i32 s4, s4, s12
	s_mul_i32 s10, s10, s16
	v_readlane_b32 s7, v253, 25
	s_add_u32 s5, s14, s10
	s_mul_i32 s11, s11, s7
	s_addc_u32 s4, s15, s4
	s_ashr_i32 s6, s11, 31
	s_add_u32 s54, s5, s11
	v_lshrrev_b32_e32 v17, 3, v48
	s_addc_u32 s55, s4, s6
	s_movk_i32 s4, 0x1100
	v_and_b32_e32 v49, 15, v48
	v_and_b32_e32 v102, 0x7e, v17
	v_mad_u32_u24 v18, v148, s4, 0
	v_mul_u32_u24_e32 v149, 0x110, v49
	v_lshlrev_b32_e32 v151, 2, v102
	v_add3_u32 v0, v18, v149, v151
	s_waitcnt lgkmcnt(0)
	s_barrier
	ds_read2_b64 v[12:15], v0 offset1:4
	ds_read2_b64 v[8:11], v0 offset0:8 offset1:12
	ds_read2_b64 v[4:7], v0 offset0:16 offset1:20
	;; [unrolled: 1-line block ×3, first 2 shown]
	v_add_u32_e32 v140, -1, v16
	v_cmp_ge_i32_e32 vcc, s52, v140
	s_mov_b32 s56, 0
	s_and_b64 vcc, exec, vcc
	v_mov_b32_e32 v120, 0
	v_lshlrev_b32_e32 v138, 1, v48
	v_mbcnt_lo_u32_b32 v111, -1, 0
	v_lshrrev_b32_e32 v153, 4, v48
	v_lshlrev_b32_e32 v137, 2, v48
	v_lshrrev_b32_e32 v113, 2, v48
	v_lshl_or_b32 v115, v148, 4, v49
	v_lshl_or_b32 v114, v17, 2, 4
	v_readlane_b32 s22, v253, 40
	v_readlane_b32 s23, v253, 41
	;; [unrolled: 1-line block ×11, first 2 shown]
	s_waitcnt lgkmcnt(0)
	s_barrier
	s_cbranch_vccnz .LBB25_841
; %bb.761:
	v_mbcnt_hi_u32_b32 v51, -1, v111
	v_mov_b32_e32 v16, s45
	v_add_co_u32_e32 v142, vcc, s44, v138
	v_and_b32_e32 v52, 64, v51
	v_addc_co_u32_e32 v145, vcc, 0, v16, vcc
	v_readlane_b32 s10, v253, 15
	v_mul_i32_i24_e32 v19, 0xffffef90, v148
	v_add_u32_e32 v52, 64, v52
	v_xor_b32_e32 v53, 32, v51
	v_mul_hi_u32 v16, s10, v123
	v_add3_u32 v146, v18, v19, v138
	v_mul_hi_u32 v18, s10, v124
	v_mul_hi_u32 v20, s10, v125
	;; [unrolled: 1-line block ×15, first 2 shown]
	v_cmp_lt_i32_e32 vcc, v53, v52
	v_readlane_b32 s11, v253, 16
	v_add_u32_e32 v16, v123, v16
	v_add_u32_e32 v18, v124, v18
	;; [unrolled: 1-line block ×16, first 2 shown]
	v_cndmask_b32_e32 v53, v51, v53, vcc
	v_lshrrev_b32_e32 v16, s11, v16
	v_readlane_b32 s12, v253, 50
	v_lshrrev_b32_e32 v18, s11, v18
	v_lshrrev_b32_e32 v20, s11, v20
	;; [unrolled: 1-line block ×15, first 2 shown]
	v_lshlrev_b32_e32 v147, 2, v53
	v_xor_b32_e32 v53, 16, v51
	v_mul_lo_u32 v16, v16, s12
	v_mul_lo_u32 v18, v18, s12
	;; [unrolled: 1-line block ×16, first 2 shown]
	v_cmp_lt_i32_e32 vcc, v53, v52
	v_sub_u32_e32 v16, v123, v16
	v_sub_u32_e32 v18, v124, v18
	;; [unrolled: 1-line block ×16, first 2 shown]
	v_cndmask_b32_e32 v51, v51, v53, vcc
	s_cmp_lg_u64 s[44:45], 0
	v_mad_i64_i32 v[16:17], s[8:9], v16, s92, 0
	v_mad_i64_i32 v[18:19], s[8:9], v18, s92, 0
	;; [unrolled: 1-line block ×16, first 2 shown]
	v_lshlrev_b32_e32 v135, 2, v51
	v_lshl_add_u32 v51, v148, 2, v153
	s_cselect_b64 s[46:47], -1, 0
	v_mul_lo_u32 v86, s96, v51
	s_lshl_b32 s8, s96, 4
	v_add_u32_e32 v90, s8, v86
	v_add_u32_e32 v92, s8, v90
	;; [unrolled: 1-line block ×3, first 2 shown]
	s_movk_i32 s8, 0x90
	v_and_b32_e32 v88, 60, v137
	v_mad_u32_u24 v54, v115, s8, 0
	v_mul_lo_u32 v96, s94, v51
	s_lshl_b32 s8, s94, 4
	v_mul_u32_u24_e32 v52, 0x110, v51
	v_lshlrev_b32_e32 v53, 2, v88
	v_add_u32_e32 v98, s8, v96
	v_add3_u32 v169, 0, v52, v53
	v_lshrrev_b32_e32 v52, 2, v48
	v_add_u32_e32 v100, s8, v98
	v_and_b32_e32 v53, 0xfc, v52
	v_add_u32_e32 v104, s8, v100
	s_movk_i32 s8, 0x100
	v_lshl_add_u32 v174, v53, 1, v54
	v_add_u32_e32 v175, v54, v114
	v_cmp_gt_u32_e64 s[16:17], s8, v48
	s_movk_i32 s8, 0xc0
	v_mul_u32_u24_e32 v54, 0x88, v53
	v_cmp_gt_u32_e64 s[18:19], s8, v48
	s_movk_i32 s8, 0x80
	v_or_b32_e32 v55, v54, v49
	v_or_b32_e32 v52, 3, v52
	v_cmp_gt_u32_e64 s[26:27], s8, v48
	v_mul_u32_u24_e32 v109, 0x110, v52
	v_lshlrev_b32_e32 v52, 1, v55
	s_add_i32 s8, 0, 0x1100
	v_add_u32_e32 v178, s8, v52
	s_add_i32 s8, 0, 0x2200
	v_add_u32_e32 v179, s8, v52
	s_add_i32 s8, 0, 0x3300
	v_add_u32_e32 v180, s8, v52
	s_add_i32 s8, 0, 0x1120
	v_add_u32_e32 v182, s8, v52
	s_add_i32 s8, 0, 0x2220
	v_add_u32_e32 v183, s8, v52
	s_add_i32 s8, 0, 0x3320
	v_add_u32_e32 v184, s8, v52
	s_add_i32 s8, 0, 0x1140
	v_add_u32_e32 v186, s8, v52
	s_add_i32 s8, 0, 0x2240
	v_add_u32_e32 v187, s8, v52
	s_add_i32 s8, 0, 0x3340
	v_add_u32_e32 v188, s8, v52
	s_add_i32 s8, 0, 0x60
	v_add_u32_e32 v189, s8, v52
	s_add_i32 s8, 0, 0x1160
	v_add_u32_e32 v190, s8, v52
	s_add_i32 s8, 0, 0x2260
	v_add_u32_e32 v191, s8, v52
	s_add_i32 s8, 0, 0x3360
	v_add_u32_e32 v192, s8, v52
	s_add_i32 s8, 0, 0x80
	v_add_u32_e32 v193, s8, v52
	s_add_i32 s8, 0, 0x1180
	v_add_u32_e32 v194, s8, v52
	s_add_i32 s8, 0, 0x2280
	v_add_u32_e32 v195, s8, v52
	s_add_i32 s8, 0, 0x3380
	v_add_u32_e32 v196, s8, v52
	s_add_i32 s8, 0, 0xa0
	v_add_u32_e32 v197, s8, v52
	s_add_i32 s8, 0, 0x11a0
	v_add_u32_e32 v198, s8, v52
	s_add_i32 s8, 0, 0x22a0
	v_add_u32_e32 v199, s8, v52
	s_add_i32 s8, 0, 0x33a0
	v_add_u32_e32 v200, s8, v52
	s_add_i32 s8, 0, 0xc0
	v_add_u32_e32 v201, s8, v52
	s_add_i32 s8, 0, 0x11c0
	v_add_u32_e32 v202, s8, v52
	s_add_i32 s8, 0, 0x22c0
	v_add_u32_e32 v203, s8, v52
	s_add_i32 s8, 0, 0x33c0
	v_add_u32_e32 v204, s8, v52
	s_add_i32 s8, 0, 0xe0
	v_add_u32_e32 v205, s8, v52
	s_add_i32 s8, 0, 0x11e0
	v_readlane_b32 s13, v253, 51
	v_readlane_b32 s14, v253, 52
	;; [unrolled: 1-line block ×3, first 2 shown]
	v_add_u32_e32 v206, s8, v52
	s_add_i32 s8, 0, 0x22e0
	s_mov_b64 s[48:49], src_private_base
	v_cmp_gt_u32_e64 s[42:43], 64, v51
	v_ashrrev_i32_e32 v87, 31, v86
	v_cmp_gt_u32_e64 s[10:11], 48, v51
	v_ashrrev_i32_e32 v91, 31, v90
	;; [unrolled: 2-line block ×4, first 2 shown]
	v_add_u32_e32 v103, 32, v174
	v_add_u32_e32 v106, 64, v174
	;; [unrolled: 1-line block ×3, first 2 shown]
	v_ashrrev_i32_e32 v97, 31, v96
	v_ashrrev_i32_e32 v99, 31, v98
	;; [unrolled: 1-line block ×4, first 2 shown]
	v_lshl_add_u32 v51, v49, 1, 0
	v_mul_u32_u24_e32 v108, 0x110, v53
	v_add_u32_e32 v207, s8, v52
	s_add_i32 s8, 0, 0x33e0
	v_cmp_gt_u32_e64 s[4:5], 64, v48
	v_cmp_lt_u32_e64 s[6:7], 63, v48
	v_mov_b32_e32 v141, 0
	v_add_u32_e32 v154, 0x240, v146
	v_add_u32_e32 v155, 0x480, v146
	;; [unrolled: 1-line block ×15, first 2 shown]
	s_mov_b32 s48, 0
	v_add_u32_e32 v170, 0x1100, v169
	v_add_u32_e32 v171, 0x2200, v169
	;; [unrolled: 1-line block ×3, first 2 shown]
	v_add3_u32 v173, 0, v149, v151
	v_cmp_gt_u32_e64 s[20:21], 47, v53
	v_cmp_gt_u32_e64 s[22:23], 46, v53
	;; [unrolled: 1-line block ×9, first 2 shown]
	v_add_u32_e32 v176, 0, v52
	v_lshl_add_u32 v177, v54, 1, v51
	v_add3_u32 v181, 0, 32, v52
	v_add3_u32 v185, 0, 64, v52
	v_add_u32_e32 v208, s8, v52
	v_mov_b32_e32 v52, v50
	v_mov_b32_e32 v53, v50
	s_lshl_b32 s50, s52, 6
	v_mov_b32_e32 v143, 0xfeffffff
	v_lshlrev_b64 v[54:55], 1, v[16:17]
	v_lshlrev_b64 v[56:57], 1, v[18:19]
	;; [unrolled: 1-line block ×17, first 2 shown]
	v_lshlrev_b32_e32 v209, 2, v88
	v_lshlrev_b64 v[88:89], 2, v[90:91]
	v_lshlrev_b64 v[90:91], 2, v[92:93]
	v_lshlrev_b64 v[92:93], 2, v[94:95]
	s_mov_b32 s57, 0x3f200000
	s_mov_b32 s58, 0x3fb8aa3b
	;; [unrolled: 1-line block ×4, first 2 shown]
	v_mov_b32_e32 v210, 0xbd5c1c4e
	v_mov_b32_e32 v211, 0x3e088382
	;; [unrolled: 1-line block ×3, first 2 shown]
	s_brev_b32 s61, -2
	v_add_u32_e32 v213, 0x4400, v103
	v_add_u32_e32 v214, 0x4400, v106
	;; [unrolled: 1-line block ×3, first 2 shown]
	s_mov_b32 s62, 0xc1a00000
	v_lshlrev_b64 v[94:95], 2, v[96:97]
	v_lshlrev_b64 v[96:97], 2, v[98:99]
	;; [unrolled: 1-line block ×4, first 2 shown]
	v_add_u32_e32 v216, v51, v108
	v_add_u32_e32 v217, v51, v109
	s_mov_b32 s63, 0x5040100
	v_mov_b32_e32 v218, 0x7f800000
	v_mov_b32_e32 v139, 0
	;; [unrolled: 1-line block ×18, first 2 shown]
	s_andn2_b64 vcc, exec, s[46:47]
	s_ashr_i32 s51, s50, 31
	s_cbranch_vccnz .LBB25_771
.LBB25_762:
                                        ; implicit-def: $sgpr64
	s_and_saveexec_b64 s[8:9], s[6:7]
	s_xor_b64 s[8:9], exec, s[8:9]
	s_cbranch_execz .LBB25_764
; %bb.763:
	ds_write_b16 v146, v141 offset:17408
	ds_write_b16 v154, v141 offset:17408
	;; [unrolled: 1-line block ×4, first 2 shown]
	s_mov_b32 s64, 0
.LBB25_764:
	s_or_saveexec_b64 s[8:9], s[8:9]
	s_lshl_b64 s[66:67], s[50:51], 1
	v_mov_b32_e32 v17, s67
	v_add_co_u32_e32 v16, vcc, s66, v142
	v_addc_co_u32_e32 v17, vcc, v145, v17, vcc
	v_mov_b32_e32 v18, s64
	v_mov_b32_e32 v19, s64
	;; [unrolled: 1-line block ×4, first 2 shown]
	s_xor_b64 exec, exec, s[8:9]
	s_cbranch_execz .LBB25_766
; %bb.765:
	v_add_co_u32_e32 v18, vcc, v16, v54
	v_addc_co_u32_e32 v19, vcc, v17, v55, vcc
	v_add_co_u32_e32 v20, vcc, v16, v56
	v_addc_co_u32_e32 v21, vcc, v17, v57, vcc
	;; [unrolled: 2-line block ×3, first 2 shown]
	flat_load_ushort v28, v[18:19]
	flat_load_ushort v29, v[20:21]
	;; [unrolled: 1-line block ×3, first 2 shown]
	v_add_co_u32_e32 v18, vcc, v16, v60
	v_addc_co_u32_e32 v19, vcc, v17, v61, vcc
	v_add_co_u32_e32 v20, vcc, v16, v62
	v_addc_co_u32_e32 v21, vcc, v17, v63, vcc
	;; [unrolled: 2-line block ×4, first 2 shown]
	v_add_co_u32_e32 v26, vcc, v16, v68
	flat_load_ushort v31, v[18:19]
	v_addc_co_u32_e32 v27, vcc, v17, v69, vcc
	s_waitcnt vmcnt(0) lgkmcnt(0)
	ds_write_b16 v146, v28 offset:17408
	ds_write_b16 v154, v29 offset:17408
	;; [unrolled: 1-line block ×3, first 2 shown]
	flat_load_ushort v18, v[20:21]
	flat_load_ushort v19, v[22:23]
	s_nop 0
	flat_load_ushort v20, v[24:25]
	flat_load_ushort v21, v[26:27]
	ds_write_b16 v156, v31 offset:17408
.LBB25_766:
	s_or_b64 exec, exec, s[8:9]
	s_waitcnt vmcnt(0) lgkmcnt(0)
	ds_write_b16 v157, v18 offset:17408
	ds_write_b16 v158, v19 offset:17408
	;; [unrolled: 1-line block ×4, first 2 shown]
                                        ; implicit-def: $sgpr51
	s_and_saveexec_b64 s[8:9], s[6:7]
	s_xor_b64 s[8:9], exec, s[8:9]
	s_cbranch_execz .LBB25_768
; %bb.767:
	ds_write_b16 v161, v141 offset:17408
	ds_write_b16 v162, v141 offset:17408
	;; [unrolled: 1-line block ×4, first 2 shown]
	s_mov_b32 s51, 0
                                        ; implicit-def: $vgpr16
                                        ; implicit-def: $vgpr17
.LBB25_768:
	s_or_saveexec_b64 s[8:9], s[8:9]
	v_mov_b32_e32 v18, s51
	v_mov_b32_e32 v19, s51
	;; [unrolled: 1-line block ×4, first 2 shown]
	s_xor_b64 exec, exec, s[8:9]
	s_cbranch_execz .LBB25_770
; %bb.769:
	v_add_co_u32_e32 v18, vcc, v16, v70
	v_addc_co_u32_e32 v19, vcc, v17, v71, vcc
	v_add_co_u32_e32 v20, vcc, v16, v72
	v_addc_co_u32_e32 v21, vcc, v17, v73, vcc
	;; [unrolled: 2-line block ×8, first 2 shown]
	flat_load_ushort v32, v[18:19]
	flat_load_ushort v33, v[20:21]
	s_nop 0
	flat_load_ushort v22, v[22:23]
	s_nop 0
	flat_load_ushort v23, v[24:25]
	flat_load_ushort v18, v[26:27]
	;; [unrolled: 1-line block ×5, first 2 shown]
	s_waitcnt vmcnt(0) lgkmcnt(0)
	ds_write_b16 v161, v32 offset:17408
	ds_write_b16 v162, v33 offset:17408
	;; [unrolled: 1-line block ×4, first 2 shown]
.LBB25_770:
	s_or_b64 exec, exec, s[8:9]
	ds_write_b16 v165, v18 offset:17408
	ds_write_b16 v166, v19 offset:17408
	;; [unrolled: 1-line block ×4, first 2 shown]
.LBB25_771:                             ; =>This Inner Loop Header: Depth=1
	s_mul_hi_i32 s9, s50, s96
	s_mul_i32 s8, s50, s96
	s_lshl_b64 s[8:9], s[8:9], 2
	s_add_u32 s8, s54, s8
	s_addc_u32 s9, s55, s9
	v_mov_b32_e32 v16, s9
	v_add_co_u32_e32 v17, vcc, s8, v86
	v_addc_co_u32_e32 v16, vcc, v16, v87, vcc
	v_add_co_u32_e32 v18, vcc, v17, v209
	v_addc_co_u32_e32 v16, vcc, 0, v16, vcc
	v_mov_b32_e32 v22, s49
	v_mov_b32_e32 v23, s48
	buffer_store_dword v141, off, s[0:3], 0
	buffer_store_dword v141, off, s[0:3], 0 offset:4
	buffer_store_dword v141, off, s[0:3], 0 offset:8
	;; [unrolled: 1-line block ×3, first 2 shown]
	v_cndmask_b32_e64 v17, v22, v16, s[42:43]
	v_cndmask_b32_e64 v16, v23, v18, s[42:43]
	flat_load_dwordx4 v[16:19], v[16:17]
	v_mov_b32_e32 v20, s9
	v_add_co_u32_e32 v21, vcc, s8, v88
	v_addc_co_u32_e32 v20, vcc, v20, v89, vcc
	v_add_co_u32_e32 v21, vcc, v21, v209
	v_addc_co_u32_e32 v24, vcc, 0, v20, vcc
	v_cndmask_b32_e64 v20, v23, v21, s[10:11]
	v_cndmask_b32_e64 v21, v22, v24, s[10:11]
	v_add_u32_e32 v51, 0x1000, v173
	v_add_u32_e32 v219, 0x2000, v173
	;; [unrolled: 1-line block ×3, first 2 shown]
	s_waitcnt vmcnt(0) lgkmcnt(0)
	ds_write_b128 v169, v[16:19]
	flat_load_dwordx4 v[16:19], v[20:21]
	v_mov_b32_e32 v20, s9
	v_add_co_u32_e32 v21, vcc, s8, v90
	v_addc_co_u32_e32 v20, vcc, v20, v91, vcc
	v_add_co_u32_e32 v21, vcc, v21, v209
	v_addc_co_u32_e32 v24, vcc, 0, v20, vcc
	v_cndmask_b32_e64 v20, v23, v21, s[12:13]
	v_cndmask_b32_e64 v21, v22, v24, s[12:13]
	s_waitcnt vmcnt(0) lgkmcnt(0)
	ds_write_b128 v170, v[16:19]
	flat_load_dwordx4 v[16:19], v[20:21]
	v_mov_b32_e32 v20, s9
	v_add_co_u32_e32 v21, vcc, s8, v92
	v_addc_co_u32_e32 v20, vcc, v20, v93, vcc
	v_add_co_u32_e32 v21, vcc, v21, v209
	v_addc_co_u32_e32 v24, vcc, 0, v20, vcc
	v_cndmask_b32_e64 v20, v23, v21, s[14:15]
	v_cndmask_b32_e64 v21, v22, v24, s[14:15]
	s_waitcnt vmcnt(0) lgkmcnt(0)
	ds_write_b128 v171, v[16:19]
	flat_load_dwordx4 v[16:19], v[20:21]
	s_waitcnt vmcnt(0) lgkmcnt(0)
	ds_write_b128 v172, v[16:19]
	s_waitcnt lgkmcnt(0)
	s_barrier
	ds_read2_b64 v[16:19], v173 offset1:4
	ds_read2_b64 v[24:27], v51 offset0:32 offset1:36
	ds_read2_b64 v[32:35], v219 offset0:64 offset1:68
	;; [unrolled: 1-line block ×3, first 2 shown]
	s_waitcnt lgkmcnt(3)
	v_mfma_f32_16x16x16f16 v[20:23], v[16:17], v[12:13], 0
	s_waitcnt lgkmcnt(2)
	v_mfma_f32_16x16x16f16 v[28:31], v[24:25], v[12:13], 0
	;; [unrolled: 2-line block ×4, first 2 shown]
	v_mfma_f32_16x16x16f16 v[16:19], v[18:19], v[14:15], v[20:23]
	v_mfma_f32_16x16x16f16 v[20:23], v[26:27], v[14:15], v[28:31]
	;; [unrolled: 1-line block ×3, first 2 shown]
	ds_read2_b64 v[32:35], v173 offset0:8 offset1:12
	v_mfma_f32_16x16x16f16 v[28:31], v[42:43], v[14:15], v[44:47]
	s_nop 4
	ds_read2_b64 v[36:39], v51 offset0:40 offset1:44
	ds_read2_b64 v[40:43], v219 offset0:72 offset1:76
	;; [unrolled: 1-line block ×3, first 2 shown]
	s_waitcnt lgkmcnt(3)
	v_mfma_f32_16x16x16f16 v[16:19], v[32:33], v[8:9], v[16:19]
	s_waitcnt lgkmcnt(2)
	v_mfma_f32_16x16x16f16 v[20:23], v[36:37], v[8:9], v[20:23]
	;; [unrolled: 2-line block ×4, first 2 shown]
	v_mfma_f32_16x16x16f16 v[16:19], v[34:35], v[10:11], v[16:19]
	ds_read2_b64 v[32:35], v173 offset0:16 offset1:20
	v_mfma_f32_16x16x16f16 v[20:23], v[38:39], v[10:11], v[20:23]
	ds_read2_b64 v[36:39], v51 offset0:48 offset1:52
	;; [unrolled: 2-line block ×4, first 2 shown]
	ds_read2_b64 v[220:223], v220 offset0:120 offset1:124
	s_waitcnt lgkmcnt(4)
	v_mfma_f32_16x16x16f16 v[16:19], v[32:33], v[4:5], v[16:19]
	s_waitcnt lgkmcnt(3)
	v_mfma_f32_16x16x16f16 v[20:23], v[36:37], v[4:5], v[20:23]
	;; [unrolled: 2-line block ×4, first 2 shown]
	v_mfma_f32_16x16x16f16 v[16:19], v[34:35], v[6:7], v[16:19]
	ds_read2_b64 v[32:35], v173 offset0:24 offset1:28
	v_mfma_f32_16x16x16f16 v[20:23], v[38:39], v[6:7], v[20:23]
	ds_read2_b64 v[36:39], v51 offset0:56 offset1:60
	;; [unrolled: 2-line block ×3, first 2 shown]
	s_waitcnt lgkmcnt(0)
	s_barrier
	v_mfma_f32_16x16x16f16 v[28:31], v[46:47], v[6:7], v[28:31]
	v_mfma_f32_16x16x16f16 v[16:19], v[32:33], v[0:1], v[16:19]
	;; [unrolled: 1-line block ×6, first 2 shown]
                                        ; implicit-def: $vgpr35
	v_mfma_f32_16x16x16f16 v[24:27], v[38:39], v[2:3], v[20:23]
	s_nop 7
	s_nop 1
	v_cmp_nlt_f32_e64 s[8:9], |v16|, s57
	v_mfma_f32_16x16x16f16 v[28:31], v[42:43], v[2:3], v[44:47]
	v_mfma_f32_16x16x16f16 v[20:23], v[222:223], v[2:3], v[224:227]
	s_and_saveexec_b64 s[64:65], s[8:9]
	s_xor_b64 s[8:9], exec, s[64:65]
	s_cbranch_execz .LBB25_773
; %bb.772:                              ;   in Loop: Header=BB25_771 Depth=1
	v_add_f32_e64 v32, |v16|, |v16|
	v_mul_f32_e32 v33, 0x3fb8aa3b, v32
	v_rndne_f32_e32 v34, v33
	v_sub_f32_e32 v35, v33, v34
	v_fma_f32 v33, v32, s58, -v33
	v_fmac_f32_e32 v33, 0x32a5705f, v32
	v_add_f32_e32 v33, v35, v33
	v_cvt_i32_f32_e32 v34, v34
	v_exp_f32_e32 v33, v33
	v_cmp_ngt_f32_e32 vcc, s59, v32
	v_ldexp_f32 v33, v33, v34
	v_cndmask_b32_e32 v33, 0, v33, vcc
	v_cmp_nlt_f32_e32 vcc, s60, v32
	v_cndmask_b32_e32 v32, v218, v33, vcc
	v_add_f32_e32 v32, 1.0, v32
	v_rcp_f32_e32 v32, v32
	v_fma_f32 v35, v32, -2.0, 1.0
.LBB25_773:                             ;   in Loop: Header=BB25_771 Depth=1
	s_andn2_saveexec_b64 s[8:9], s[8:9]
; %bb.774:                              ;   in Loop: Header=BB25_771 Depth=1
	v_mul_f32_e32 v32, v16, v16
	v_mov_b32_e32 v33, 0x3ca908c9
	v_fmac_f32_e32 v33, 0xbbbac73d, v32
	v_fma_f32 v33, v32, v33, v210
	v_fma_f32 v33, v32, v33, v211
	;; [unrolled: 1-line block ×3, first 2 shown]
	v_mul_f32_e64 v33, |v16|, v33
	v_fma_f32 v35, v32, v33, |v16|
; %bb.775:                              ;   in Loop: Header=BB25_771 Depth=1
	s_or_b64 exec, exec, s[8:9]
	v_cmp_nlt_f32_e64 s[8:9], |v17|, s57
                                        ; implicit-def: $vgpr45
	s_and_saveexec_b64 s[64:65], s[8:9]
	s_xor_b64 s[8:9], exec, s[64:65]
	s_cbranch_execz .LBB25_777
; %bb.776:                              ;   in Loop: Header=BB25_771 Depth=1
	v_add_f32_e64 v32, |v17|, |v17|
	v_mul_f32_e32 v33, 0x3fb8aa3b, v32
	v_rndne_f32_e32 v34, v33
	v_sub_f32_e32 v36, v33, v34
	v_fma_f32 v33, v32, s58, -v33
	v_fmac_f32_e32 v33, 0x32a5705f, v32
	v_add_f32_e32 v33, v36, v33
	v_cvt_i32_f32_e32 v34, v34
	v_exp_f32_e32 v33, v33
	v_cmp_ngt_f32_e32 vcc, s59, v32
	v_ldexp_f32 v33, v33, v34
	v_cndmask_b32_e32 v33, 0, v33, vcc
	v_cmp_nlt_f32_e32 vcc, s60, v32
	v_cndmask_b32_e32 v32, v218, v33, vcc
	v_add_f32_e32 v32, 1.0, v32
	v_rcp_f32_e32 v32, v32
	v_fma_f32 v45, v32, -2.0, 1.0
.LBB25_777:                             ;   in Loop: Header=BB25_771 Depth=1
	s_andn2_saveexec_b64 s[8:9], s[8:9]
; %bb.778:                              ;   in Loop: Header=BB25_771 Depth=1
	v_mul_f32_e32 v32, v17, v17
	v_mov_b32_e32 v33, 0x3ca908c9
	v_fmac_f32_e32 v33, 0xbbbac73d, v32
	v_fma_f32 v33, v32, v33, v210
	v_fma_f32 v33, v32, v33, v211
	;; [unrolled: 1-line block ×3, first 2 shown]
	v_mul_f32_e64 v33, |v17|, v33
	v_fma_f32 v45, v32, v33, |v17|
; %bb.779:                              ;   in Loop: Header=BB25_771 Depth=1
	s_or_b64 exec, exec, s[8:9]
	v_cmp_nlt_f32_e64 s[8:9], |v18|, s57
                                        ; implicit-def: $vgpr46
	s_and_saveexec_b64 s[64:65], s[8:9]
	s_xor_b64 s[8:9], exec, s[64:65]
	s_cbranch_execz .LBB25_781
; %bb.780:                              ;   in Loop: Header=BB25_771 Depth=1
	v_add_f32_e64 v32, |v18|, |v18|
	v_mul_f32_e32 v33, 0x3fb8aa3b, v32
	v_rndne_f32_e32 v34, v33
	v_sub_f32_e32 v36, v33, v34
	v_fma_f32 v33, v32, s58, -v33
	v_fmac_f32_e32 v33, 0x32a5705f, v32
	v_add_f32_e32 v33, v36, v33
	v_cvt_i32_f32_e32 v34, v34
	v_exp_f32_e32 v33, v33
	v_cmp_ngt_f32_e32 vcc, s59, v32
	v_ldexp_f32 v33, v33, v34
	v_cndmask_b32_e32 v33, 0, v33, vcc
	v_cmp_nlt_f32_e32 vcc, s60, v32
	v_cndmask_b32_e32 v32, v218, v33, vcc
	v_add_f32_e32 v32, 1.0, v32
	v_rcp_f32_e32 v32, v32
	v_fma_f32 v46, v32, -2.0, 1.0
.LBB25_781:                             ;   in Loop: Header=BB25_771 Depth=1
	s_andn2_saveexec_b64 s[8:9], s[8:9]
; %bb.782:                              ;   in Loop: Header=BB25_771 Depth=1
	v_mul_f32_e32 v32, v18, v18
	v_mov_b32_e32 v33, 0x3ca908c9
	v_fmac_f32_e32 v33, 0xbbbac73d, v32
	v_fma_f32 v33, v32, v33, v210
	v_fma_f32 v33, v32, v33, v211
	;; [unrolled: 1-line block ×3, first 2 shown]
	v_mul_f32_e64 v33, |v18|, v33
	v_fma_f32 v46, v32, v33, |v18|
; %bb.783:                              ;   in Loop: Header=BB25_771 Depth=1
	s_or_b64 exec, exec, s[8:9]
	v_cmp_nlt_f32_e64 s[8:9], |v19|, s57
                                        ; implicit-def: $vgpr47
	s_and_saveexec_b64 s[64:65], s[8:9]
	s_xor_b64 s[8:9], exec, s[64:65]
	s_cbranch_execz .LBB25_785
; %bb.784:                              ;   in Loop: Header=BB25_771 Depth=1
	v_add_f32_e64 v32, |v19|, |v19|
	v_mul_f32_e32 v33, 0x3fb8aa3b, v32
	v_rndne_f32_e32 v34, v33
	v_sub_f32_e32 v36, v33, v34
	v_fma_f32 v33, v32, s58, -v33
	v_fmac_f32_e32 v33, 0x32a5705f, v32
	v_add_f32_e32 v33, v36, v33
	v_cvt_i32_f32_e32 v34, v34
	v_exp_f32_e32 v33, v33
	v_cmp_ngt_f32_e32 vcc, s59, v32
	v_ldexp_f32 v33, v33, v34
	v_cndmask_b32_e32 v33, 0, v33, vcc
	v_cmp_nlt_f32_e32 vcc, s60, v32
	v_cndmask_b32_e32 v32, v218, v33, vcc
	v_add_f32_e32 v32, 1.0, v32
	v_rcp_f32_e32 v32, v32
	v_fma_f32 v47, v32, -2.0, 1.0
.LBB25_785:                             ;   in Loop: Header=BB25_771 Depth=1
	s_andn2_saveexec_b64 s[8:9], s[8:9]
; %bb.786:                              ;   in Loop: Header=BB25_771 Depth=1
	v_mul_f32_e32 v32, v19, v19
	v_mov_b32_e32 v33, 0x3ca908c9
	v_fmac_f32_e32 v33, 0xbbbac73d, v32
	v_fma_f32 v33, v32, v33, v210
	v_fma_f32 v33, v32, v33, v211
	;; [unrolled: 1-line block ×3, first 2 shown]
	v_mul_f32_e64 v33, |v19|, v33
	v_fma_f32 v47, v32, v33, |v19|
; %bb.787:                              ;   in Loop: Header=BB25_771 Depth=1
	s_or_b64 exec, exec, s[8:9]
	v_cmp_nlt_f32_e64 s[8:9], |v24|, s57
                                        ; implicit-def: $vgpr40
	s_and_saveexec_b64 s[64:65], s[8:9]
	s_xor_b64 s[8:9], exec, s[64:65]
	s_cbranch_execz .LBB25_789
; %bb.788:                              ;   in Loop: Header=BB25_771 Depth=1
	v_add_f32_e64 v32, |v24|, |v24|
	v_mul_f32_e32 v33, 0x3fb8aa3b, v32
	v_rndne_f32_e32 v34, v33
	v_sub_f32_e32 v36, v33, v34
	v_fma_f32 v33, v32, s58, -v33
	v_fmac_f32_e32 v33, 0x32a5705f, v32
	v_add_f32_e32 v33, v36, v33
	v_cvt_i32_f32_e32 v34, v34
	v_exp_f32_e32 v33, v33
	v_cmp_ngt_f32_e32 vcc, s59, v32
	v_ldexp_f32 v33, v33, v34
	v_cndmask_b32_e32 v33, 0, v33, vcc
	v_cmp_nlt_f32_e32 vcc, s60, v32
	v_cndmask_b32_e32 v32, v218, v33, vcc
	v_add_f32_e32 v32, 1.0, v32
	v_rcp_f32_e32 v32, v32
	v_fma_f32 v40, v32, -2.0, 1.0
.LBB25_789:                             ;   in Loop: Header=BB25_771 Depth=1
	s_andn2_saveexec_b64 s[8:9], s[8:9]
; %bb.790:                              ;   in Loop: Header=BB25_771 Depth=1
	v_mul_f32_e32 v32, v24, v24
	v_mov_b32_e32 v33, 0x3ca908c9
	v_fmac_f32_e32 v33, 0xbbbac73d, v32
	v_fma_f32 v33, v32, v33, v210
	v_fma_f32 v33, v32, v33, v211
	;; [unrolled: 1-line block ×3, first 2 shown]
	v_mul_f32_e64 v33, |v24|, v33
	v_fma_f32 v40, v32, v33, |v24|
; %bb.791:                              ;   in Loop: Header=BB25_771 Depth=1
	s_or_b64 exec, exec, s[8:9]
	v_cmp_nlt_f32_e64 s[8:9], |v25|, s57
                                        ; implicit-def: $vgpr41
	s_and_saveexec_b64 s[64:65], s[8:9]
	s_xor_b64 s[8:9], exec, s[64:65]
	s_cbranch_execz .LBB25_793
; %bb.792:                              ;   in Loop: Header=BB25_771 Depth=1
	v_add_f32_e64 v32, |v25|, |v25|
	v_mul_f32_e32 v33, 0x3fb8aa3b, v32
	v_rndne_f32_e32 v34, v33
	v_sub_f32_e32 v36, v33, v34
	v_fma_f32 v33, v32, s58, -v33
	v_fmac_f32_e32 v33, 0x32a5705f, v32
	v_add_f32_e32 v33, v36, v33
	v_cvt_i32_f32_e32 v34, v34
	v_exp_f32_e32 v33, v33
	v_cmp_ngt_f32_e32 vcc, s59, v32
	v_ldexp_f32 v33, v33, v34
	v_cndmask_b32_e32 v33, 0, v33, vcc
	v_cmp_nlt_f32_e32 vcc, s60, v32
	v_cndmask_b32_e32 v32, v218, v33, vcc
	v_add_f32_e32 v32, 1.0, v32
	v_rcp_f32_e32 v32, v32
	v_fma_f32 v41, v32, -2.0, 1.0
.LBB25_793:                             ;   in Loop: Header=BB25_771 Depth=1
	s_andn2_saveexec_b64 s[8:9], s[8:9]
; %bb.794:                              ;   in Loop: Header=BB25_771 Depth=1
	v_mul_f32_e32 v32, v25, v25
	v_mov_b32_e32 v33, 0x3ca908c9
	v_fmac_f32_e32 v33, 0xbbbac73d, v32
	v_fma_f32 v33, v32, v33, v210
	v_fma_f32 v33, v32, v33, v211
	;; [unrolled: 1-line block ×3, first 2 shown]
	v_mul_f32_e64 v33, |v25|, v33
	v_fma_f32 v41, v32, v33, |v25|
; %bb.795:                              ;   in Loop: Header=BB25_771 Depth=1
	s_or_b64 exec, exec, s[8:9]
	v_cmp_nlt_f32_e64 s[8:9], |v26|, s57
                                        ; implicit-def: $vgpr42
	s_and_saveexec_b64 s[64:65], s[8:9]
	s_xor_b64 s[8:9], exec, s[64:65]
	s_cbranch_execz .LBB25_797
; %bb.796:                              ;   in Loop: Header=BB25_771 Depth=1
	v_add_f32_e64 v32, |v26|, |v26|
	v_mul_f32_e32 v33, 0x3fb8aa3b, v32
	v_rndne_f32_e32 v34, v33
	v_sub_f32_e32 v36, v33, v34
	v_fma_f32 v33, v32, s58, -v33
	v_fmac_f32_e32 v33, 0x32a5705f, v32
	v_add_f32_e32 v33, v36, v33
	v_cvt_i32_f32_e32 v34, v34
	v_exp_f32_e32 v33, v33
	v_cmp_ngt_f32_e32 vcc, s59, v32
	v_ldexp_f32 v33, v33, v34
	v_cndmask_b32_e32 v33, 0, v33, vcc
	v_cmp_nlt_f32_e32 vcc, s60, v32
	v_cndmask_b32_e32 v32, v218, v33, vcc
	v_add_f32_e32 v32, 1.0, v32
	v_rcp_f32_e32 v32, v32
	v_fma_f32 v42, v32, -2.0, 1.0
.LBB25_797:                             ;   in Loop: Header=BB25_771 Depth=1
	s_andn2_saveexec_b64 s[8:9], s[8:9]
; %bb.798:                              ;   in Loop: Header=BB25_771 Depth=1
	v_mul_f32_e32 v32, v26, v26
	v_mov_b32_e32 v33, 0x3ca908c9
	v_fmac_f32_e32 v33, 0xbbbac73d, v32
	v_fma_f32 v33, v32, v33, v210
	v_fma_f32 v33, v32, v33, v211
	;; [unrolled: 1-line block ×3, first 2 shown]
	v_mul_f32_e64 v33, |v26|, v33
	v_fma_f32 v42, v32, v33, |v26|
; %bb.799:                              ;   in Loop: Header=BB25_771 Depth=1
	s_or_b64 exec, exec, s[8:9]
	v_cmp_nlt_f32_e64 s[8:9], |v27|, s57
                                        ; implicit-def: $vgpr43
	s_and_saveexec_b64 s[64:65], s[8:9]
	s_xor_b64 s[8:9], exec, s[64:65]
	s_cbranch_execz .LBB25_801
; %bb.800:                              ;   in Loop: Header=BB25_771 Depth=1
	v_add_f32_e64 v32, |v27|, |v27|
	v_mul_f32_e32 v33, 0x3fb8aa3b, v32
	v_rndne_f32_e32 v34, v33
	v_sub_f32_e32 v36, v33, v34
	v_fma_f32 v33, v32, s58, -v33
	v_fmac_f32_e32 v33, 0x32a5705f, v32
	v_add_f32_e32 v33, v36, v33
	v_cvt_i32_f32_e32 v34, v34
	v_exp_f32_e32 v33, v33
	v_cmp_ngt_f32_e32 vcc, s59, v32
	v_ldexp_f32 v33, v33, v34
	v_cndmask_b32_e32 v33, 0, v33, vcc
	v_cmp_nlt_f32_e32 vcc, s60, v32
	v_cndmask_b32_e32 v32, v218, v33, vcc
	v_add_f32_e32 v32, 1.0, v32
	v_rcp_f32_e32 v32, v32
	v_fma_f32 v43, v32, -2.0, 1.0
.LBB25_801:                             ;   in Loop: Header=BB25_771 Depth=1
	s_andn2_saveexec_b64 s[8:9], s[8:9]
; %bb.802:                              ;   in Loop: Header=BB25_771 Depth=1
	v_mul_f32_e32 v32, v27, v27
	v_mov_b32_e32 v33, 0x3ca908c9
	v_fmac_f32_e32 v33, 0xbbbac73d, v32
	v_fma_f32 v33, v32, v33, v210
	v_fma_f32 v33, v32, v33, v211
	;; [unrolled: 1-line block ×3, first 2 shown]
	v_mul_f32_e64 v33, |v27|, v33
	v_fma_f32 v43, v32, v33, |v27|
; %bb.803:                              ;   in Loop: Header=BB25_771 Depth=1
	s_or_b64 exec, exec, s[8:9]
	v_cmp_nlt_f32_e64 s[8:9], |v28|, s57
                                        ; implicit-def: $vgpr36
	s_and_saveexec_b64 s[64:65], s[8:9]
	s_xor_b64 s[8:9], exec, s[64:65]
	s_cbranch_execz .LBB25_805
; %bb.804:                              ;   in Loop: Header=BB25_771 Depth=1
	v_add_f32_e64 v32, |v28|, |v28|
	v_mul_f32_e32 v33, 0x3fb8aa3b, v32
	v_rndne_f32_e32 v34, v33
	v_sub_f32_e32 v36, v33, v34
	v_fma_f32 v33, v32, s58, -v33
	v_fmac_f32_e32 v33, 0x32a5705f, v32
	v_add_f32_e32 v33, v36, v33
	v_cvt_i32_f32_e32 v34, v34
	v_exp_f32_e32 v33, v33
	v_cmp_ngt_f32_e32 vcc, s59, v32
	v_ldexp_f32 v33, v33, v34
	v_cndmask_b32_e32 v33, 0, v33, vcc
	v_cmp_nlt_f32_e32 vcc, s60, v32
	v_cndmask_b32_e32 v32, v218, v33, vcc
	v_add_f32_e32 v32, 1.0, v32
	v_rcp_f32_e32 v32, v32
	v_fma_f32 v36, v32, -2.0, 1.0
.LBB25_805:                             ;   in Loop: Header=BB25_771 Depth=1
	s_andn2_saveexec_b64 s[8:9], s[8:9]
; %bb.806:                              ;   in Loop: Header=BB25_771 Depth=1
	v_mul_f32_e32 v32, v28, v28
	v_mov_b32_e32 v33, 0x3ca908c9
	v_fmac_f32_e32 v33, 0xbbbac73d, v32
	v_fma_f32 v33, v32, v33, v210
	v_fma_f32 v33, v32, v33, v211
	;; [unrolled: 1-line block ×3, first 2 shown]
	v_mul_f32_e64 v33, |v28|, v33
	v_fma_f32 v36, v32, v33, |v28|
; %bb.807:                              ;   in Loop: Header=BB25_771 Depth=1
	s_or_b64 exec, exec, s[8:9]
	v_cmp_nlt_f32_e64 s[8:9], |v29|, s57
                                        ; implicit-def: $vgpr37
	s_and_saveexec_b64 s[64:65], s[8:9]
	s_xor_b64 s[8:9], exec, s[64:65]
	s_cbranch_execz .LBB25_809
; %bb.808:                              ;   in Loop: Header=BB25_771 Depth=1
	v_add_f32_e64 v32, |v29|, |v29|
	v_mul_f32_e32 v33, 0x3fb8aa3b, v32
	v_rndne_f32_e32 v34, v33
	v_sub_f32_e32 v37, v33, v34
	v_fma_f32 v33, v32, s58, -v33
	v_fmac_f32_e32 v33, 0x32a5705f, v32
	v_add_f32_e32 v33, v37, v33
	v_cvt_i32_f32_e32 v34, v34
	v_exp_f32_e32 v33, v33
	v_cmp_ngt_f32_e32 vcc, s59, v32
	v_ldexp_f32 v33, v33, v34
	v_cndmask_b32_e32 v33, 0, v33, vcc
	v_cmp_nlt_f32_e32 vcc, s60, v32
	v_cndmask_b32_e32 v32, v218, v33, vcc
	v_add_f32_e32 v32, 1.0, v32
	v_rcp_f32_e32 v32, v32
	v_fma_f32 v37, v32, -2.0, 1.0
.LBB25_809:                             ;   in Loop: Header=BB25_771 Depth=1
	s_andn2_saveexec_b64 s[8:9], s[8:9]
; %bb.810:                              ;   in Loop: Header=BB25_771 Depth=1
	v_mul_f32_e32 v32, v29, v29
	v_mov_b32_e32 v33, 0x3ca908c9
	v_fmac_f32_e32 v33, 0xbbbac73d, v32
	v_fma_f32 v33, v32, v33, v210
	v_fma_f32 v33, v32, v33, v211
	;; [unrolled: 1-line block ×3, first 2 shown]
	v_mul_f32_e64 v33, |v29|, v33
	v_fma_f32 v37, v32, v33, |v29|
; %bb.811:                              ;   in Loop: Header=BB25_771 Depth=1
	s_or_b64 exec, exec, s[8:9]
	v_cmp_nlt_f32_e64 s[8:9], |v30|, s57
                                        ; implicit-def: $vgpr38
	s_and_saveexec_b64 s[64:65], s[8:9]
	s_xor_b64 s[8:9], exec, s[64:65]
	s_cbranch_execz .LBB25_813
; %bb.812:                              ;   in Loop: Header=BB25_771 Depth=1
	v_add_f32_e64 v32, |v30|, |v30|
	v_mul_f32_e32 v33, 0x3fb8aa3b, v32
	v_rndne_f32_e32 v34, v33
	v_sub_f32_e32 v38, v33, v34
	v_fma_f32 v33, v32, s58, -v33
	v_fmac_f32_e32 v33, 0x32a5705f, v32
	v_add_f32_e32 v33, v38, v33
	v_cvt_i32_f32_e32 v34, v34
	v_exp_f32_e32 v33, v33
	v_cmp_ngt_f32_e32 vcc, s59, v32
	v_ldexp_f32 v33, v33, v34
	v_cndmask_b32_e32 v33, 0, v33, vcc
	v_cmp_nlt_f32_e32 vcc, s60, v32
	v_cndmask_b32_e32 v32, v218, v33, vcc
	v_add_f32_e32 v32, 1.0, v32
	v_rcp_f32_e32 v32, v32
	v_fma_f32 v38, v32, -2.0, 1.0
.LBB25_813:                             ;   in Loop: Header=BB25_771 Depth=1
	s_andn2_saveexec_b64 s[8:9], s[8:9]
; %bb.814:                              ;   in Loop: Header=BB25_771 Depth=1
	v_mul_f32_e32 v32, v30, v30
	v_mov_b32_e32 v33, 0x3ca908c9
	v_fmac_f32_e32 v33, 0xbbbac73d, v32
	v_fma_f32 v33, v32, v33, v210
	v_fma_f32 v33, v32, v33, v211
	;; [unrolled: 1-line block ×3, first 2 shown]
	v_mul_f32_e64 v33, |v30|, v33
	v_fma_f32 v38, v32, v33, |v30|
; %bb.815:                              ;   in Loop: Header=BB25_771 Depth=1
	s_or_b64 exec, exec, s[8:9]
	v_cmp_nlt_f32_e64 s[8:9], |v31|, s57
                                        ; implicit-def: $vgpr39
	s_and_saveexec_b64 s[64:65], s[8:9]
	s_xor_b64 s[8:9], exec, s[64:65]
	s_cbranch_execz .LBB25_817
; %bb.816:                              ;   in Loop: Header=BB25_771 Depth=1
	v_add_f32_e64 v32, |v31|, |v31|
	v_mul_f32_e32 v33, 0x3fb8aa3b, v32
	v_rndne_f32_e32 v34, v33
	v_sub_f32_e32 v39, v33, v34
	v_fma_f32 v33, v32, s58, -v33
	v_fmac_f32_e32 v33, 0x32a5705f, v32
	v_add_f32_e32 v33, v39, v33
	v_cvt_i32_f32_e32 v34, v34
	v_exp_f32_e32 v33, v33
	v_cmp_ngt_f32_e32 vcc, s59, v32
	v_ldexp_f32 v33, v33, v34
	v_cndmask_b32_e32 v33, 0, v33, vcc
	v_cmp_nlt_f32_e32 vcc, s60, v32
	v_cndmask_b32_e32 v32, v218, v33, vcc
	v_add_f32_e32 v32, 1.0, v32
	v_rcp_f32_e32 v32, v32
	v_fma_f32 v39, v32, -2.0, 1.0
.LBB25_817:                             ;   in Loop: Header=BB25_771 Depth=1
	s_andn2_saveexec_b64 s[8:9], s[8:9]
; %bb.818:                              ;   in Loop: Header=BB25_771 Depth=1
	v_mul_f32_e32 v32, v31, v31
	v_mov_b32_e32 v33, 0x3ca908c9
	v_fmac_f32_e32 v33, 0xbbbac73d, v32
	v_fma_f32 v33, v32, v33, v210
	v_fma_f32 v33, v32, v33, v211
	;; [unrolled: 1-line block ×3, first 2 shown]
	v_mul_f32_e64 v33, |v31|, v33
	v_fma_f32 v39, v32, v33, |v31|
; %bb.819:                              ;   in Loop: Header=BB25_771 Depth=1
	s_or_b64 exec, exec, s[8:9]
	v_cmp_nlt_f32_e64 s[8:9], |v20|, s57
                                        ; implicit-def: $vgpr32
	s_and_saveexec_b64 s[64:65], s[8:9]
	s_xor_b64 s[8:9], exec, s[64:65]
	s_cbranch_execz .LBB25_821
; %bb.820:                              ;   in Loop: Header=BB25_771 Depth=1
	v_add_f32_e64 v32, |v20|, |v20|
	v_mul_f32_e32 v33, 0x3fb8aa3b, v32
	v_rndne_f32_e32 v34, v33
	v_sub_f32_e32 v44, v33, v34
	v_fma_f32 v33, v32, s58, -v33
	v_fmac_f32_e32 v33, 0x32a5705f, v32
	v_add_f32_e32 v33, v44, v33
	v_cvt_i32_f32_e32 v34, v34
	v_exp_f32_e32 v33, v33
	v_cmp_ngt_f32_e32 vcc, s59, v32
	v_ldexp_f32 v33, v33, v34
	v_cndmask_b32_e32 v33, 0, v33, vcc
	v_cmp_nlt_f32_e32 vcc, s60, v32
	v_cndmask_b32_e32 v32, v218, v33, vcc
	v_add_f32_e32 v32, 1.0, v32
	v_rcp_f32_e32 v32, v32
	v_fma_f32 v32, v32, -2.0, 1.0
.LBB25_821:                             ;   in Loop: Header=BB25_771 Depth=1
	s_andn2_saveexec_b64 s[8:9], s[8:9]
; %bb.822:                              ;   in Loop: Header=BB25_771 Depth=1
	v_mul_f32_e32 v32, v20, v20
	v_mov_b32_e32 v33, 0x3ca908c9
	v_fmac_f32_e32 v33, 0xbbbac73d, v32
	v_fma_f32 v33, v32, v33, v210
	v_fma_f32 v33, v32, v33, v211
	;; [unrolled: 1-line block ×3, first 2 shown]
	v_mul_f32_e64 v33, |v20|, v33
	v_fma_f32 v32, v32, v33, |v20|
; %bb.823:                              ;   in Loop: Header=BB25_771 Depth=1
	s_or_b64 exec, exec, s[8:9]
	v_cmp_nlt_f32_e64 s[8:9], |v21|, s57
                                        ; implicit-def: $vgpr33
	s_and_saveexec_b64 s[64:65], s[8:9]
	s_xor_b64 s[8:9], exec, s[64:65]
	s_cbranch_execz .LBB25_825
; %bb.824:                              ;   in Loop: Header=BB25_771 Depth=1
	v_add_f32_e64 v33, |v21|, |v21|
	v_mul_f32_e32 v34, 0x3fb8aa3b, v33
	v_rndne_f32_e32 v44, v34
	v_sub_f32_e32 v51, v34, v44
	v_fma_f32 v34, v33, s58, -v34
	v_fmac_f32_e32 v34, 0x32a5705f, v33
	v_add_f32_e32 v34, v51, v34
	v_cvt_i32_f32_e32 v44, v44
	v_exp_f32_e32 v34, v34
	v_cmp_ngt_f32_e32 vcc, s59, v33
	v_ldexp_f32 v34, v34, v44
	v_cndmask_b32_e32 v34, 0, v34, vcc
	v_cmp_nlt_f32_e32 vcc, s60, v33
	v_cndmask_b32_e32 v33, v218, v34, vcc
	v_add_f32_e32 v33, 1.0, v33
	v_rcp_f32_e32 v33, v33
	v_fma_f32 v33, v33, -2.0, 1.0
.LBB25_825:                             ;   in Loop: Header=BB25_771 Depth=1
	s_andn2_saveexec_b64 s[8:9], s[8:9]
; %bb.826:                              ;   in Loop: Header=BB25_771 Depth=1
	v_mul_f32_e32 v33, v21, v21
	v_mov_b32_e32 v34, 0x3ca908c9
	v_fmac_f32_e32 v34, 0xbbbac73d, v33
	v_fma_f32 v34, v33, v34, v210
	v_fma_f32 v34, v33, v34, v211
	;; [unrolled: 1-line block ×3, first 2 shown]
	v_mul_f32_e64 v34, |v21|, v34
	v_fma_f32 v33, v33, v34, |v21|
; %bb.827:                              ;   in Loop: Header=BB25_771 Depth=1
	s_or_b64 exec, exec, s[8:9]
	v_cmp_nlt_f32_e64 s[8:9], |v22|, s57
                                        ; implicit-def: $vgpr34
	s_and_saveexec_b64 s[64:65], s[8:9]
	s_xor_b64 s[8:9], exec, s[64:65]
	s_cbranch_execz .LBB25_829
; %bb.828:                              ;   in Loop: Header=BB25_771 Depth=1
	v_add_f32_e64 v34, |v22|, |v22|
	v_mul_f32_e32 v44, 0x3fb8aa3b, v34
	v_rndne_f32_e32 v51, v44
	v_sub_f32_e32 v219, v44, v51
	v_fma_f32 v44, v34, s58, -v44
	v_fmac_f32_e32 v44, 0x32a5705f, v34
	v_add_f32_e32 v44, v219, v44
	v_cvt_i32_f32_e32 v51, v51
	v_exp_f32_e32 v44, v44
	v_cmp_ngt_f32_e32 vcc, s59, v34
	v_ldexp_f32 v44, v44, v51
	v_cndmask_b32_e32 v44, 0, v44, vcc
	v_cmp_nlt_f32_e32 vcc, s60, v34
	v_cndmask_b32_e32 v34, v218, v44, vcc
	v_add_f32_e32 v34, 1.0, v34
	v_rcp_f32_e32 v34, v34
	v_fma_f32 v34, v34, -2.0, 1.0
.LBB25_829:                             ;   in Loop: Header=BB25_771 Depth=1
	s_andn2_saveexec_b64 s[8:9], s[8:9]
; %bb.830:                              ;   in Loop: Header=BB25_771 Depth=1
	v_mul_f32_e32 v34, v22, v22
	v_mov_b32_e32 v44, 0x3ca908c9
	v_fmac_f32_e32 v44, 0xbbbac73d, v34
	v_fma_f32 v44, v34, v44, v210
	v_fma_f32 v44, v34, v44, v211
	;; [unrolled: 1-line block ×3, first 2 shown]
	v_mul_f32_e64 v44, |v22|, v44
	v_fma_f32 v34, v34, v44, |v22|
; %bb.831:                              ;   in Loop: Header=BB25_771 Depth=1
	s_or_b64 exec, exec, s[8:9]
	v_cmp_nlt_f32_e64 s[8:9], |v23|, s57
                                        ; implicit-def: $vgpr51
	s_and_saveexec_b64 s[64:65], s[8:9]
	s_xor_b64 s[8:9], exec, s[64:65]
	s_cbranch_execz .LBB25_833
; %bb.832:                              ;   in Loop: Header=BB25_771 Depth=1
	v_add_f32_e64 v44, |v23|, |v23|
	v_mul_f32_e32 v51, 0x3fb8aa3b, v44
	v_rndne_f32_e32 v219, v51
	v_sub_f32_e32 v220, v51, v219
	v_fma_f32 v51, v44, s58, -v51
	v_fmac_f32_e32 v51, 0x32a5705f, v44
	v_add_f32_e32 v51, v220, v51
	v_cvt_i32_f32_e32 v219, v219
	v_exp_f32_e32 v51, v51
	v_cmp_ngt_f32_e32 vcc, s59, v44
	v_ldexp_f32 v51, v51, v219
	v_cndmask_b32_e32 v51, 0, v51, vcc
	v_cmp_nlt_f32_e32 vcc, s60, v44
	v_cndmask_b32_e32 v44, v218, v51, vcc
	v_add_f32_e32 v44, 1.0, v44
	v_rcp_f32_e32 v44, v44
	v_fma_f32 v51, v44, -2.0, 1.0
.LBB25_833:                             ;   in Loop: Header=BB25_771 Depth=1
	s_andn2_saveexec_b64 s[8:9], s[8:9]
; %bb.834:                              ;   in Loop: Header=BB25_771 Depth=1
	v_mul_f32_e32 v44, v23, v23
	v_mov_b32_e32 v51, 0x3ca908c9
	v_fmac_f32_e32 v51, 0xbbbac73d, v44
	v_fma_f32 v51, v44, v51, v210
	v_fma_f32 v51, v44, v51, v211
	;; [unrolled: 1-line block ×3, first 2 shown]
	v_mul_f32_e64 v51, |v23|, v51
	v_fma_f32 v51, v44, v51, |v23|
; %bb.835:                              ;   in Loop: Header=BB25_771 Depth=1
	s_or_b64 exec, exec, s[8:9]
	v_bfi_b32 v20, s61, v32, v20
	v_mul_f32_e32 v32, s73, v20
	v_bfi_b32 v20, s61, v33, v21
	v_mul_f32_e32 v33, s73, v20
	;; [unrolled: 2-line block ×6, first 2 shown]
	v_bfi_b32 v20, s61, v39, v31
	v_bfi_b32 v16, s61, v35, v16
	v_mul_f32_e32 v39, s73, v20
	v_bfi_b32 v20, s61, v40, v24
	v_mul_f32_e32 v44, s73, v16
	;; [unrolled: 2-line block ×9, first 2 shown]
	v_mul_f32_e32 v35, s73, v16
	s_and_b64 vcc, exec, s[46:47]
	s_cbranch_vccz .LBB25_840
; %bb.836:                              ;   in Loop: Header=BB25_771 Depth=1
	ds_read_b32 v20, v174 offset:17408
	ds_read_b32 v22, v175 offset:17408
	ds_read2_b32 v[16:17], v213 offset1:1
	ds_read2_b32 v[18:19], v214 offset1:1
	v_mov_b32_e32 v51, v50
	s_waitcnt lgkmcnt(3)
	v_cvt_f32_f16_sdwa v21, v20 dst_sel:DWORD dst_unused:UNUSED_PAD src0_sel:WORD_1
	v_cvt_f32_f16_e32 v20, v20
	s_waitcnt lgkmcnt(1)
	v_cvt_f32_f16_e32 v24, v16
	v_cvt_f32_f16_e32 v26, v17
	v_cvt_f32_f16_sdwa v27, v17 dst_sel:DWORD dst_unused:UNUSED_PAD src0_sel:WORD_1
	v_cvt_f32_f16_sdwa v25, v16 dst_sel:DWORD dst_unused:UNUSED_PAD src0_sel:WORD_1
	ds_read2_b32 v[16:17], v215 offset1:1
	v_cvt_f32_f16_sdwa v23, v22 dst_sel:DWORD dst_unused:UNUSED_PAD src0_sel:WORD_1
	v_cvt_f32_f16_e32 v22, v22
	v_pk_fma_f32 v[28:29], v[52:53], v[20:21], v[44:45]
	s_waitcnt lgkmcnt(1)
	v_cvt_f32_f16_e32 v20, v18
	v_cvt_f32_f16_sdwa v21, v18 dst_sel:DWORD dst_unused:UNUSED_PAD src0_sel:WORD_1
	v_cvt_f32_f16_e32 v18, v19
	v_cvt_f32_f16_sdwa v19, v19 dst_sel:DWORD dst_unused:UNUSED_PAD src0_sel:WORD_1
	s_waitcnt lgkmcnt(0)
	v_cvt_f32_f16_e32 v220, v16
	v_cvt_f32_f16_e32 v222, v17
	v_cvt_f32_f16_sdwa v223, v17 dst_sel:DWORD dst_unused:UNUSED_PAD src0_sel:WORD_1
	v_cvt_f32_f16_sdwa v221, v16 dst_sel:DWORD dst_unused:UNUSED_PAD src0_sel:WORD_1
	v_pk_fma_f32 v[30:31], v[50:51], v[22:23], v[46:47]
	v_pk_fma_f32 v[26:27], v[50:51], v[26:27], v[42:43]
	;; [unrolled: 1-line block ×7, first 2 shown]
	s_cbranch_execnz .LBB25_838
.LBB25_837:                             ;   in Loop: Header=BB25_771 Depth=1
	v_pk_mov_b32 v[16:17], v[32:33], v[32:33] op_sel:[0,1]
	v_pk_mov_b32 v[20:21], v[36:37], v[36:37] op_sel:[0,1]
	;; [unrolled: 1-line block ×8, first 2 shown]
.LBB25_838:                             ;   in Loop: Header=BB25_771 Depth=1
	v_add_f32_e32 v32, 0x40051340, v28
	v_max_f32_e32 v33, v143, v143
	v_max_f32_e32 v32, v33, v32
	v_cndmask_b32_e64 v32, v143, v32, s[16:17]
	v_add_f32_e32 v33, 0x40051340, v29
	v_max_f32_e32 v32, v32, v32
	v_max_f32_e32 v32, v32, v33
	v_cndmask_b32_e64 v32, v143, v32, s[16:17]
	v_add_f32_e32 v33, 0x40051340, v30
	v_max_f32_e32 v32, v32, v32
	v_max_f32_e32 v32, v32, v33
	v_cndmask_b32_e64 v32, v143, v32, s[16:17]
	v_add_f32_e32 v33, 0x40051340, v31
	v_max_f32_e32 v32, v32, v32
	v_max_f32_e32 v32, v32, v33
	v_cndmask_b32_e64 v32, v143, v32, s[16:17]
	v_add_f32_e32 v33, 0x40051340, v24
	v_max_f32_e32 v34, v32, v32
	v_max_f32_e32 v33, v34, v33
	v_cndmask_b32_e64 v32, v32, v33, s[18:19]
	v_add_f32_e32 v33, 0x40051340, v25
	v_max_f32_e32 v34, v32, v32
	v_max_f32_e32 v33, v34, v33
	v_cndmask_b32_e64 v32, v32, v33, s[20:21]
	v_add_f32_e32 v33, 0x40051340, v26
	v_max_f32_e32 v34, v32, v32
	v_max_f32_e32 v33, v34, v33
	v_cndmask_b32_e64 v32, v32, v33, s[22:23]
	v_add_f32_e32 v33, 0x40051340, v27
	v_max_f32_e32 v34, v32, v32
	v_max_f32_e32 v33, v34, v33
	v_cndmask_b32_e64 v32, v32, v33, s[24:25]
	v_add_f32_e32 v33, 0x40051340, v20
	v_max_f32_e32 v34, v32, v32
	v_max_f32_e32 v33, v34, v33
	v_cndmask_b32_e64 v32, v32, v33, s[26:27]
	v_add_f32_e32 v33, 0x40051340, v21
	v_max_f32_e32 v34, v32, v32
	v_max_f32_e32 v33, v34, v33
	v_cndmask_b32_e64 v32, v32, v33, s[28:29]
	v_add_f32_e32 v33, 0x40051340, v22
	v_max_f32_e32 v34, v32, v32
	v_max_f32_e32 v33, v34, v33
	v_cndmask_b32_e64 v32, v32, v33, s[30:31]
	v_add_f32_e32 v33, 0x40051340, v23
	v_max_f32_e32 v34, v32, v32
	v_max_f32_e32 v33, v34, v33
	v_cndmask_b32_e64 v32, v32, v33, s[34:35]
	v_add_f32_e32 v33, 0x40051340, v16
	v_max_f32_e32 v34, v32, v32
	v_max_f32_e32 v33, v34, v33
	v_cndmask_b32_e64 v32, v32, v33, s[4:5]
	v_add_f32_e32 v33, 0x40051340, v17
	v_max_f32_e32 v34, v32, v32
	v_max_f32_e32 v33, v34, v33
	v_cndmask_b32_e64 v32, v32, v33, s[36:37]
	v_add_f32_e32 v33, 0x40051340, v18
	v_max_f32_e32 v34, v32, v32
	v_max_f32_e32 v33, v34, v33
	v_cndmask_b32_e64 v32, v32, v33, s[38:39]
	v_add_f32_e32 v33, 0x40051340, v19
	v_max_f32_e32 v34, v32, v32
	v_max_f32_e32 v33, v34, v33
	v_cndmask_b32_e64 v32, v32, v33, s[40:41]
	ds_bpermute_b32 v33, v147, v32
	v_max_f32_e32 v32, v32, v32
	s_mul_hi_i32 s9, s50, s94
	s_mul_i32 s8, s50, s94
	s_lshl_b64 s[64:65], s[8:9], 2
	s_waitcnt lgkmcnt(0)
	v_max_f32_e32 v33, v33, v33
	v_max_f32_e32 v32, v32, v33
	ds_bpermute_b32 v33, v135, v32
	s_add_u32 s9, s33, s64
	s_addc_u32 s8, s53, s65
	v_mov_b32_e32 v36, s8
	v_mov_b32_e32 v39, s49
	s_waitcnt lgkmcnt(0)
	v_max_f32_e32 v33, v33, v33
	v_max_f32_e32 v44, v32, v33
	v_sub_f32_e32 v28, v28, v44
	v_mul_f32_e32 v32, 0x3fb8aa3b, v28
	v_fma_f32 v33, v28, s58, -v32
	v_rndne_f32_e32 v34, v32
	v_fmac_f32_e32 v33, 0x32a5705f, v28
	v_sub_f32_e32 v32, v32, v34
	v_add_f32_e32 v32, v32, v33
	v_exp_f32_e32 v32, v32
	v_cvt_i32_f32_e32 v33, v34
	v_sub_f32_e32 v29, v29, v44
	v_cmp_ngt_f32_e32 vcc, s59, v28
	v_mov_b32_e32 v45, s48
	v_ldexp_f32 v32, v32, v33
	v_mul_f32_e32 v33, 0x3fb8aa3b, v29
	v_fma_f32 v34, v29, s58, -v33
	v_rndne_f32_e32 v35, v33
	v_fmac_f32_e32 v34, 0x32a5705f, v29
	v_sub_f32_e32 v33, v33, v35
	v_cndmask_b32_e32 v32, 0, v32, vcc
	v_add_f32_e32 v33, v33, v34
	v_add_co_u32_e32 v34, vcc, s9, v94
	v_addc_co_u32_e32 v36, vcc, v36, v95, vcc
	v_add_co_u32_e32 v34, vcc, v34, v209
	v_addc_co_u32_e32 v36, vcc, 0, v36, vcc
	v_cndmask_b32_e64 v37, v39, v36, s[42:43]
	v_cndmask_b32_e64 v36, v45, v34, s[42:43]
	buffer_store_dword v141, off, s[0:3], 0
	buffer_store_dword v141, off, s[0:3], 0 offset:4
	buffer_store_dword v141, off, s[0:3], 0 offset:8
	;; [unrolled: 1-line block ×3, first 2 shown]
	flat_load_dwordx4 v[40:43], v[36:37]
	v_exp_f32_e32 v33, v33
	v_cvt_i32_f32_e32 v35, v35
	v_cmp_nlt_f32_e32 vcc, s60, v28
	v_cndmask_b32_e32 v34, v218, v32, vcc
	v_cmp_ngt_f32_e32 vcc, s59, v29
	v_ldexp_f32 v32, v33, v35
	v_cndmask_b32_e32 v32, 0, v32, vcc
	v_cmp_nlt_f32_e32 vcc, s60, v29
	v_cndmask_b32_e64 v29, v30, v30, s[16:17]
	v_sub_f32_e32 v30, v29, v44
	v_mul_f32_e32 v29, 0x3fb8aa3b, v30
	v_cndmask_b32_e32 v35, v218, v32, vcc
	v_fma_f32 v32, v30, s58, -v29
	v_rndne_f32_e32 v33, v29
	v_fmac_f32_e32 v32, 0x32a5705f, v30
	v_sub_f32_e32 v29, v29, v33
	v_add_f32_e32 v29, v29, v32
	v_exp_f32_e32 v32, v29
	v_cvt_i32_f32_e32 v33, v33
	v_mov_b32_e32 v29, s56
	v_cndmask_b32_e64 v31, v31, v31, s[16:17]
	v_cndmask_b32_e64 v36, v29, v35, s[16:17]
	v_ldexp_f32 v29, v32, v33
	v_cmp_ngt_f32_e32 vcc, s59, v30
	v_sub_f32_e32 v31, v31, v44
	v_cndmask_b32_e32 v29, 0, v29, vcc
	v_cmp_nlt_f32_e32 vcc, s60, v30
	v_mul_f32_e32 v30, 0x3fb8aa3b, v31
	v_fma_f32 v32, v31, s58, -v30
	v_rndne_f32_e32 v33, v30
	v_fmac_f32_e32 v32, 0x32a5705f, v31
	v_sub_f32_e32 v30, v30, v33
	v_add_f32_e32 v30, v30, v32
	v_exp_f32_e32 v32, v30
	v_cvt_i32_f32_e32 v33, v33
	v_cndmask_b32_e32 v47, v218, v29, vcc
	v_mov_b32_e32 v30, s56
	v_sub_f32_e32 v24, v24, v44
	v_cndmask_b32_e64 v37, v30, v47, s[16:17]
	v_ldexp_f32 v29, v32, v33
	v_cmp_ngt_f32_e32 vcc, s59, v31
	v_mul_f32_e32 v30, 0x3fb8aa3b, v24
	v_cndmask_b32_e32 v29, 0, v29, vcc
	v_cmp_nlt_f32_e32 vcc, s60, v31
	v_fma_f32 v31, v24, s58, -v30
	v_rndne_f32_e32 v32, v30
	v_fmac_f32_e32 v31, 0x32a5705f, v24
	v_sub_f32_e32 v30, v30, v32
	v_add_f32_e32 v30, v30, v31
	v_exp_f32_e32 v30, v30
	v_cvt_i32_f32_e32 v31, v32
	v_cndmask_b32_e32 v219, v218, v29, vcc
	v_mov_b32_e32 v29, s56
	v_cndmask_b32_e64 v38, v29, v219, s[16:17]
	v_ldexp_f32 v29, v30, v31
	v_cmp_ngt_f32_e32 vcc, s59, v24
	v_cndmask_b32_e64 v25, v25, v25, s[18:19]
	v_cndmask_b32_e32 v29, 0, v29, vcc
	v_cmp_nlt_f32_e32 vcc, s60, v24
	v_sub_f32_e32 v25, v25, v44
	v_cndmask_b32_e32 v31, v218, v29, vcc
	v_mul_f32_e32 v29, 0x3fb8aa3b, v25
	v_fma_f32 v30, v25, s58, -v29
	v_rndne_f32_e32 v46, v29
	v_fmac_f32_e32 v30, 0x32a5705f, v25
	v_sub_f32_e32 v29, v29, v46
	v_add_f32_e32 v29, v29, v30
	v_add_co_u32_e32 v30, vcc, s9, v96
	v_mov_b32_e32 v32, s8
	v_addc_co_u32_e32 v32, vcc, v32, v97, vcc
	v_add_co_u32_e32 v30, vcc, v30, v209
	v_addc_co_u32_e32 v32, vcc, 0, v32, vcc
	v_cndmask_b32_e64 v33, v39, v32, s[10:11]
	v_cndmask_b32_e64 v32, v45, v30, s[10:11]
	v_exp_f32_e32 v29, v29
	s_waitcnt vmcnt(0) lgkmcnt(0)
	ds_write_b128 v169, v[40:43]
	flat_load_dwordx4 v[40:43], v[32:33]
	v_cvt_i32_f32_e32 v30, v46
	v_mov_b32_e32 v24, s56
	v_cndmask_b32_e64 v26, v26, v26, s[18:19]
	v_cndmask_b32_e64 v222, v24, v31, s[18:19]
	v_ldexp_f32 v24, v29, v30
	v_cmp_ngt_f32_e32 vcc, s59, v25
	v_sub_f32_e32 v26, v26, v44
	v_cndmask_b32_e32 v24, 0, v24, vcc
	v_cmp_nlt_f32_e32 vcc, s60, v25
	v_mul_f32_e32 v25, 0x3fb8aa3b, v26
	v_cndmask_b32_e64 v32, v27, v27, s[18:19]
	v_fma_f32 v27, v26, s58, -v25
	v_rndne_f32_e32 v29, v25
	v_fmac_f32_e32 v27, 0x32a5705f, v26
	v_sub_f32_e32 v25, v25, v29
	v_add_f32_e32 v25, v25, v27
	v_exp_f32_e32 v30, v25
	v_cvt_i32_f32_e32 v29, v29
	v_cndmask_b32_e32 v27, v218, v24, vcc
	v_mov_b32_e32 v25, s56
	v_cndmask_b32_e64 v223, v25, v27, s[20:21]
	v_ldexp_f32 v24, v30, v29
	v_cmp_ngt_f32_e32 vcc, s59, v26
	v_sub_f32_e32 v25, v32, v44
	v_cndmask_b32_e32 v24, 0, v24, vcc
	v_cmp_nlt_f32_e32 vcc, s60, v26
	v_mul_f32_e32 v26, 0x3fb8aa3b, v25
	v_fma_f32 v29, v25, s58, -v26
	v_rndne_f32_e32 v30, v26
	v_fmac_f32_e32 v29, 0x32a5705f, v25
	v_sub_f32_e32 v26, v26, v30
	v_add_f32_e32 v26, v26, v29
	v_exp_f32_e32 v29, v26
	v_cvt_i32_f32_e32 v30, v30
	v_cndmask_b32_e32 v26, v218, v24, vcc
	v_mov_b32_e32 v24, s56
	v_cndmask_b32_e64 v224, v24, v26, s[22:23]
	v_ldexp_f32 v24, v29, v30
	v_cmp_ngt_f32_e32 vcc, s59, v25
	v_sub_f32_e32 v20, v20, v44
	v_cndmask_b32_e32 v24, 0, v24, vcc
	v_cmp_nlt_f32_e32 vcc, s60, v25
	v_mul_f32_e32 v25, 0x3fb8aa3b, v20
	v_fma_f32 v29, v20, s58, -v25
	v_rndne_f32_e32 v30, v25
	v_fmac_f32_e32 v29, 0x32a5705f, v20
	v_sub_f32_e32 v25, v25, v30
	v_add_f32_e32 v25, v25, v29
	v_exp_f32_e32 v32, v25
	v_cvt_i32_f32_e32 v30, v30
	v_cndmask_b32_e64 v21, v21, v21, s[26:27]
	v_cndmask_b32_e32 v25, v218, v24, vcc
	v_mov_b32_e32 v29, s56
	v_sub_f32_e32 v21, v21, v44
	v_cndmask_b32_e64 v225, v29, v25, s[24:25]
	v_mul_f32_e32 v29, 0x3fb8aa3b, v21
	v_ldexp_f32 v24, v32, v30
	v_cmp_ngt_f32_e32 vcc, s59, v20
	v_fma_f32 v30, v21, s58, -v29
	v_rndne_f32_e32 v46, v29
	v_cndmask_b32_e32 v24, 0, v24, vcc
	v_cmp_nlt_f32_e32 vcc, s60, v20
	v_fmac_f32_e32 v30, 0x32a5705f, v21
	v_sub_f32_e32 v29, v29, v46
	v_cndmask_b32_e32 v24, v218, v24, vcc
	v_add_f32_e32 v29, v29, v30
	v_add_co_u32_e32 v30, vcc, s9, v98
	v_mov_b32_e32 v32, s8
	v_addc_co_u32_e32 v32, vcc, v32, v99, vcc
	v_add_co_u32_e32 v30, vcc, v30, v209
	v_addc_co_u32_e32 v32, vcc, 0, v32, vcc
	v_cndmask_b32_e64 v33, v39, v32, s[12:13]
	v_cndmask_b32_e64 v32, v45, v30, s[12:13]
	v_exp_f32_e32 v29, v29
	v_cvt_i32_f32_e32 v30, v46
	s_waitcnt vmcnt(0) lgkmcnt(0)
	ds_write_b128 v170, v[40:43]
	flat_load_dwordx4 v[40:43], v[32:33]
	v_mov_b32_e32 v20, s56
	v_cndmask_b32_e64 v22, v22, v22, s[26:27]
	v_cndmask_b32_e64 v226, v20, v24, s[26:27]
	v_ldexp_f32 v20, v29, v30
	v_cmp_ngt_f32_e32 vcc, s59, v21
	v_sub_f32_e32 v22, v22, v44
	v_cndmask_b32_e32 v20, 0, v20, vcc
	v_cmp_nlt_f32_e32 vcc, s60, v21
	v_mul_f32_e32 v21, 0x3fb8aa3b, v22
	v_fma_f32 v29, v22, s58, -v21
	v_rndne_f32_e32 v30, v21
	v_fmac_f32_e32 v29, 0x32a5705f, v22
	v_sub_f32_e32 v21, v21, v30
	v_add_f32_e32 v21, v21, v29
	v_exp_f32_e32 v29, v21
	v_cvt_i32_f32_e32 v30, v30
	v_cndmask_b32_e64 v23, v23, v23, s[26:27]
	v_cndmask_b32_e32 v220, v218, v20, vcc
	v_mov_b32_e32 v21, s56
	v_cndmask_b32_e64 v227, v21, v220, s[28:29]
	v_ldexp_f32 v20, v29, v30
	v_cmp_ngt_f32_e32 vcc, s59, v22
	v_sub_f32_e32 v21, v23, v44
	v_cndmask_b32_e32 v20, 0, v20, vcc
	v_cmp_nlt_f32_e32 vcc, s60, v22
	v_mul_f32_e32 v22, 0x3fb8aa3b, v21
	v_fma_f32 v23, v21, s58, -v22
	v_rndne_f32_e32 v29, v22
	v_fmac_f32_e32 v23, 0x32a5705f, v21
	v_sub_f32_e32 v22, v22, v29
	v_add_f32_e32 v22, v22, v23
	v_exp_f32_e32 v22, v22
	v_cvt_i32_f32_e32 v23, v29
	v_cndmask_b32_e32 v221, v218, v20, vcc
	v_mov_b32_e32 v20, s56
	v_cndmask_b32_e64 v228, v20, v221, s[30:31]
	v_ldexp_f32 v20, v22, v23
	v_cmp_ngt_f32_e32 vcc, s59, v21
	v_sub_f32_e32 v16, v16, v44
	v_cndmask_b32_e32 v20, 0, v20, vcc
	v_cmp_nlt_f32_e32 vcc, s60, v21
	v_mul_f32_e32 v21, 0x3fb8aa3b, v16
	v_fma_f32 v22, v16, s58, -v21
	v_rndne_f32_e32 v23, v21
	v_fmac_f32_e32 v22, 0x32a5705f, v16
	v_sub_f32_e32 v21, v21, v23
	v_add_f32_e32 v21, v21, v22
	v_exp_f32_e32 v22, v21
	v_cvt_i32_f32_e32 v23, v23
	v_cndmask_b32_e32 v30, v218, v20, vcc
	v_cmp_ngt_f32_e32 vcc, s59, v16
	v_cndmask_b32_e64 v17, v17, v17, s[4:5]
	v_ldexp_f32 v20, v22, v23
	v_cndmask_b32_e32 v20, 0, v20, vcc
	v_cmp_nlt_f32_e32 vcc, s60, v16
	v_sub_f32_e32 v17, v17, v44
	v_mov_b32_e32 v21, s56
	v_cndmask_b32_e32 v29, v218, v20, vcc
	v_mul_f32_e32 v20, 0x3fb8aa3b, v17
	v_cndmask_b32_e64 v229, v21, v30, s[34:35]
	v_fma_f32 v21, v17, s58, -v20
	v_rndne_f32_e32 v22, v20
	v_fmac_f32_e32 v21, 0x32a5705f, v17
	v_sub_f32_e32 v20, v20, v22
	v_add_f32_e32 v20, v20, v21
	v_exp_f32_e32 v32, v20
	v_add_co_u32_e32 v20, vcc, s9, v100
	v_mov_b32_e32 v21, s8
	v_addc_co_u32_e32 v21, vcc, v21, v101, vcc
	v_add_co_u32_e32 v20, vcc, v20, v209
	v_addc_co_u32_e32 v21, vcc, 0, v21, vcc
	v_cndmask_b32_e64 v21, v39, v21, s[14:15]
	v_cndmask_b32_e64 v20, v45, v20, s[14:15]
	v_cvt_i32_f32_e32 v33, v22
	v_mov_b32_e32 v16, s56
	s_waitcnt vmcnt(0) lgkmcnt(0)
	ds_write_b128 v171, v[40:43]
	flat_load_dwordx4 v[20:23], v[20:21]
	v_cndmask_b32_e64 v18, v18, v18, s[4:5]
	v_cndmask_b32_e64 v230, v16, v29, s[4:5]
	v_ldexp_f32 v16, v32, v33
	v_cmp_ngt_f32_e32 vcc, s59, v17
	v_sub_f32_e32 v18, v18, v44
	v_cndmask_b32_e32 v16, 0, v16, vcc
	v_cmp_nlt_f32_e32 vcc, s60, v17
	v_mul_f32_e32 v17, 0x3fb8aa3b, v18
	v_fma_f32 v32, v18, s58, -v17
	v_rndne_f32_e32 v33, v17
	v_fmac_f32_e32 v32, 0x32a5705f, v18
	v_sub_f32_e32 v17, v17, v33
	v_add_f32_e32 v17, v17, v32
	v_exp_f32_e32 v32, v17
	v_cvt_i32_f32_e32 v33, v33
	v_cndmask_b32_e64 v19, v19, v19, s[4:5]
	v_cndmask_b32_e32 v45, v218, v16, vcc
	v_mov_b32_e32 v17, s56
	v_cndmask_b32_e64 v231, v17, v45, s[36:37]
	v_ldexp_f32 v16, v32, v33
	v_cmp_ngt_f32_e32 vcc, s59, v18
	v_sub_f32_e32 v17, v19, v44
	v_cndmask_b32_e32 v16, 0, v16, vcc
	v_cmp_nlt_f32_e32 vcc, s60, v18
	v_mul_f32_e32 v18, 0x3fb8aa3b, v17
	v_fma_f32 v19, v17, s58, -v18
	v_rndne_f32_e32 v32, v18
	v_fmac_f32_e32 v19, 0x32a5705f, v17
	v_sub_f32_e32 v18, v18, v32
	v_add_f32_e32 v18, v18, v19
	v_exp_f32_e32 v18, v18
	v_cvt_i32_f32_e32 v19, v32
	v_cndmask_b32_e32 v46, v218, v16, vcc
	v_mov_b32_e32 v16, s56
	v_cndmask_b32_e64 v232, v16, v46, s[38:39]
	v_ldexp_f32 v16, v18, v19
	v_sub_f32_e32 v18, v143, v44
	v_mul_f32_e32 v19, 0x3fb8aa3b, v18
	v_fma_f32 v32, v18, s58, -v19
	v_rndne_f32_e32 v33, v19
	v_fmac_f32_e32 v32, 0x32a5705f, v18
	v_sub_f32_e32 v19, v19, v33
	v_add_f32_e32 v19, v19, v32
	v_exp_f32_e32 v19, v19
	v_cvt_i32_f32_e32 v32, v33
	v_cmp_ngt_f32_e32 vcc, s59, v17
	v_cndmask_b32_e32 v16, 0, v16, vcc
	v_cmp_nlt_f32_e32 vcc, s60, v17
	v_ldexp_f32 v17, v19, v32
	v_cmp_ngt_f32_e64 s[8:9], s59, v18
	v_cndmask_b32_e64 v17, 0, v17, s[8:9]
	v_cmp_nlt_f32_e64 s[8:9], s60, v18
	v_cndmask_b32_e64 v17, v218, v17, s[8:9]
	v_cmp_le_f32_e64 s[8:9], s62, v18
	v_cndmask_b32_e64 v33, 0, v17, s[8:9]
	v_cndmask_b32_e64 v28, 0, v34, s[16:17]
	v_cvt_f16_f32_e32 v32, v33
	v_cndmask_b32_e32 v51, v218, v16, vcc
	v_cvt_f16_f32_e32 v16, v28
	v_cvt_f16_f32_e32 v18, v36
	v_mov_b32_e32 v17, s56
	v_cndmask_b32_e64 v143, v17, v51, s[40:41]
	v_pk_mul_f16 v17, v32, v121 op_sel_hi:[0,1]
	v_pk_mul_f16 v19, v32, v120 op_sel_hi:[0,1]
	v_cvt_f16_f32_e32 v28, v37
	v_cvt_f16_f32_e32 v36, v38
	v_pack_b32_f16 v42, v16, v18
	v_cvt_f32_f16_e32 v16, v17
	v_cvt_f32_f16_sdwa v17, v17 dst_sel:DWORD dst_unused:UNUSED_PAD src0_sel:WORD_1
	v_cvt_f32_f16_e32 v18, v19
	v_cvt_f32_f16_sdwa v19, v19 dst_sel:DWORD dst_unused:UNUSED_PAD src0_sel:WORD_1
	v_pack_b32_f16 v43, v28, v36
	v_cvt_f16_f32_e32 v37, v222
	v_cvt_f16_f32_e32 v38, v223
	;; [unrolled: 1-line block ×5, first 2 shown]
	v_pack_b32_f16 v40, v37, v38
	v_cvt_f16_f32_e32 v41, v225
	s_waitcnt vmcnt(0) lgkmcnt(0)
	ds_write_b128 v172, v[20:23]
	s_waitcnt lgkmcnt(0)
	s_barrier
	ds_read_u16 v20, v177 offset:544
	ds_read_u16 v21, v217
	ds_read_u16 v22, v176
	ds_read_u16 v23, v216 offset:272
	v_pack_b32_f16 v38, v28, v36
	v_pack_b32_f16 v41, v39, v41
	s_waitcnt lgkmcnt(2)
	v_perm_b32 v21, v21, v20, s63
	v_cvt_f16_f32_e32 v37, v228
	s_waitcnt lgkmcnt(0)
	v_perm_b32 v20, v23, v22, s63
	v_cvt_f16_f32_e32 v39, v229
	v_cvt_f16_f32_e32 v22, v230
	v_mfma_f32_16x16x16f16 v[16:19], v[20:21], v[42:43], v[16:19]
	ds_read_u16 v20, v176 offset:4352
	ds_read_u16 v21, v178 offset:544
	;; [unrolled: 1-line block ×4, first 2 shown]
	v_pack_b32_f16 v39, v37, v39
	v_cvt_f16_f32_e32 v37, v143
	v_pk_mul_f16 v120, v32, v122 op_sel_hi:[0,1]
	s_waitcnt lgkmcnt(1)
	v_perm_b32 v21, v23, v21, s63
	s_waitcnt lgkmcnt(0)
	v_perm_b32 v20, v28, v20, s63
	v_cvt_f16_f32_e32 v23, v231
	v_cvt_f16_f32_e32 v16, v16
	;; [unrolled: 1-line block ×5, first 2 shown]
	v_cvt_f32_f16_e32 v16, v16
	v_cvt_f32_f16_e32 v17, v17
	;; [unrolled: 1-line block ×4, first 2 shown]
	v_cvt_f16_f32_e32 v28, v232
	v_pk_mul_f16 v112, v32, v112 op_sel_hi:[0,1]
	v_mfma_f32_16x16x16f16 v[16:19], v[20:21], v[40:41], v[16:19]
	ds_read_u16 v20, v176 offset:8704
	ds_read_u16 v21, v179 offset:544
	;; [unrolled: 1-line block ×4, first 2 shown]
	v_pack_b32_f16 v37, v28, v37
	ds_read_u16 v28, v217 offset:32
	v_pk_mul_f16 v118, v32, v118 op_sel_hi:[0,1]
	s_waitcnt lgkmcnt(2)
	v_perm_b32 v21, v36, v21, s63
	s_waitcnt lgkmcnt(1)
	v_perm_b32 v20, v121, v20, s63
	v_pack_b32_f16 v36, v22, v23
	v_cvt_f16_f32_e32 v16, v16
	v_cvt_f16_f32_e32 v17, v17
	;; [unrolled: 1-line block ×4, first 2 shown]
	v_cvt_f32_f16_e32 v16, v16
	v_cvt_f32_f16_e32 v17, v17
	;; [unrolled: 1-line block ×4, first 2 shown]
	s_add_i32 s52, s52, 1
	v_cmp_lt_i32_e32 vcc, s52, v140
	v_mfma_f32_16x16x16f16 v[16:19], v[20:21], v[38:39], v[16:19]
	ds_read_u16 v20, v176 offset:13056
	ds_read_u16 v21, v180 offset:544
	;; [unrolled: 1-line block ×7, first 2 shown]
	s_and_b64 vcc, exec, vcc
	s_add_i32 s50, s50, 64
	s_waitcnt lgkmcnt(4)
	v_perm_b32 v21, v22, v21, s63
	s_waitcnt lgkmcnt(3)
	v_perm_b32 v20, v23, v20, s63
	;; [unrolled: 2-line block ×3, first 2 shown]
	v_cvt_f16_f32_e32 v16, v16
	v_cvt_f16_f32_e32 v17, v17
	;; [unrolled: 1-line block ×4, first 2 shown]
	v_cvt_f32_f16_e32 v16, v16
	v_cvt_f32_f16_e32 v17, v17
	;; [unrolled: 1-line block ×4, first 2 shown]
	v_add_f32_e32 v28, v34, v35
	v_add_f32_e32 v28, v28, v47
	v_mfma_f32_16x16x16f16 v[20:23], v[20:21], v[36:37], v[16:19]
	v_add_f32_e32 v28, v28, v219
	s_nop 5
	v_cvt_f32_f16_e32 v16, v120
	v_cvt_f32_f16_sdwa v17, v120 dst_sel:DWORD dst_unused:UNUSED_PAD src0_sel:WORD_1
	v_perm_b32 v120, v143, v122, s63
	v_cvt_f32_f16_e32 v18, v112
	v_cvt_f32_f16_sdwa v19, v112 dst_sel:DWORD dst_unused:UNUSED_PAD src0_sel:WORD_1
	ds_read_u16 v34, v176 offset:4384
	ds_read_u16 v35, v182 offset:544
	;; [unrolled: 1-line block ×4, first 2 shown]
	v_mfma_f32_16x16x16f16 v[16:19], v[120:121], v[42:43], v[16:19]
	s_waitcnt lgkmcnt(1)
	v_perm_b32 v35, v47, v35, s63
	s_waitcnt lgkmcnt(0)
	v_perm_b32 v34, v112, v34, s63
	v_cndmask_b32_e64 v47, 0, v28, s[16:17]
	v_add_f32_e32 v28, v31, v47
	v_cndmask_b32_e64 v28, v47, v28, s[18:19]
	v_add_f32_e32 v27, v27, v28
	v_cndmask_b32_e64 v28, v28, v27, s[20:21]
	s_nop 1
	v_cvt_f16_f32_e32 v16, v16
	v_cvt_f16_f32_e32 v17, v17
	;; [unrolled: 1-line block ×4, first 2 shown]
	v_cvt_f32_f16_e32 v16, v16
	v_cvt_f32_f16_e32 v17, v17
	;; [unrolled: 1-line block ×4, first 2 shown]
	s_nop 1
	v_mfma_f32_16x16x16f16 v[16:19], v[34:35], v[40:41], v[16:19]
	ds_read_u16 v31, v176 offset:8736
	ds_read_u16 v34, v183 offset:544
	;; [unrolled: 1-line block ×4, first 2 shown]
	s_waitcnt lgkmcnt(1)
	v_perm_b32 v35, v35, v34, s63
	s_waitcnt lgkmcnt(0)
	v_perm_b32 v34, v112, v31, s63
	s_nop 2
	v_cvt_f16_f32_e32 v16, v16
	v_cvt_f16_f32_e32 v17, v17
	;; [unrolled: 1-line block ×4, first 2 shown]
	v_cvt_f32_f16_e32 v16, v16
	v_cvt_f32_f16_e32 v17, v17
	;; [unrolled: 1-line block ×4, first 2 shown]
	s_nop 1
	v_mfma_f32_16x16x16f16 v[16:19], v[34:35], v[38:39], v[16:19]
	ds_read_u16 v27, v176 offset:13088
	ds_read_u16 v31, v184 offset:544
	ds_read_u16 v34, v217 offset:13088
	ds_read_u16 v47, v216 offset:13360
	s_waitcnt lgkmcnt(1)
	v_perm_b32 v35, v34, v31, s63
	s_waitcnt lgkmcnt(0)
	v_perm_b32 v34, v47, v27, s63
	v_pk_mul_f16 v47, v32, v109 op_sel_hi:[0,1]
	s_nop 1
	v_cvt_f16_f32_e32 v16, v16
	v_cvt_f16_f32_e32 v17, v17
	;; [unrolled: 1-line block ×4, first 2 shown]
	v_cvt_f32_f16_e32 v16, v16
	v_cvt_f32_f16_e32 v17, v17
	;; [unrolled: 1-line block ×4, first 2 shown]
	v_add_f32_e32 v31, v26, v28
	v_pk_mul_f16 v26, v32, v110 op_sel_hi:[0,1]
	v_mfma_f32_16x16x16f16 v[16:19], v[34:35], v[36:37], v[16:19]
	ds_read_u16 v34, v176 offset:64
	ds_read_u16 v27, v185 offset:544
	;; [unrolled: 1-line block ×4, first 2 shown]
	v_cvt_f32_f16_e32 v222, v26
	v_cvt_f32_f16_sdwa v223, v26 dst_sel:DWORD dst_unused:UNUSED_PAD src0_sel:WORD_1
	v_cvt_f32_f16_e32 v224, v47
	s_waitcnt lgkmcnt(1)
	v_perm_b32 v27, v35, v27, s63
	s_waitcnt lgkmcnt(0)
	v_perm_b32 v26, v109, v34, s63
	v_cvt_f32_f16_sdwa v225, v47 dst_sel:DWORD dst_unused:UNUSED_PAD src0_sel:WORD_1
	v_cndmask_b32_e64 v28, v28, v31, s[22:23]
	ds_read_u16 v34, v176 offset:4416
	ds_read_u16 v35, v186 offset:544
	;; [unrolled: 1-line block ×4, first 2 shown]
	v_mfma_f32_16x16x16f16 v[222:225], v[26:27], v[42:43], v[222:225]
	v_add_f32_e32 v25, v25, v28
	v_cndmask_b32_e64 v25, v28, v25, s[24:25]
	s_waitcnt lgkmcnt(1)
	v_perm_b32 v35, v47, v35, s63
	s_waitcnt lgkmcnt(0)
	v_perm_b32 v34, v109, v34, s63
	v_add_f32_e32 v24, v24, v25
	v_pk_mul_f16 v110, v32, v119 op_sel_hi:[0,1]
	s_nop 2
	v_cvt_f16_f32_e32 v26, v222
	v_cvt_f16_f32_e32 v27, v223
	;; [unrolled: 1-line block ×4, first 2 shown]
	v_cvt_f32_f16_e32 v222, v26
	v_cvt_f32_f16_e32 v223, v27
	;; [unrolled: 1-line block ×4, first 2 shown]
	v_cndmask_b32_e64 v28, v25, v24, s[26:27]
	s_nop 0
	v_mfma_f32_16x16x16f16 v[24:27], v[34:35], v[40:41], v[222:225]
	ds_read_u16 v31, v176 offset:8768
	ds_read_u16 v34, v187 offset:544
	;; [unrolled: 1-line block ×4, first 2 shown]
	s_waitcnt lgkmcnt(1)
	v_perm_b32 v35, v35, v34, s63
	s_waitcnt lgkmcnt(0)
	v_perm_b32 v34, v47, v31, s63
	v_add_f32_e32 v31, v220, v28
	s_nop 1
	v_cvt_f16_f32_e32 v24, v24
	v_cvt_f16_f32_e32 v25, v25
	v_cvt_f16_f32_e32 v26, v26
	v_cvt_f16_f32_e32 v27, v27
	v_cvt_f32_f16_e32 v24, v24
	v_cvt_f32_f16_e32 v25, v25
	;; [unrolled: 1-line block ×4, first 2 shown]
	v_cndmask_b32_e64 v28, v28, v31, s[28:29]
	v_add_f32_e32 v31, v221, v28
	v_mfma_f32_16x16x16f16 v[24:27], v[34:35], v[38:39], v[24:27]
	ds_read_u16 v34, v176 offset:13120
	ds_read_u16 v35, v188 offset:544
	;; [unrolled: 1-line block ×4, first 2 shown]
	v_cndmask_b32_e64 v28, v28, v31, s[30:31]
	v_pk_mul_f16 v31, v32, v108 op_sel_hi:[0,1]
	v_cvt_f32_f16_e32 v220, v31
	s_waitcnt lgkmcnt(1)
	v_perm_b32 v35, v47, v35, s63
	s_waitcnt lgkmcnt(0)
	v_perm_b32 v34, v109, v34, s63
	v_pk_mul_f16 v47, v32, v107 op_sel_hi:[0,1]
	v_cvt_f16_f32_e32 v24, v24
	v_cvt_f16_f32_e32 v25, v25
	;; [unrolled: 1-line block ×4, first 2 shown]
	v_cvt_f32_f16_e32 v24, v24
	v_cvt_f32_f16_e32 v25, v25
	;; [unrolled: 1-line block ×4, first 2 shown]
	v_cvt_f32_f16_sdwa v221, v31 dst_sel:DWORD dst_unused:UNUSED_PAD src0_sel:WORD_1
	v_cvt_f32_f16_e32 v222, v47
	v_mfma_f32_16x16x16f16 v[24:27], v[34:35], v[36:37], v[24:27]
	ds_read_u16 v34, v176 offset:96
	ds_read_u16 v35, v189 offset:544
	;; [unrolled: 1-line block ×4, first 2 shown]
	v_cvt_f32_f16_sdwa v223, v47 dst_sel:DWORD dst_unused:UNUSED_PAD src0_sel:WORD_1
	v_add_f32_e32 v30, v30, v28
	v_cndmask_b32_e64 v47, v28, v30, s[34:35]
	s_waitcnt lgkmcnt(1)
	v_perm_b32 v35, v107, v35, s63
	s_waitcnt lgkmcnt(0)
	v_perm_b32 v34, v108, v34, s63
	v_cvt_f16_f32_e32 v26, v26
	s_nop 0
	v_mfma_f32_16x16x16f16 v[220:223], v[34:35], v[42:43], v[220:223]
	ds_read_u16 v35, v176 offset:4448
	ds_read_u16 v107, v190 offset:544
	;; [unrolled: 1-line block ×4, first 2 shown]
	v_cvt_f16_f32_e32 v27, v27
	s_nop 5
	v_cvt_f16_f32_e32 v30, v221
	v_cvt_f16_f32_e32 v31, v222
	;; [unrolled: 1-line block ×4, first 2 shown]
	v_cvt_f32_f16_e32 v221, v30
	v_cvt_f32_f16_e32 v222, v31
	s_waitcnt lgkmcnt(1)
	v_perm_b32 v31, v108, v107, s63
	s_waitcnt lgkmcnt(0)
	v_perm_b32 v30, v109, v35, s63
	v_cvt_f32_f16_e32 v220, v28
	v_cvt_f32_f16_e32 v223, v34
	v_add_f32_e32 v28, v29, v47
	v_cndmask_b32_e64 v47, v47, v28, s[4:5]
	v_mfma_f32_16x16x16f16 v[28:31], v[30:31], v[40:41], v[220:223]
	ds_read_u16 v34, v176 offset:8800
	ds_read_u16 v35, v191 offset:544
	;; [unrolled: 1-line block ×4, first 2 shown]
	v_add_f32_e32 v45, v45, v47
	v_cndmask_b32_e64 v45, v47, v45, s[36:37]
	v_add_f32_e32 v46, v46, v45
	s_waitcnt lgkmcnt(1)
	v_perm_b32 v35, v107, v35, s63
	s_waitcnt lgkmcnt(0)
	v_perm_b32 v34, v108, v34, s63
	v_cndmask_b32_e64 v45, v45, v46, s[38:39]
	v_cvt_f16_f32_e32 v28, v28
	v_cvt_f16_f32_e32 v29, v29
	;; [unrolled: 1-line block ×4, first 2 shown]
	v_cvt_f32_f16_e32 v28, v28
	v_cvt_f32_f16_e32 v29, v29
	;; [unrolled: 1-line block ×4, first 2 shown]
	s_nop 1
	v_mfma_f32_16x16x16f16 v[28:31], v[34:35], v[38:39], v[28:31]
	ds_read_u16 v34, v176 offset:13152
	ds_read_u16 v35, v192 offset:544
	;; [unrolled: 1-line block ×4, first 2 shown]
	s_waitcnt lgkmcnt(1)
	v_perm_b32 v35, v46, v35, s63
	s_waitcnt lgkmcnt(0)
	v_perm_b32 v34, v47, v34, s63
	v_add_f32_e32 v46, v51, v45
	s_nop 1
	v_cvt_f16_f32_e32 v28, v28
	v_cvt_f16_f32_e32 v29, v29
	;; [unrolled: 1-line block ×4, first 2 shown]
	v_cvt_f32_f16_e32 v28, v28
	v_cvt_f32_f16_e32 v29, v29
	;; [unrolled: 1-line block ×4, first 2 shown]
	v_pk_mul_f16 v47, v32, v104 op_sel_hi:[0,1]
	v_pk_mul_f16 v51, v32, v103 op_sel_hi:[0,1]
	v_mfma_f32_16x16x16f16 v[28:31], v[34:35], v[36:37], v[28:31]
	ds_read_u16 v34, v176 offset:128
	ds_read_u16 v35, v193 offset:544
	;; [unrolled: 1-line block ×4, first 2 shown]
	v_cvt_f32_f16_e32 v220, v47
	v_cvt_f32_f16_sdwa v221, v47 dst_sel:DWORD dst_unused:UNUSED_PAD src0_sel:WORD_1
	v_cvt_f32_f16_e32 v222, v51
	s_waitcnt lgkmcnt(1)
	v_perm_b32 v35, v103, v35, s63
	s_waitcnt lgkmcnt(0)
	v_perm_b32 v34, v104, v34, s63
	v_cvt_f32_f16_sdwa v223, v51 dst_sel:DWORD dst_unused:UNUSED_PAD src0_sel:WORD_1
	v_pk_mul_f16 v51, v32, v106 op_sel_hi:[0,1]
	v_cndmask_b32_e64 v45, v45, v46, s[40:41]
	v_mfma_f32_16x16x16f16 v[106:109], v[34:35], v[42:43], v[220:223]
	v_fmac_f32_e32 v45, v139, v33
	s_nop 7
	s_nop 1
	v_cvt_f16_f32_e32 v46, v109
	ds_read_u16 v47, v176 offset:4480
	ds_read_u16 v103, v194 offset:544
	;; [unrolled: 1-line block ×4, first 2 shown]
	v_cvt_f16_f32_e32 v34, v107
	v_cvt_f16_f32_e32 v35, v108
	;; [unrolled: 1-line block ×3, first 2 shown]
	v_cvt_f32_f16_e32 v107, v34
	v_cvt_f32_f16_e32 v108, v35
	s_waitcnt lgkmcnt(1)
	v_perm_b32 v35, v104, v103, s63
	s_waitcnt lgkmcnt(0)
	v_perm_b32 v34, v109, v47, s63
	v_cvt_f32_f16_e32 v106, v33
	v_cvt_f32_f16_e32 v109, v46
	v_pk_mul_f16 v103, v32, v105 op_sel_hi:[0,1]
	s_nop 0
	v_mfma_f32_16x16x16f16 v[104:107], v[34:35], v[40:41], v[106:109]
	s_nop 7
	s_nop 2
	v_cvt_f16_f32_e32 v46, v107
	ds_read_u16 v47, v176 offset:8832
	ds_read_u16 v107, v195 offset:544
	;; [unrolled: 1-line block ×4, first 2 shown]
	v_cvt_f16_f32_e32 v34, v105
	v_cvt_f16_f32_e32 v35, v106
	;; [unrolled: 1-line block ×3, first 2 shown]
	v_cvt_f32_f16_e32 v105, v34
	v_cvt_f32_f16_e32 v106, v35
	s_waitcnt lgkmcnt(1)
	v_perm_b32 v35, v108, v107, s63
	s_waitcnt lgkmcnt(0)
	v_perm_b32 v34, v109, v47, s63
	v_cvt_f32_f16_e32 v104, v33
	v_cvt_f32_f16_e32 v107, v46
	v_pk_mul_f16 v47, v32, v117 op_sel_hi:[0,1]
	v_pk_mul_f16 v46, v32, v116 op_sel_hi:[0,1]
	v_mfma_f32_16x16x16f16 v[32:35], v[34:35], v[38:39], v[104:107]
	s_nop 6
	ds_read_u16 v104, v176 offset:13184
	ds_read_u16 v105, v196 offset:544
	;; [unrolled: 1-line block ×4, first 2 shown]
	v_cvt_f16_f32_e32 v108, v20
	v_cvt_f16_f32_e32 v109, v23
	s_waitcnt lgkmcnt(1)
	v_perm_b32 v105, v106, v105, s63
	s_waitcnt lgkmcnt(0)
	v_perm_b32 v104, v107, v104, s63
	v_cvt_f16_f32_e32 v106, v21
	v_cvt_f16_f32_e32 v20, v32
	;; [unrolled: 1-line block ×5, first 2 shown]
	v_cvt_f32_f16_e32 v32, v20
	v_cvt_f32_f16_e32 v33, v33
	v_cvt_f32_f16_e32 v34, v34
	v_cvt_f32_f16_e32 v35, v35
	v_cvt_f16_f32_e32 v107, v22
	v_cvt_f32_f16_e32 v20, v51
	v_mfma_f32_16x16x16f16 v[32:35], v[104:105], v[36:37], v[32:35]
	ds_read_u16 v23, v176 offset:160
	ds_read_u16 v104, v197 offset:544
	;; [unrolled: 1-line block ×4, first 2 shown]
	v_cvt_f32_f16_sdwa v21, v51 dst_sel:DWORD dst_unused:UNUSED_PAD src0_sel:WORD_1
	v_cvt_f32_f16_e32 v22, v103
	v_pack_b32_f16 v121, v108, v106
	s_waitcnt lgkmcnt(1)
	v_perm_b32 v105, v105, v104, s63
	s_waitcnt lgkmcnt(0)
	v_perm_b32 v104, v112, v23, s63
	v_cvt_f32_f16_sdwa v23, v103 dst_sel:DWORD dst_unused:UNUSED_PAD src0_sel:WORD_1
	v_cvt_f16_f32_e32 v51, v16
	v_pack_b32_f16 v120, v107, v109
	v_mfma_f32_16x16x16f16 v[20:23], v[104:105], v[42:43], v[20:23]
	ds_read_u16 v103, v176 offset:4512
	ds_read_u16 v104, v198 offset:544
	;; [unrolled: 1-line block ×4, first 2 shown]
	v_cvt_f16_f32_e32 v107, v19
	v_pack_b32_f16 v109, v26, v27
	v_cvt_f16_f32_e32 v26, v28
	s_waitcnt lgkmcnt(1)
	v_perm_b32 v105, v105, v104, s63
	s_waitcnt lgkmcnt(0)
	v_perm_b32 v104, v106, v103, s63
	v_cvt_f16_f32_e32 v103, v17
	v_cvt_f16_f32_e32 v16, v20
	;; [unrolled: 1-line block ×5, first 2 shown]
	v_cvt_f32_f16_e32 v20, v16
	v_cvt_f32_f16_e32 v21, v21
	;; [unrolled: 1-line block ×4, first 2 shown]
	v_cvt_f16_f32_e32 v106, v18
	v_pack_b32_f16 v122, v51, v103
	v_mfma_f32_16x16x16f16 v[16:19], v[104:105], v[40:41], v[20:23]
	s_nop 6
	ds_read_u16 v20, v176 offset:8864
	ds_read_u16 v21, v199 offset:544
	;; [unrolled: 1-line block ×4, first 2 shown]
	v_cvt_f16_f32_e32 v51, v24
	v_cvt_f16_f32_e32 v103, v25
	v_pack_b32_f16 v112, v106, v107
	s_waitcnt lgkmcnt(1)
	v_perm_b32 v21, v22, v21, s63
	s_waitcnt lgkmcnt(0)
	v_perm_b32 v20, v23, v20, s63
	v_cvt_f16_f32_e32 v16, v16
	v_cvt_f16_f32_e32 v17, v17
	;; [unrolled: 1-line block ×4, first 2 shown]
	v_cvt_f32_f16_e32 v16, v16
	v_cvt_f32_f16_e32 v17, v17
	;; [unrolled: 1-line block ×4, first 2 shown]
	s_nop 1
	v_mfma_f32_16x16x16f16 v[16:19], v[20:21], v[38:39], v[16:19]
	ds_read_u16 v20, v176 offset:13216
	ds_read_u16 v21, v200 offset:544
	;; [unrolled: 1-line block ×4, first 2 shown]
	s_waitcnt lgkmcnt(1)
	v_perm_b32 v21, v22, v21, s63
	s_waitcnt lgkmcnt(0)
	v_perm_b32 v20, v23, v20, s63
	s_nop 2
	v_cvt_f16_f32_e32 v16, v16
	v_cvt_f16_f32_e32 v17, v17
	;; [unrolled: 1-line block ×4, first 2 shown]
	v_cvt_f32_f16_e32 v16, v16
	v_cvt_f32_f16_e32 v17, v17
	;; [unrolled: 1-line block ×4, first 2 shown]
	s_nop 1
	v_mfma_f32_16x16x16f16 v[20:23], v[20:21], v[36:37], v[16:19]
	s_nop 6
	ds_read_u16 v19, v176 offset:192
	ds_read_u16 v24, v201 offset:544
	;; [unrolled: 1-line block ×4, first 2 shown]
	v_cvt_f32_f16_e32 v16, v110
	v_cvt_f32_f16_sdwa v17, v110 dst_sel:DWORD dst_unused:UNUSED_PAD src0_sel:WORD_1
	v_cvt_f32_f16_e32 v18, v118
	s_waitcnt lgkmcnt(1)
	v_perm_b32 v25, v25, v24, s63
	s_waitcnt lgkmcnt(0)
	v_perm_b32 v24, v104, v19, s63
	v_cvt_f32_f16_sdwa v19, v118 dst_sel:DWORD dst_unused:UNUSED_PAD src0_sel:WORD_1
	v_pack_b32_f16 v110, v51, v103
	s_nop 0
	v_mfma_f32_16x16x16f16 v[16:19], v[24:25], v[42:43], v[16:19]
	ds_read_u16 v24, v176 offset:4544
	ds_read_u16 v25, v202 offset:544
	;; [unrolled: 1-line block ×4, first 2 shown]
	s_waitcnt lgkmcnt(1)
	v_perm_b32 v25, v27, v25, s63
	s_waitcnt lgkmcnt(0)
	v_perm_b32 v24, v28, v24, s63
	v_cvt_f16_f32_e32 v27, v29
	s_nop 1
	v_cvt_f16_f32_e32 v16, v16
	v_cvt_f16_f32_e32 v17, v17
	;; [unrolled: 1-line block ×4, first 2 shown]
	v_cvt_f32_f16_e32 v16, v16
	v_cvt_f32_f16_e32 v17, v17
	;; [unrolled: 1-line block ×4, first 2 shown]
	v_cvt_f16_f32_e32 v28, v30
	v_cvt_f16_f32_e32 v29, v31
	v_mfma_f32_16x16x16f16 v[16:19], v[24:25], v[40:41], v[16:19]
	ds_read_u16 v24, v176 offset:8896
	ds_read_u16 v25, v203 offset:544
	;; [unrolled: 1-line block ×4, first 2 shown]
	v_pack_b32_f16 v108, v26, v27
	v_pack_b32_f16 v107, v28, v29
	s_waitcnt lgkmcnt(1)
	v_perm_b32 v25, v30, v25, s63
	s_waitcnt lgkmcnt(0)
	v_perm_b32 v24, v31, v24, s63
	v_cvt_f16_f32_e32 v30, v32
	v_cvt_f16_f32_e32 v16, v16
	;; [unrolled: 1-line block ×5, first 2 shown]
	v_cvt_f32_f16_e32 v16, v16
	v_cvt_f32_f16_e32 v17, v17
	;; [unrolled: 1-line block ×4, first 2 shown]
	v_cvt_f16_f32_e32 v32, v34
	v_cvt_f16_f32_e32 v31, v33
	v_mfma_f32_16x16x16f16 v[16:19], v[24:25], v[38:39], v[16:19]
	ds_read_u16 v24, v176 offset:13248
	ds_read_u16 v25, v204 offset:544
	;; [unrolled: 1-line block ×4, first 2 shown]
	v_cvt_f16_f32_e32 v33, v35
	v_pack_b32_f16 v104, v30, v31
	v_cvt_f16_f32_e32 v30, v20
	s_waitcnt lgkmcnt(1)
	v_perm_b32 v25, v26, v25, s63
	s_waitcnt lgkmcnt(0)
	v_perm_b32 v24, v27, v24, s63
	ds_read_u16 v27, v176 offset:224
	ds_read_u16 v28, v205 offset:544
	;; [unrolled: 1-line block ×4, first 2 shown]
	v_cvt_f16_f32_e32 v16, v16
	v_cvt_f16_f32_e32 v17, v17
	;; [unrolled: 1-line block ×4, first 2 shown]
	v_cvt_f32_f16_e32 v16, v16
	v_cvt_f32_f16_e32 v17, v17
	;; [unrolled: 1-line block ×4, first 2 shown]
	s_waitcnt lgkmcnt(1)
	v_perm_b32 v29, v29, v28, s63
	s_waitcnt lgkmcnt(0)
	v_perm_b32 v28, v34, v27, s63
	v_mfma_f32_16x16x16f16 v[16:19], v[24:25], v[36:37], v[16:19]
	v_cvt_f32_f16_e32 v24, v47
	v_cvt_f32_f16_sdwa v25, v47 dst_sel:DWORD dst_unused:UNUSED_PAD src0_sel:WORD_1
	v_cvt_f32_f16_e32 v26, v46
	v_cvt_f32_f16_sdwa v27, v46 dst_sel:DWORD dst_unused:UNUSED_PAD src0_sel:WORD_1
	v_pack_b32_f16 v103, v32, v33
	v_cvt_f16_f32_e32 v33, v23
	s_nop 4
	v_cvt_f16_f32_e32 v16, v16
	v_mfma_f32_16x16x16f16 v[24:27], v[28:29], v[42:43], v[24:27]
	ds_read_u16 v28, v176 offset:4576
	ds_read_u16 v29, v206 offset:544
	;; [unrolled: 1-line block ×4, first 2 shown]
	v_cvt_f16_f32_e32 v17, v17
	s_waitcnt lgkmcnt(1)
	v_perm_b32 v29, v31, v29, s63
	s_waitcnt lgkmcnt(0)
	v_perm_b32 v28, v32, v28, s63
	v_cvt_f16_f32_e32 v31, v21
	s_nop 0
	v_cvt_f16_f32_e32 v20, v24
	v_cvt_f16_f32_e32 v25, v25
	;; [unrolled: 1-line block ×4, first 2 shown]
	v_cvt_f32_f16_e32 v24, v20
	v_cvt_f32_f16_e32 v25, v25
	;; [unrolled: 1-line block ×4, first 2 shown]
	v_cvt_f16_f32_e32 v32, v22
	v_pack_b32_f16 v106, v30, v31
	v_mfma_f32_16x16x16f16 v[20:23], v[28:29], v[40:41], v[24:27]
	s_nop 6
	ds_read_u16 v24, v176 offset:8928
	ds_read_u16 v25, v207 offset:544
	;; [unrolled: 1-line block ×4, first 2 shown]
	v_pack_b32_f16 v105, v32, v33
	v_pack_b32_f16 v119, v16, v17
	s_waitcnt lgkmcnt(1)
	v_perm_b32 v25, v26, v25, s63
	s_waitcnt lgkmcnt(0)
	v_perm_b32 v24, v27, v24, s63
	v_cvt_f16_f32_e32 v20, v20
	v_cvt_f16_f32_e32 v21, v21
	;; [unrolled: 1-line block ×4, first 2 shown]
	v_cvt_f32_f16_e32 v20, v20
	v_cvt_f32_f16_e32 v21, v21
	;; [unrolled: 1-line block ×4, first 2 shown]
	s_nop 1
	v_mfma_f32_16x16x16f16 v[24:27], v[24:25], v[38:39], v[20:23]
	s_nop 7
	s_nop 2
	v_cvt_f16_f32_e32 v23, v24
	v_cvt_f16_f32_e32 v24, v25
	;; [unrolled: 1-line block ×4, first 2 shown]
	ds_read_u16 v21, v176 offset:13280
	ds_read_u16 v22, v208 offset:544
	;; [unrolled: 1-line block ×4, first 2 shown]
	v_cvt_f32_f16_e32 v28, v23
	v_cvt_f32_f16_e32 v29, v24
	;; [unrolled: 1-line block ×3, first 2 shown]
	s_waitcnt lgkmcnt(1)
	v_perm_b32 v23, v26, v22, s63
	s_waitcnt lgkmcnt(0)
	v_perm_b32 v22, v27, v21, s63
	v_cvt_f32_f16_e32 v31, v20
	v_cvt_f16_f32_e32 v24, v18
	v_cvt_f16_f32_e32 v25, v19
	v_mfma_f32_16x16x16f16 v[18:21], v[22:23], v[36:37], v[28:31]
	v_pack_b32_f16 v118, v24, v25
	s_barrier
	s_nop 7
	s_nop 0
	v_cvt_f16_f32_e32 v18, v18
	v_cvt_f16_f32_e32 v19, v19
	;; [unrolled: 1-line block ×4, first 2 shown]
	v_pack_b32_f16 v117, v18, v19
	v_pack_b32_f16 v116, v20, v21
	s_cbranch_vccz .LBB25_842
; %bb.839:                              ;   in Loop: Header=BB25_771 Depth=1
	v_mov_b32_e32 v139, v45
	v_mov_b32_e32 v143, v44
	s_andn2_b64 vcc, exec, s[46:47]
	s_ashr_i32 s51, s50, 31
	s_cbranch_vccz .LBB25_762
	s_branch .LBB25_771
.LBB25_840:                             ;   in Loop: Header=BB25_771 Depth=1
                                        ; implicit-def: $vgpr28_vgpr29_vgpr30_vgpr31
                                        ; implicit-def: $vgpr24_vgpr25_vgpr26_vgpr27
                                        ; implicit-def: $vgpr20_vgpr21_vgpr22_vgpr23
                                        ; implicit-def: $vgpr16_vgpr17_vgpr18_vgpr19
	s_branch .LBB25_837
.LBB25_841:
	v_mov_b32_e32 v45, 0
	v_mov_b32_e32 v44, 0xfeffffff
	;; [unrolled: 1-line block ×17, first 2 shown]
.LBB25_842:
	s_lshl_b32 s46, s52, 6
	v_readlane_b32 s4, v253, 4
	s_sub_i32 s48, s4, s46
	s_cmp_lg_u64 s[44:45], 0
	s_cselect_b64 s[8:9], -1, 0
	s_ashr_i32 s47, s46, 31
	s_cmp_eq_u64 s[44:45], 0
	v_readlane_b32 s5, v253, 5
	s_cbranch_scc1 .LBB25_876
; %bb.843:
	s_lshl_b64 s[4:5], s[46:47], 1
	s_add_u32 s4, s44, s4
	s_addc_u32 s5, s45, s5
	v_mov_b32_e32 v17, s5
	v_add_co_u32_e64 v16, s[4:5], s4, v138
	v_cmp_gt_i32_e32 vcc, s48, v48
	v_mov_b32_e32 v18, 0
	v_addc_co_u32_e64 v17, s[4:5], 0, v17, s[4:5]
	v_mov_b32_e32 v20, 0
	s_and_saveexec_b64 s[6:7], vcc
	s_cbranch_execz .LBB25_845
; %bb.844:
	v_readlane_b32 s4, v253, 15
	v_mul_hi_u32 v19, s4, v123
	v_readlane_b32 s5, v253, 16
	v_add_u32_e32 v19, v123, v19
	v_lshrrev_b32_e32 v19, s5, v19
	v_readlane_b32 s12, v253, 50
	v_mul_lo_u32 v19, v19, s12
	v_sub_u32_e32 v19, v123, v19
	v_mad_i64_i32 v[20:21], s[4:5], v19, s92, 0
	v_lshlrev_b64 v[20:21], 1, v[20:21]
	v_add_co_u32_e64 v20, s[4:5], v16, v20
	v_addc_co_u32_e64 v21, s[4:5], v17, v21, s[4:5]
	flat_load_ushort v20, v[20:21]
	v_readlane_b32 s13, v253, 51
	v_readlane_b32 s14, v253, 52
	;; [unrolled: 1-line block ×3, first 2 shown]
.LBB25_845:
	s_or_b64 exec, exec, s[6:7]
	s_movk_i32 s4, 0x90
	v_mad_u32_u24 v19, v148, s4, 0
	v_lshl_add_u32 v21, v48, 1, v19
	s_waitcnt vmcnt(0) lgkmcnt(0)
	ds_write_b16 v21, v20 offset:17408
	s_and_saveexec_b64 s[6:7], vcc
	s_cbranch_execz .LBB25_847
; %bb.846:
	v_readlane_b32 s4, v253, 15
	v_mul_hi_u32 v18, s4, v124
	v_readlane_b32 s5, v253, 16
	v_add_u32_e32 v18, v124, v18
	v_lshrrev_b32_e32 v18, s5, v18
	v_readlane_b32 s12, v253, 50
	v_mul_lo_u32 v18, v18, s12
	v_sub_u32_e32 v18, v124, v18
	v_mad_i64_i32 v[20:21], s[4:5], v18, s92, 0
	v_lshlrev_b64 v[20:21], 1, v[20:21]
	v_add_co_u32_e64 v20, s[4:5], v16, v20
	v_addc_co_u32_e64 v21, s[4:5], v17, v21, s[4:5]
	flat_load_ushort v18, v[20:21]
	v_readlane_b32 s13, v253, 51
	v_readlane_b32 s14, v253, 52
	v_readlane_b32 s15, v253, 53
.LBB25_847:
	s_or_b64 exec, exec, s[6:7]
	v_add_u32_e32 v19, 0x240, v19
	v_lshl_add_u32 v20, v48, 1, v19
	s_waitcnt vmcnt(0) lgkmcnt(0)
	ds_write_b16 v20, v18 offset:17408
	v_mov_b32_e32 v18, 0
	v_mov_b32_e32 v20, 0
	s_and_saveexec_b64 s[6:7], vcc
	s_cbranch_execz .LBB25_849
; %bb.848:
	v_readlane_b32 s4, v253, 15
	v_mul_hi_u32 v20, s4, v125
	v_readlane_b32 s5, v253, 16
	v_add_u32_e32 v20, v125, v20
	v_lshrrev_b32_e32 v20, s5, v20
	v_readlane_b32 s12, v253, 50
	v_mul_lo_u32 v20, v20, s12
	v_sub_u32_e32 v20, v125, v20
	v_mad_i64_i32 v[20:21], s[4:5], v20, s92, 0
	v_lshlrev_b64 v[20:21], 1, v[20:21]
	v_add_co_u32_e64 v20, s[4:5], v16, v20
	v_addc_co_u32_e64 v21, s[4:5], v17, v21, s[4:5]
	flat_load_ushort v20, v[20:21]
	v_readlane_b32 s13, v253, 51
	v_readlane_b32 s14, v253, 52
	v_readlane_b32 s15, v253, 53
.LBB25_849:
	s_or_b64 exec, exec, s[6:7]
	v_add_u32_e32 v19, 0x240, v19
	v_lshl_add_u32 v21, v48, 1, v19
	s_waitcnt vmcnt(0) lgkmcnt(0)
	ds_write_b16 v21, v20 offset:17408
	s_and_saveexec_b64 s[6:7], vcc
	s_cbranch_execz .LBB25_851
; %bb.850:
	v_readlane_b32 s4, v253, 15
	v_mul_hi_u32 v18, s4, v126
	v_readlane_b32 s5, v253, 16
	v_add_u32_e32 v18, v126, v18
	v_lshrrev_b32_e32 v18, s5, v18
	v_readlane_b32 s12, v253, 50
	v_mul_lo_u32 v18, v18, s12
	v_sub_u32_e32 v18, v126, v18
	v_mad_i64_i32 v[20:21], s[4:5], v18, s92, 0
	v_lshlrev_b64 v[20:21], 1, v[20:21]
	v_add_co_u32_e64 v20, s[4:5], v16, v20
	v_addc_co_u32_e64 v21, s[4:5], v17, v21, s[4:5]
	flat_load_ushort v18, v[20:21]
	v_readlane_b32 s13, v253, 51
	v_readlane_b32 s14, v253, 52
	v_readlane_b32 s15, v253, 53
.LBB25_851:
	s_or_b64 exec, exec, s[6:7]
	v_add_u32_e32 v19, 0x240, v19
	v_lshl_add_u32 v20, v48, 1, v19
	s_waitcnt vmcnt(0) lgkmcnt(0)
	ds_write_b16 v20, v18 offset:17408
	v_mov_b32_e32 v18, 0
	v_mov_b32_e32 v20, 0
	s_and_saveexec_b64 s[6:7], vcc
	s_cbranch_execz .LBB25_853
; %bb.852:
	v_readlane_b32 s4, v253, 15
	v_mul_hi_u32 v20, s4, v127
	v_readlane_b32 s5, v253, 16
	v_add_u32_e32 v20, v127, v20
	v_lshrrev_b32_e32 v20, s5, v20
	v_readlane_b32 s12, v253, 50
	v_mul_lo_u32 v20, v20, s12
	v_sub_u32_e32 v20, v127, v20
	v_mad_i64_i32 v[20:21], s[4:5], v20, s92, 0
	v_lshlrev_b64 v[20:21], 1, v[20:21]
	v_add_co_u32_e64 v20, s[4:5], v16, v20
	v_addc_co_u32_e64 v21, s[4:5], v17, v21, s[4:5]
	flat_load_ushort v20, v[20:21]
	v_readlane_b32 s13, v253, 51
	v_readlane_b32 s14, v253, 52
	v_readlane_b32 s15, v253, 53
.LBB25_853:
	s_or_b64 exec, exec, s[6:7]
	v_add_u32_e32 v19, 0x240, v19
	;; [unrolled: 52-line block ×7, first 2 shown]
	v_lshl_add_u32 v19, v48, 1, v19
	s_waitcnt vmcnt(0) lgkmcnt(0)
	ds_write_b16 v19, v20 offset:17408
	s_and_saveexec_b64 s[4:5], vcc
	s_cbranch_execz .LBB25_875
; %bb.874:
	v_readlane_b32 s6, v253, 15
	v_mul_hi_u32 v18, s6, v136
	v_readlane_b32 s7, v253, 16
	v_add_u32_e32 v18, v136, v18
	v_lshrrev_b32_e32 v18, s7, v18
	v_readlane_b32 s12, v253, 50
	v_mul_lo_u32 v18, v18, s12
	v_sub_u32_e32 v18, v136, v18
	v_mad_i64_i32 v[20:21], s[6:7], v18, s92, 0
	v_lshlrev_b64 v[20:21], 1, v[20:21]
	v_add_co_u32_e32 v16, vcc, v16, v20
	v_addc_co_u32_e32 v17, vcc, v17, v21, vcc
	flat_load_ushort v18, v[16:17]
	v_readlane_b32 s13, v253, 51
	v_readlane_b32 s14, v253, 52
	;; [unrolled: 1-line block ×3, first 2 shown]
.LBB25_875:
	s_or_b64 exec, exec, s[4:5]
	s_waitcnt vmcnt(0) lgkmcnt(0)
	ds_write_b16 v19, v18 offset:17984
.LBB25_876:
	v_lshlrev_b32_e32 v40, 2, v148
	s_mul_hi_i32 s5, s46, s96
	s_mul_i32 s4, s46, s96
	v_add_u32_e32 v37, v40, v153
	s_lshl_b64 s[4:5], s[4:5], 2
	v_mov_b32_e32 v16, 0
	v_mul_lo_u32 v20, s96, v37
	s_add_u32 s12, s54, s4
	buffer_store_dword v16, off, s[0:3], 0
	buffer_store_dword v16, off, s[0:3], 0 offset:4
	buffer_store_dword v16, off, s[0:3], 0 offset:8
	;; [unrolled: 1-line block ×3, first 2 shown]
	v_and_b32_e32 v16, 60, v137
	v_ashrrev_i32_e32 v21, 31, v20
	s_addc_u32 s13, s55, s5
	v_lshlrev_b32_e32 v35, 2, v16
	v_lshlrev_b64 v[16:17], 2, v[20:21]
	v_mov_b32_e32 v18, s13
	v_add_co_u32_e32 v16, vcc, s12, v16
	v_addc_co_u32_e32 v17, vcc, v18, v17, vcc
	s_mov_b64 s[4:5], src_private_base
	v_add_co_u32_e32 v16, vcc, v16, v35
	v_addc_co_u32_e32 v17, vcc, 0, v17, vcc
	v_mov_b32_e32 v24, s5
	v_cmp_gt_i32_e64 s[10:11], s48, v37
	v_mov_b32_e32 v25, 0
	v_cndmask_b32_e64 v17, v24, v17, s[10:11]
	v_cndmask_b32_e64 v16, v25, v16, s[10:11]
	flat_load_dwordx4 v[16:19], v[16:17]
	s_lshl_b32 s4, s96, 4
	v_mul_u32_u24_e32 v21, 0x110, v37
	v_add_u32_e32 v20, s4, v20
	v_add3_u32 v36, 0, v21, v35
	v_ashrrev_i32_e32 v21, 31, v20
	v_lshlrev_b64 v[22:23], 2, v[20:21]
	v_mov_b32_e32 v27, s13
	v_add_co_u32_e32 v21, vcc, s12, v22
	v_addc_co_u32_e32 v22, vcc, v27, v23, vcc
	v_add_u32_e32 v26, 16, v37
	v_add_co_u32_e32 v21, vcc, v21, v35
	v_addc_co_u32_e32 v22, vcc, 0, v22, vcc
	v_cmp_gt_i32_e64 s[44:45], s48, v26
	v_cndmask_b32_e64 v23, v24, v22, s[44:45]
	v_cndmask_b32_e64 v22, v25, v21, s[44:45]
	v_add_u32_e32 v20, s4, v20
	v_ashrrev_i32_e32 v21, 31, v20
	v_add_u32_e32 v26, 32, v37
	v_cmp_gt_i32_e64 s[6:7], s48, v26
	v_add3_u32 v32, 0, v149, v151
	v_add_u32_e32 v33, 0x1000, v32
	v_add_u32_e32 v34, 0x2000, v32
	;; [unrolled: 1-line block ×3, first 2 shown]
	s_waitcnt vmcnt(0) lgkmcnt(0)
	ds_write_b128 v36, v[16:19]
	flat_load_dwordx4 v[16:19], v[22:23]
	v_lshlrev_b64 v[22:23], 2, v[20:21]
	v_add_co_u32_e32 v21, vcc, s12, v22
	v_addc_co_u32_e32 v22, vcc, v27, v23, vcc
	v_add_co_u32_e32 v21, vcc, v21, v35
	v_addc_co_u32_e32 v22, vcc, 0, v22, vcc
	v_cndmask_b32_e64 v23, v24, v22, s[6:7]
	v_cndmask_b32_e64 v22, v25, v21, s[6:7]
	v_add_u32_e32 v20, s4, v20
	v_ashrrev_i32_e32 v21, 31, v20
	v_lshlrev_b64 v[20:21], 2, v[20:21]
	v_add_co_u32_e32 v20, vcc, s12, v20
	s_mov_b32 s12, 0x3f200000
	s_waitcnt vmcnt(0) lgkmcnt(0)
	ds_write_b128 v36, v[16:19] offset:4352
	flat_load_dwordx4 v[16:19], v[22:23]
	v_mov_b32_e32 v23, s13
	v_addc_co_u32_e32 v21, vcc, v23, v21, vcc
	v_add_u32_e32 v22, 48, v37
	v_add_co_u32_e32 v20, vcc, v20, v35
	v_addc_co_u32_e32 v21, vcc, 0, v21, vcc
	v_cmp_gt_i32_e64 s[4:5], s48, v22
	v_cndmask_b32_e64 v21, v24, v21, s[4:5]
	v_cndmask_b32_e64 v20, v25, v20, s[4:5]
	s_waitcnt vmcnt(0) lgkmcnt(0)
	ds_write_b128 v36, v[16:19] offset:8704
	flat_load_dwordx4 v[16:19], v[20:21]
	s_waitcnt vmcnt(0) lgkmcnt(0)
	ds_write_b128 v36, v[16:19] offset:13056
	s_waitcnt lgkmcnt(0)
	s_barrier
	ds_read2_b64 v[16:19], v32 offset1:4
	ds_read2_b64 v[24:27], v33 offset0:32 offset1:36
	ds_read2_b64 v[52:55], v34 offset0:64 offset1:68
	;; [unrolled: 1-line block ×3, first 2 shown]
	s_waitcnt lgkmcnt(3)
	v_mfma_f32_16x16x16f16 v[20:23], v[16:17], v[12:13], 0
	s_waitcnt lgkmcnt(2)
	v_mfma_f32_16x16x16f16 v[28:31], v[24:25], v[12:13], 0
	;; [unrolled: 2-line block ×4, first 2 shown]
	v_mfma_f32_16x16x16f16 v[16:19], v[18:19], v[14:15], v[20:23]
	v_mfma_f32_16x16x16f16 v[20:23], v[26:27], v[14:15], v[28:31]
	;; [unrolled: 1-line block ×3, first 2 shown]
	s_nop 5
	ds_read2_b64 v[28:31], v32 offset0:8 offset1:12
	ds_read2_b64 v[52:55], v33 offset0:40 offset1:44
	v_mfma_f32_16x16x16f16 v[12:15], v[62:63], v[14:15], v[64:67]
	ds_read2_b64 v[56:59], v34 offset0:72 offset1:76
	ds_read2_b64 v[60:63], v38 offset0:104 offset1:108
	s_waitcnt lgkmcnt(3)
	v_mfma_f32_16x16x16f16 v[16:19], v[28:29], v[8:9], v[16:19]
	s_waitcnt lgkmcnt(2)
	v_mfma_f32_16x16x16f16 v[20:23], v[52:53], v[8:9], v[20:23]
	;; [unrolled: 2-line block ×4, first 2 shown]
	v_mfma_f32_16x16x16f16 v[16:19], v[30:31], v[10:11], v[16:19]
	ds_read2_b64 v[28:31], v33 offset0:48 offset1:52
	v_mfma_f32_16x16x16f16 v[20:23], v[54:55], v[10:11], v[20:23]
	ds_read2_b64 v[52:55], v34 offset0:80 offset1:84
	;; [unrolled: 2-line block ×3, first 2 shown]
	v_mfma_f32_16x16x16f16 v[8:11], v[62:63], v[10:11], v[12:15]
	s_nop 6
	ds_read2_b64 v[12:15], v32 offset0:16 offset1:20
	s_waitcnt lgkmcnt(0)
	v_mfma_f32_16x16x16f16 v[16:19], v[12:13], v[4:5], v[16:19]
	v_mfma_f32_16x16x16f16 v[20:23], v[28:29], v[4:5], v[20:23]
	;; [unrolled: 1-line block ×6, first 2 shown]
	ds_read2_b64 v[28:31], v34 offset0:88 offset1:92
	v_mfma_f32_16x16x16f16 v[20:23], v[54:55], v[6:7], v[24:27]
	ds_read2_b64 v[52:55], v38 offset0:120 offset1:124
	v_mfma_f32_16x16x16f16 v[4:7], v[58:59], v[6:7], v[8:11]
	s_nop 4
	ds_read2_b64 v[24:27], v33 offset0:56 offset1:60
	s_nop 0
	ds_read2_b64 v[8:11], v32 offset0:24 offset1:28
	s_waitcnt lgkmcnt(0)
	v_mfma_f32_16x16x16f16 v[12:15], v[8:9], v[0:1], v[12:15]
	s_barrier
	v_mfma_f32_16x16x16f16 v[16:19], v[24:25], v[0:1], v[16:19]
	v_mfma_f32_16x16x16f16 v[20:23], v[28:29], v[0:1], v[20:23]
	;; [unrolled: 1-line block ×5, first 2 shown]
	s_nop 7
	s_nop 1
	v_cmp_nlt_f32_e64 s[12:13], |v4|, s12
                                        ; implicit-def: $vgpr16
	v_mfma_f32_16x16x16f16 v[12:15], v[30:31], v[2:3], v[20:23]
	v_mfma_f32_16x16x16f16 v[0:3], v[54:55], v[2:3], v[56:59]
	s_and_saveexec_b64 s[14:15], s[12:13]
	s_xor_b64 s[12:13], exec, s[14:15]
	s_cbranch_execz .LBB25_878
; %bb.877:
	v_add_f32_e64 v16, |v4|, |v4|
	v_mul_f32_e32 v17, 0x3fb8aa3b, v16
	s_mov_b32 s14, 0x3fb8aa3b
	v_rndne_f32_e32 v18, v17
	v_sub_f32_e32 v19, v17, v18
	v_fma_f32 v17, v16, s14, -v17
	v_fmac_f32_e32 v17, 0x32a5705f, v16
	v_add_f32_e32 v17, v19, v17
	v_exp_f32_e32 v17, v17
	v_cvt_i32_f32_e32 v18, v18
	s_mov_b32 s14, 0xc2ce8ed0
	v_cmp_ngt_f32_e32 vcc, s14, v16
	s_mov_b32 s14, 0x42b17218
	v_ldexp_f32 v17, v17, v18
	v_cndmask_b32_e32 v17, 0, v17, vcc
	v_mov_b32_e32 v18, 0x7f800000
	v_cmp_nlt_f32_e32 vcc, s14, v16
	v_cndmask_b32_e32 v16, v18, v17, vcc
	v_add_f32_e32 v16, 1.0, v16
	v_rcp_f32_e32 v16, v16
	v_fma_f32 v16, v16, -2.0, 1.0
.LBB25_878:
	s_andn2_saveexec_b64 s[12:13], s[12:13]
; %bb.879:
	v_mul_f32_e32 v16, v4, v4
	v_mov_b32_e32 v17, 0x3ca908c9
	v_fmac_f32_e32 v17, 0xbbbac73d, v16
	v_mov_b32_e32 v18, 0xbd5c1c4e
	v_fmac_f32_e32 v18, v16, v17
	;; [unrolled: 2-line block ×4, first 2 shown]
	v_mul_f32_e64 v17, |v4|, v18
	v_fma_f32 v16, v16, v17, |v4|
; %bb.880:
	s_or_b64 exec, exec, s[12:13]
	s_mov_b32 s12, 0x3f200000
	v_cmp_nlt_f32_e64 s[12:13], |v5|, s12
                                        ; implicit-def: $vgpr17
	s_and_saveexec_b64 s[14:15], s[12:13]
	s_xor_b64 s[12:13], exec, s[14:15]
	s_cbranch_execz .LBB25_882
; %bb.881:
	v_add_f32_e64 v17, |v5|, |v5|
	v_mul_f32_e32 v18, 0x3fb8aa3b, v17
	s_mov_b32 s14, 0x3fb8aa3b
	v_rndne_f32_e32 v19, v18
	v_sub_f32_e32 v20, v18, v19
	v_fma_f32 v18, v17, s14, -v18
	v_fmac_f32_e32 v18, 0x32a5705f, v17
	v_add_f32_e32 v18, v20, v18
	v_exp_f32_e32 v18, v18
	v_cvt_i32_f32_e32 v19, v19
	s_mov_b32 s14, 0xc2ce8ed0
	v_cmp_ngt_f32_e32 vcc, s14, v17
	s_mov_b32 s14, 0x42b17218
	v_ldexp_f32 v18, v18, v19
	v_cndmask_b32_e32 v18, 0, v18, vcc
	v_mov_b32_e32 v19, 0x7f800000
	v_cmp_nlt_f32_e32 vcc, s14, v17
	v_cndmask_b32_e32 v17, v19, v18, vcc
	v_add_f32_e32 v17, 1.0, v17
	v_rcp_f32_e32 v17, v17
	v_fma_f32 v17, v17, -2.0, 1.0
.LBB25_882:
	s_andn2_saveexec_b64 s[12:13], s[12:13]
; %bb.883:
	v_mul_f32_e32 v17, v5, v5
	v_mov_b32_e32 v18, 0x3ca908c9
	v_fmac_f32_e32 v18, 0xbbbac73d, v17
	v_mov_b32_e32 v19, 0xbd5c1c4e
	v_fmac_f32_e32 v19, v17, v18
	v_mov_b32_e32 v18, 0x3e088382
	v_fmac_f32_e32 v18, v17, v19
	v_mov_b32_e32 v19, 0xbeaaaa99
	v_fmac_f32_e32 v19, v17, v18
	v_mul_f32_e64 v18, |v5|, v19
	v_fma_f32 v17, v17, v18, |v5|
; %bb.884:
	s_or_b64 exec, exec, s[12:13]
	s_mov_b32 s12, 0x3f200000
	v_cmp_nlt_f32_e64 s[12:13], |v6|, s12
                                        ; implicit-def: $vgpr21
	s_and_saveexec_b64 s[14:15], s[12:13]
	s_xor_b64 s[12:13], exec, s[14:15]
	s_cbranch_execz .LBB25_886
; %bb.885:
	v_add_f32_e64 v18, |v6|, |v6|
	v_mul_f32_e32 v19, 0x3fb8aa3b, v18
	s_mov_b32 s14, 0x3fb8aa3b
	v_rndne_f32_e32 v20, v19
	v_sub_f32_e32 v21, v19, v20
	v_fma_f32 v19, v18, s14, -v19
	v_fmac_f32_e32 v19, 0x32a5705f, v18
	v_add_f32_e32 v19, v21, v19
	v_exp_f32_e32 v19, v19
	v_cvt_i32_f32_e32 v20, v20
	s_mov_b32 s14, 0xc2ce8ed0
	v_cmp_ngt_f32_e32 vcc, s14, v18
	s_mov_b32 s14, 0x42b17218
	v_ldexp_f32 v19, v19, v20
	v_cndmask_b32_e32 v19, 0, v19, vcc
	v_mov_b32_e32 v20, 0x7f800000
	v_cmp_nlt_f32_e32 vcc, s14, v18
	v_cndmask_b32_e32 v18, v20, v19, vcc
	v_add_f32_e32 v18, 1.0, v18
	v_rcp_f32_e32 v18, v18
	v_fma_f32 v21, v18, -2.0, 1.0
.LBB25_886:
	s_andn2_saveexec_b64 s[12:13], s[12:13]
; %bb.887:
	v_mul_f32_e32 v18, v6, v6
	v_mov_b32_e32 v19, 0x3ca908c9
	v_fmac_f32_e32 v19, 0xbbbac73d, v18
	v_mov_b32_e32 v20, 0xbd5c1c4e
	v_fmac_f32_e32 v20, v18, v19
	;; [unrolled: 2-line block ×4, first 2 shown]
	v_mul_f32_e64 v19, |v6|, v20
	v_fma_f32 v21, v18, v19, |v6|
; %bb.888:
	s_or_b64 exec, exec, s[12:13]
	s_mov_b32 s12, 0x3f200000
	v_cmp_nlt_f32_e64 s[12:13], |v7|, s12
                                        ; implicit-def: $vgpr33
	s_and_saveexec_b64 s[14:15], s[12:13]
	s_xor_b64 s[12:13], exec, s[14:15]
	s_cbranch_execz .LBB25_890
; %bb.889:
	v_add_f32_e64 v18, |v7|, |v7|
	v_mul_f32_e32 v19, 0x3fb8aa3b, v18
	s_mov_b32 s14, 0x3fb8aa3b
	v_rndne_f32_e32 v20, v19
	v_sub_f32_e32 v22, v19, v20
	v_fma_f32 v19, v18, s14, -v19
	v_fmac_f32_e32 v19, 0x32a5705f, v18
	v_add_f32_e32 v19, v22, v19
	v_exp_f32_e32 v19, v19
	v_cvt_i32_f32_e32 v20, v20
	s_mov_b32 s14, 0xc2ce8ed0
	v_cmp_ngt_f32_e32 vcc, s14, v18
	s_mov_b32 s14, 0x42b17218
	v_ldexp_f32 v19, v19, v20
	v_cndmask_b32_e32 v19, 0, v19, vcc
	v_mov_b32_e32 v20, 0x7f800000
	v_cmp_nlt_f32_e32 vcc, s14, v18
	v_cndmask_b32_e32 v18, v20, v19, vcc
	v_add_f32_e32 v18, 1.0, v18
	v_rcp_f32_e32 v18, v18
	v_fma_f32 v33, v18, -2.0, 1.0
.LBB25_890:
	s_andn2_saveexec_b64 s[12:13], s[12:13]
; %bb.891:
	v_mul_f32_e32 v18, v7, v7
	v_mov_b32_e32 v19, 0x3ca908c9
	v_fmac_f32_e32 v19, 0xbbbac73d, v18
	v_mov_b32_e32 v20, 0xbd5c1c4e
	v_fmac_f32_e32 v20, v18, v19
	v_mov_b32_e32 v19, 0x3e088382
	v_fmac_f32_e32 v19, v18, v20
	v_mov_b32_e32 v20, 0xbeaaaa99
	v_fmac_f32_e32 v20, v18, v19
	v_mul_f32_e64 v19, |v7|, v20
	v_fma_f32 v33, v18, v19, |v7|
; %bb.892:
	s_or_b64 exec, exec, s[12:13]
	s_mov_b32 s12, 0x3f200000
	v_cmp_nlt_f32_e64 s[12:13], |v8|, s12
                                        ; implicit-def: $vgpr26
	s_and_saveexec_b64 s[14:15], s[12:13]
	s_xor_b64 s[12:13], exec, s[14:15]
	s_cbranch_execz .LBB25_894
; %bb.893:
	v_add_f32_e64 v18, |v8|, |v8|
	v_mul_f32_e32 v19, 0x3fb8aa3b, v18
	s_mov_b32 s14, 0x3fb8aa3b
	v_rndne_f32_e32 v20, v19
	v_sub_f32_e32 v22, v19, v20
	v_fma_f32 v19, v18, s14, -v19
	v_fmac_f32_e32 v19, 0x32a5705f, v18
	v_add_f32_e32 v19, v22, v19
	v_exp_f32_e32 v19, v19
	v_cvt_i32_f32_e32 v20, v20
	s_mov_b32 s14, 0xc2ce8ed0
	v_cmp_ngt_f32_e32 vcc, s14, v18
	s_mov_b32 s14, 0x42b17218
	v_ldexp_f32 v19, v19, v20
	v_cndmask_b32_e32 v19, 0, v19, vcc
	v_mov_b32_e32 v20, 0x7f800000
	v_cmp_nlt_f32_e32 vcc, s14, v18
	v_cndmask_b32_e32 v18, v20, v19, vcc
	v_add_f32_e32 v18, 1.0, v18
	v_rcp_f32_e32 v18, v18
	v_fma_f32 v26, v18, -2.0, 1.0
.LBB25_894:
	s_andn2_saveexec_b64 s[12:13], s[12:13]
; %bb.895:
	v_mul_f32_e32 v18, v8, v8
	v_mov_b32_e32 v19, 0x3ca908c9
	v_fmac_f32_e32 v19, 0xbbbac73d, v18
	v_mov_b32_e32 v20, 0xbd5c1c4e
	v_fmac_f32_e32 v20, v18, v19
	;; [unrolled: 2-line block ×4, first 2 shown]
	v_mul_f32_e64 v19, |v8|, v20
	v_fma_f32 v26, v18, v19, |v8|
; %bb.896:
	s_or_b64 exec, exec, s[12:13]
	s_mov_b32 s12, 0x3f200000
	v_cmp_nlt_f32_e64 s[12:13], |v9|, s12
                                        ; implicit-def: $vgpr27
	s_and_saveexec_b64 s[14:15], s[12:13]
	s_xor_b64 s[12:13], exec, s[14:15]
	s_cbranch_execz .LBB25_898
; %bb.897:
	v_add_f32_e64 v18, |v9|, |v9|
	v_mul_f32_e32 v19, 0x3fb8aa3b, v18
	s_mov_b32 s14, 0x3fb8aa3b
	v_rndne_f32_e32 v20, v19
	v_sub_f32_e32 v22, v19, v20
	v_fma_f32 v19, v18, s14, -v19
	v_fmac_f32_e32 v19, 0x32a5705f, v18
	v_add_f32_e32 v19, v22, v19
	v_exp_f32_e32 v19, v19
	v_cvt_i32_f32_e32 v20, v20
	s_mov_b32 s14, 0xc2ce8ed0
	v_cmp_ngt_f32_e32 vcc, s14, v18
	s_mov_b32 s14, 0x42b17218
	v_ldexp_f32 v19, v19, v20
	v_cndmask_b32_e32 v19, 0, v19, vcc
	v_mov_b32_e32 v20, 0x7f800000
	v_cmp_nlt_f32_e32 vcc, s14, v18
	v_cndmask_b32_e32 v18, v20, v19, vcc
	v_add_f32_e32 v18, 1.0, v18
	v_rcp_f32_e32 v18, v18
	v_fma_f32 v27, v18, -2.0, 1.0
.LBB25_898:
	s_andn2_saveexec_b64 s[12:13], s[12:13]
; %bb.899:
	v_mul_f32_e32 v18, v9, v9
	v_mov_b32_e32 v19, 0x3ca908c9
	v_fmac_f32_e32 v19, 0xbbbac73d, v18
	v_mov_b32_e32 v20, 0xbd5c1c4e
	v_fmac_f32_e32 v20, v18, v19
	;; [unrolled: 2-line block ×4, first 2 shown]
	v_mul_f32_e64 v19, |v9|, v20
	v_fma_f32 v27, v18, v19, |v9|
; %bb.900:
	s_or_b64 exec, exec, s[12:13]
	s_mov_b32 s12, 0x3f200000
	v_cmp_nlt_f32_e64 s[12:13], |v10|, s12
                                        ; implicit-def: $vgpr28
	s_and_saveexec_b64 s[14:15], s[12:13]
	s_xor_b64 s[12:13], exec, s[14:15]
	s_cbranch_execz .LBB25_902
; %bb.901:
	v_add_f32_e64 v18, |v10|, |v10|
	v_mul_f32_e32 v19, 0x3fb8aa3b, v18
	s_mov_b32 s14, 0x3fb8aa3b
	v_rndne_f32_e32 v20, v19
	v_sub_f32_e32 v22, v19, v20
	v_fma_f32 v19, v18, s14, -v19
	v_fmac_f32_e32 v19, 0x32a5705f, v18
	v_add_f32_e32 v19, v22, v19
	v_exp_f32_e32 v19, v19
	v_cvt_i32_f32_e32 v20, v20
	s_mov_b32 s14, 0xc2ce8ed0
	v_cmp_ngt_f32_e32 vcc, s14, v18
	s_mov_b32 s14, 0x42b17218
	v_ldexp_f32 v19, v19, v20
	v_cndmask_b32_e32 v19, 0, v19, vcc
	v_mov_b32_e32 v20, 0x7f800000
	v_cmp_nlt_f32_e32 vcc, s14, v18
	v_cndmask_b32_e32 v18, v20, v19, vcc
	v_add_f32_e32 v18, 1.0, v18
	v_rcp_f32_e32 v18, v18
	v_fma_f32 v28, v18, -2.0, 1.0
.LBB25_902:
	s_andn2_saveexec_b64 s[12:13], s[12:13]
; %bb.903:
	v_mul_f32_e32 v18, v10, v10
	v_mov_b32_e32 v19, 0x3ca908c9
	v_fmac_f32_e32 v19, 0xbbbac73d, v18
	v_mov_b32_e32 v20, 0xbd5c1c4e
	v_fmac_f32_e32 v20, v18, v19
	v_mov_b32_e32 v19, 0x3e088382
	v_fmac_f32_e32 v19, v18, v20
	v_mov_b32_e32 v20, 0xbeaaaa99
	v_fmac_f32_e32 v20, v18, v19
	v_mul_f32_e64 v19, |v10|, v20
	v_fma_f32 v28, v18, v19, |v10|
; %bb.904:
	s_or_b64 exec, exec, s[12:13]
	s_mov_b32 s12, 0x3f200000
	v_cmp_nlt_f32_e64 s[12:13], |v11|, s12
                                        ; implicit-def: $vgpr29
	s_and_saveexec_b64 s[14:15], s[12:13]
	s_xor_b64 s[12:13], exec, s[14:15]
	s_cbranch_execz .LBB25_906
; %bb.905:
	v_add_f32_e64 v18, |v11|, |v11|
	v_mul_f32_e32 v19, 0x3fb8aa3b, v18
	s_mov_b32 s14, 0x3fb8aa3b
	v_rndne_f32_e32 v20, v19
	v_sub_f32_e32 v22, v19, v20
	v_fma_f32 v19, v18, s14, -v19
	v_fmac_f32_e32 v19, 0x32a5705f, v18
	v_add_f32_e32 v19, v22, v19
	v_exp_f32_e32 v19, v19
	v_cvt_i32_f32_e32 v20, v20
	s_mov_b32 s14, 0xc2ce8ed0
	v_cmp_ngt_f32_e32 vcc, s14, v18
	s_mov_b32 s14, 0x42b17218
	v_ldexp_f32 v19, v19, v20
	v_cndmask_b32_e32 v19, 0, v19, vcc
	v_mov_b32_e32 v20, 0x7f800000
	v_cmp_nlt_f32_e32 vcc, s14, v18
	v_cndmask_b32_e32 v18, v20, v19, vcc
	v_add_f32_e32 v18, 1.0, v18
	v_rcp_f32_e32 v18, v18
	v_fma_f32 v29, v18, -2.0, 1.0
.LBB25_906:
	s_andn2_saveexec_b64 s[12:13], s[12:13]
; %bb.907:
	v_mul_f32_e32 v18, v11, v11
	v_mov_b32_e32 v19, 0x3ca908c9
	v_fmac_f32_e32 v19, 0xbbbac73d, v18
	v_mov_b32_e32 v20, 0xbd5c1c4e
	v_fmac_f32_e32 v20, v18, v19
	v_mov_b32_e32 v19, 0x3e088382
	v_fmac_f32_e32 v19, v18, v20
	v_mov_b32_e32 v20, 0xbeaaaa99
	v_fmac_f32_e32 v20, v18, v19
	v_mul_f32_e64 v19, |v11|, v20
	v_fma_f32 v29, v18, v19, |v11|
; %bb.908:
	s_or_b64 exec, exec, s[12:13]
	s_mov_b32 s12, 0x3f200000
	v_cmp_nlt_f32_e64 s[12:13], |v12|, s12
                                        ; implicit-def: $vgpr22
	s_and_saveexec_b64 s[14:15], s[12:13]
	s_xor_b64 s[12:13], exec, s[14:15]
	s_cbranch_execz .LBB25_910
; %bb.909:
	v_add_f32_e64 v18, |v12|, |v12|
	v_mul_f32_e32 v19, 0x3fb8aa3b, v18
	s_mov_b32 s14, 0x3fb8aa3b
	v_rndne_f32_e32 v20, v19
	v_sub_f32_e32 v22, v19, v20
	v_fma_f32 v19, v18, s14, -v19
	v_fmac_f32_e32 v19, 0x32a5705f, v18
	v_add_f32_e32 v19, v22, v19
	v_exp_f32_e32 v19, v19
	v_cvt_i32_f32_e32 v20, v20
	s_mov_b32 s14, 0xc2ce8ed0
	v_cmp_ngt_f32_e32 vcc, s14, v18
	s_mov_b32 s14, 0x42b17218
	v_ldexp_f32 v19, v19, v20
	v_cndmask_b32_e32 v19, 0, v19, vcc
	v_mov_b32_e32 v20, 0x7f800000
	v_cmp_nlt_f32_e32 vcc, s14, v18
	v_cndmask_b32_e32 v18, v20, v19, vcc
	v_add_f32_e32 v18, 1.0, v18
	v_rcp_f32_e32 v18, v18
	v_fma_f32 v22, v18, -2.0, 1.0
.LBB25_910:
	s_andn2_saveexec_b64 s[12:13], s[12:13]
; %bb.911:
	v_mul_f32_e32 v18, v12, v12
	v_mov_b32_e32 v19, 0x3ca908c9
	v_fmac_f32_e32 v19, 0xbbbac73d, v18
	v_mov_b32_e32 v20, 0xbd5c1c4e
	v_fmac_f32_e32 v20, v18, v19
	;; [unrolled: 2-line block ×4, first 2 shown]
	v_mul_f32_e64 v19, |v12|, v20
	v_fma_f32 v22, v18, v19, |v12|
; %bb.912:
	s_or_b64 exec, exec, s[12:13]
	s_mov_b32 s12, 0x3f200000
	v_cmp_nlt_f32_e64 s[12:13], |v13|, s12
                                        ; implicit-def: $vgpr23
	s_and_saveexec_b64 s[14:15], s[12:13]
	s_xor_b64 s[12:13], exec, s[14:15]
	s_cbranch_execz .LBB25_914
; %bb.913:
	v_add_f32_e64 v18, |v13|, |v13|
	v_mul_f32_e32 v19, 0x3fb8aa3b, v18
	s_mov_b32 s14, 0x3fb8aa3b
	v_rndne_f32_e32 v20, v19
	v_sub_f32_e32 v23, v19, v20
	v_fma_f32 v19, v18, s14, -v19
	v_fmac_f32_e32 v19, 0x32a5705f, v18
	v_add_f32_e32 v19, v23, v19
	v_exp_f32_e32 v19, v19
	v_cvt_i32_f32_e32 v20, v20
	s_mov_b32 s14, 0xc2ce8ed0
	v_cmp_ngt_f32_e32 vcc, s14, v18
	s_mov_b32 s14, 0x42b17218
	v_ldexp_f32 v19, v19, v20
	v_cndmask_b32_e32 v19, 0, v19, vcc
	v_mov_b32_e32 v20, 0x7f800000
	v_cmp_nlt_f32_e32 vcc, s14, v18
	v_cndmask_b32_e32 v18, v20, v19, vcc
	v_add_f32_e32 v18, 1.0, v18
	v_rcp_f32_e32 v18, v18
	v_fma_f32 v23, v18, -2.0, 1.0
.LBB25_914:
	s_andn2_saveexec_b64 s[12:13], s[12:13]
; %bb.915:
	v_mul_f32_e32 v18, v13, v13
	v_mov_b32_e32 v19, 0x3ca908c9
	v_fmac_f32_e32 v19, 0xbbbac73d, v18
	v_mov_b32_e32 v20, 0xbd5c1c4e
	v_fmac_f32_e32 v20, v18, v19
	;; [unrolled: 2-line block ×4, first 2 shown]
	v_mul_f32_e64 v19, |v13|, v20
	v_fma_f32 v23, v18, v19, |v13|
; %bb.916:
	s_or_b64 exec, exec, s[12:13]
	s_mov_b32 s12, 0x3f200000
	v_cmp_nlt_f32_e64 s[12:13], |v14|, s12
                                        ; implicit-def: $vgpr24
	s_and_saveexec_b64 s[14:15], s[12:13]
	s_xor_b64 s[12:13], exec, s[14:15]
	s_cbranch_execz .LBB25_918
; %bb.917:
	v_add_f32_e64 v18, |v14|, |v14|
	v_mul_f32_e32 v19, 0x3fb8aa3b, v18
	s_mov_b32 s14, 0x3fb8aa3b
	v_rndne_f32_e32 v20, v19
	v_sub_f32_e32 v24, v19, v20
	v_fma_f32 v19, v18, s14, -v19
	v_fmac_f32_e32 v19, 0x32a5705f, v18
	v_add_f32_e32 v19, v24, v19
	v_exp_f32_e32 v19, v19
	v_cvt_i32_f32_e32 v20, v20
	s_mov_b32 s14, 0xc2ce8ed0
	v_cmp_ngt_f32_e32 vcc, s14, v18
	s_mov_b32 s14, 0x42b17218
	v_ldexp_f32 v19, v19, v20
	v_cndmask_b32_e32 v19, 0, v19, vcc
	v_mov_b32_e32 v20, 0x7f800000
	v_cmp_nlt_f32_e32 vcc, s14, v18
	v_cndmask_b32_e32 v18, v20, v19, vcc
	v_add_f32_e32 v18, 1.0, v18
	v_rcp_f32_e32 v18, v18
	v_fma_f32 v24, v18, -2.0, 1.0
.LBB25_918:
	s_andn2_saveexec_b64 s[12:13], s[12:13]
; %bb.919:
	v_mul_f32_e32 v18, v14, v14
	v_mov_b32_e32 v19, 0x3ca908c9
	v_fmac_f32_e32 v19, 0xbbbac73d, v18
	v_mov_b32_e32 v20, 0xbd5c1c4e
	v_fmac_f32_e32 v20, v18, v19
	;; [unrolled: 2-line block ×4, first 2 shown]
	v_mul_f32_e64 v19, |v14|, v20
	v_fma_f32 v24, v18, v19, |v14|
; %bb.920:
	s_or_b64 exec, exec, s[12:13]
	s_mov_b32 s12, 0x3f200000
	v_cmp_nlt_f32_e64 s[12:13], |v15|, s12
                                        ; implicit-def: $vgpr25
	s_and_saveexec_b64 s[14:15], s[12:13]
	s_xor_b64 s[12:13], exec, s[14:15]
	s_cbranch_execz .LBB25_922
; %bb.921:
	v_add_f32_e64 v18, |v15|, |v15|
	v_mul_f32_e32 v19, 0x3fb8aa3b, v18
	s_mov_b32 s14, 0x3fb8aa3b
	v_rndne_f32_e32 v20, v19
	v_sub_f32_e32 v25, v19, v20
	v_fma_f32 v19, v18, s14, -v19
	v_fmac_f32_e32 v19, 0x32a5705f, v18
	v_add_f32_e32 v19, v25, v19
	v_exp_f32_e32 v19, v19
	v_cvt_i32_f32_e32 v20, v20
	s_mov_b32 s14, 0xc2ce8ed0
	v_cmp_ngt_f32_e32 vcc, s14, v18
	s_mov_b32 s14, 0x42b17218
	v_ldexp_f32 v19, v19, v20
	v_cndmask_b32_e32 v19, 0, v19, vcc
	v_mov_b32_e32 v20, 0x7f800000
	v_cmp_nlt_f32_e32 vcc, s14, v18
	v_cndmask_b32_e32 v18, v20, v19, vcc
	v_add_f32_e32 v18, 1.0, v18
	v_rcp_f32_e32 v18, v18
	v_fma_f32 v25, v18, -2.0, 1.0
.LBB25_922:
	s_andn2_saveexec_b64 s[12:13], s[12:13]
; %bb.923:
	v_mul_f32_e32 v18, v15, v15
	v_mov_b32_e32 v19, 0x3ca908c9
	v_fmac_f32_e32 v19, 0xbbbac73d, v18
	v_mov_b32_e32 v20, 0xbd5c1c4e
	v_fmac_f32_e32 v20, v18, v19
	;; [unrolled: 2-line block ×4, first 2 shown]
	v_mul_f32_e64 v19, |v15|, v20
	v_fma_f32 v25, v18, v19, |v15|
; %bb.924:
	s_or_b64 exec, exec, s[12:13]
	s_mov_b32 s12, 0x3f200000
	v_cmp_nlt_f32_e64 s[12:13], |v0|, s12
                                        ; implicit-def: $vgpr18
	s_and_saveexec_b64 s[14:15], s[12:13]
	s_xor_b64 s[12:13], exec, s[14:15]
	s_cbranch_execz .LBB25_926
; %bb.925:
	v_add_f32_e64 v18, |v0|, |v0|
	v_mul_f32_e32 v19, 0x3fb8aa3b, v18
	s_mov_b32 s14, 0x3fb8aa3b
	v_rndne_f32_e32 v20, v19
	v_sub_f32_e32 v30, v19, v20
	v_fma_f32 v19, v18, s14, -v19
	v_fmac_f32_e32 v19, 0x32a5705f, v18
	v_add_f32_e32 v19, v30, v19
	v_exp_f32_e32 v19, v19
	v_cvt_i32_f32_e32 v20, v20
	s_mov_b32 s14, 0xc2ce8ed0
	v_cmp_ngt_f32_e32 vcc, s14, v18
	s_mov_b32 s14, 0x42b17218
	v_ldexp_f32 v19, v19, v20
	v_cndmask_b32_e32 v19, 0, v19, vcc
	v_mov_b32_e32 v20, 0x7f800000
	v_cmp_nlt_f32_e32 vcc, s14, v18
	v_cndmask_b32_e32 v18, v20, v19, vcc
	v_add_f32_e32 v18, 1.0, v18
	v_rcp_f32_e32 v18, v18
	v_fma_f32 v18, v18, -2.0, 1.0
.LBB25_926:
	s_andn2_saveexec_b64 s[12:13], s[12:13]
; %bb.927:
	v_mul_f32_e32 v18, v0, v0
	v_mov_b32_e32 v19, 0x3ca908c9
	v_fmac_f32_e32 v19, 0xbbbac73d, v18
	v_mov_b32_e32 v20, 0xbd5c1c4e
	v_fmac_f32_e32 v20, v18, v19
	v_mov_b32_e32 v19, 0x3e088382
	v_fmac_f32_e32 v19, v18, v20
	v_mov_b32_e32 v20, 0xbeaaaa99
	v_fmac_f32_e32 v20, v18, v19
	v_mul_f32_e64 v19, |v0|, v20
	v_fma_f32 v18, v18, v19, |v0|
; %bb.928:
	s_or_b64 exec, exec, s[12:13]
	s_mov_b32 s12, 0x3f200000
	v_cmp_nlt_f32_e64 s[12:13], |v1|, s12
                                        ; implicit-def: $vgpr19
	s_and_saveexec_b64 s[14:15], s[12:13]
	s_xor_b64 s[12:13], exec, s[14:15]
	s_cbranch_execz .LBB25_930
; %bb.929:
	v_add_f32_e64 v19, |v1|, |v1|
	v_mul_f32_e32 v20, 0x3fb8aa3b, v19
	s_mov_b32 s14, 0x3fb8aa3b
	v_rndne_f32_e32 v30, v20
	v_sub_f32_e32 v31, v20, v30
	v_fma_f32 v20, v19, s14, -v20
	v_fmac_f32_e32 v20, 0x32a5705f, v19
	v_add_f32_e32 v20, v31, v20
	v_exp_f32_e32 v20, v20
	v_cvt_i32_f32_e32 v30, v30
	s_mov_b32 s14, 0xc2ce8ed0
	v_cmp_ngt_f32_e32 vcc, s14, v19
	s_mov_b32 s14, 0x42b17218
	v_ldexp_f32 v20, v20, v30
	v_cndmask_b32_e32 v20, 0, v20, vcc
	v_mov_b32_e32 v30, 0x7f800000
	v_cmp_nlt_f32_e32 vcc, s14, v19
	v_cndmask_b32_e32 v19, v30, v20, vcc
	v_add_f32_e32 v19, 1.0, v19
	v_rcp_f32_e32 v19, v19
	v_fma_f32 v19, v19, -2.0, 1.0
.LBB25_930:
	s_andn2_saveexec_b64 s[12:13], s[12:13]
; %bb.931:
	v_mul_f32_e32 v19, v1, v1
	v_mov_b32_e32 v20, 0x3ca908c9
	v_fmac_f32_e32 v20, 0xbbbac73d, v19
	v_mov_b32_e32 v30, 0xbd5c1c4e
	v_fmac_f32_e32 v30, v19, v20
	;; [unrolled: 2-line block ×4, first 2 shown]
	v_mul_f32_e64 v20, |v1|, v30
	v_fma_f32 v19, v19, v20, |v1|
; %bb.932:
	s_or_b64 exec, exec, s[12:13]
	s_mov_b32 s12, 0x3f200000
	v_cmp_nlt_f32_e64 s[12:13], |v2|, s12
                                        ; implicit-def: $vgpr20
	s_and_saveexec_b64 s[14:15], s[12:13]
	s_xor_b64 s[12:13], exec, s[14:15]
	s_cbranch_execz .LBB25_934
; %bb.933:
	v_add_f32_e64 v20, |v2|, |v2|
	v_mul_f32_e32 v30, 0x3fb8aa3b, v20
	s_mov_b32 s14, 0x3fb8aa3b
	v_rndne_f32_e32 v31, v30
	v_sub_f32_e32 v32, v30, v31
	v_fma_f32 v30, v20, s14, -v30
	v_fmac_f32_e32 v30, 0x32a5705f, v20
	v_add_f32_e32 v30, v32, v30
	v_exp_f32_e32 v30, v30
	v_cvt_i32_f32_e32 v31, v31
	s_mov_b32 s14, 0xc2ce8ed0
	v_cmp_ngt_f32_e32 vcc, s14, v20
	s_mov_b32 s14, 0x42b17218
	v_ldexp_f32 v30, v30, v31
	v_cndmask_b32_e32 v30, 0, v30, vcc
	v_mov_b32_e32 v31, 0x7f800000
	v_cmp_nlt_f32_e32 vcc, s14, v20
	v_cndmask_b32_e32 v20, v31, v30, vcc
	v_add_f32_e32 v20, 1.0, v20
	v_rcp_f32_e32 v20, v20
	v_fma_f32 v20, v20, -2.0, 1.0
.LBB25_934:
	s_andn2_saveexec_b64 s[12:13], s[12:13]
; %bb.935:
	v_mul_f32_e32 v20, v2, v2
	v_mov_b32_e32 v30, 0x3ca908c9
	v_fmac_f32_e32 v30, 0xbbbac73d, v20
	v_mov_b32_e32 v31, 0xbd5c1c4e
	v_fmac_f32_e32 v31, v20, v30
	v_mov_b32_e32 v30, 0x3e088382
	v_fmac_f32_e32 v30, v20, v31
	v_mov_b32_e32 v31, 0xbeaaaa99
	v_fmac_f32_e32 v31, v20, v30
	v_mul_f32_e64 v30, |v2|, v31
	v_fma_f32 v20, v20, v30, |v2|
; %bb.936:
	s_or_b64 exec, exec, s[12:13]
	s_mov_b32 s12, 0x3f200000
	v_cmp_nlt_f32_e64 s[12:13], |v3|, s12
                                        ; implicit-def: $vgpr34
	s_and_saveexec_b64 s[14:15], s[12:13]
	s_xor_b64 s[12:13], exec, s[14:15]
	s_cbranch_execz .LBB25_938
; %bb.937:
	v_add_f32_e64 v30, |v3|, |v3|
	v_mul_f32_e32 v31, 0x3fb8aa3b, v30
	s_mov_b32 s14, 0x3fb8aa3b
	v_rndne_f32_e32 v32, v31
	v_sub_f32_e32 v34, v31, v32
	v_fma_f32 v31, v30, s14, -v31
	v_fmac_f32_e32 v31, 0x32a5705f, v30
	v_add_f32_e32 v31, v34, v31
	v_exp_f32_e32 v31, v31
	v_cvt_i32_f32_e32 v32, v32
	s_mov_b32 s14, 0xc2ce8ed0
	v_cmp_ngt_f32_e32 vcc, s14, v30
	s_mov_b32 s14, 0x42b17218
	v_ldexp_f32 v31, v31, v32
	v_cndmask_b32_e32 v31, 0, v31, vcc
	v_mov_b32_e32 v32, 0x7f800000
	v_cmp_nlt_f32_e32 vcc, s14, v30
	v_cndmask_b32_e32 v30, v32, v31, vcc
	v_add_f32_e32 v30, 1.0, v30
	v_rcp_f32_e32 v30, v30
	v_fma_f32 v34, v30, -2.0, 1.0
.LBB25_938:
	s_andn2_saveexec_b64 s[12:13], s[12:13]
; %bb.939:
	v_mul_f32_e32 v30, v3, v3
	v_mov_b32_e32 v31, 0x3ca908c9
	v_fmac_f32_e32 v31, 0xbbbac73d, v30
	v_mov_b32_e32 v32, 0xbd5c1c4e
	v_fmac_f32_e32 v32, v30, v31
	;; [unrolled: 2-line block ×4, first 2 shown]
	v_mul_f32_e64 v31, |v3|, v32
	v_fma_f32 v34, v30, v31, |v3|
; %bb.940:
	s_or_b64 exec, exec, s[12:13]
	s_brev_b32 s12, -2
	v_bfi_b32 v0, s12, v18, v0
	v_mul_f32_e32 v18, s73, v0
	v_bfi_b32 v0, s12, v19, v1
	v_mul_f32_e32 v19, s73, v0
	;; [unrolled: 2-line block ×16, first 2 shown]
	s_and_b64 vcc, exec, s[8:9]
	s_cbranch_vccz .LBB25_942
; %bb.941:
	v_lshrrev_b32_e32 v39, 2, v48
	s_movk_i32 s8, 0x90
	v_and_b32_e32 v38, 0xfc, v39
	v_mad_u32_u24 v41, v115, s8, 0
	v_lshl_add_u32 v2, v38, 1, v41
	v_add_u32_e32 v3, v41, v114
	v_add_u32_e32 v0, 16, v38
	ds_read_b32 v9, v2 offset:17408
	ds_read_b32 v7, v3 offset:17408
	v_lshlrev_b32_e32 v1, 1, v0
	s_movk_i32 s8, 0x4400
	v_add3_u32 v4, v41, v1, s8
	v_add_u32_e32 v1, 32, v38
	v_lshlrev_b32_e32 v2, 1, v1
	v_add3_u32 v5, v41, v2, s8
	ds_read2_b32 v[2:3], v4 offset1:1
	ds_read2_b32 v[4:5], v5 offset1:1
	s_waitcnt lgkmcnt(2)
	v_cvt_f32_f16_e32 v6, v7
	v_cvt_f32_f16_sdwa v7, v7 dst_sel:DWORD dst_unused:UNUSED_PAD src0_sel:WORD_1
	v_add_u32_e32 v34, 48, v38
	s_waitcnt lgkmcnt(1)
	v_cvt_f32_f16_e32 v10, v3
	v_cvt_f32_f16_sdwa v11, v3 dst_sel:DWORD dst_unused:UNUSED_PAD src0_sel:WORD_1
	v_pk_fma_f32 v[16:17], v[50:51], v[6:7], v[32:33] op_sel_hi:[0,1,1]
	v_cvt_f32_f16_e32 v6, v2
	v_cvt_f32_f16_sdwa v7, v2 dst_sel:DWORD dst_unused:UNUSED_PAD src0_sel:WORD_1
	s_waitcnt lgkmcnt(0)
	v_cvt_f32_f16_e32 v2, v5
	v_cvt_f32_f16_sdwa v3, v5 dst_sel:DWORD dst_unused:UNUSED_PAD src0_sel:WORD_1
	v_lshlrev_b32_e32 v5, 1, v34
	v_add3_u32 v5, v41, v5, s8
	v_pk_fma_f32 v[12:13], v[50:51], v[10:11], v[28:29] op_sel_hi:[0,1,1]
	v_pk_fma_f32 v[10:11], v[50:51], v[6:7], v[26:27] op_sel_hi:[0,1,1]
	ds_read2_b32 v[6:7], v5 offset1:1
	v_cvt_f32_f16_e32 v8, v9
	v_cvt_f32_f16_sdwa v9, v9 dst_sel:DWORD dst_unused:UNUSED_PAD src0_sel:WORD_1
	v_cvt_f32_f16_e32 v52, v4
	v_cvt_f32_f16_sdwa v53, v4 dst_sel:DWORD dst_unused:UNUSED_PAD src0_sel:WORD_1
	s_waitcnt lgkmcnt(0)
	v_cvt_f32_f16_e32 v4, v7
	v_pk_fma_f32 v[14:15], v[50:51], v[8:9], v[30:31] op_sel_hi:[0,1,1]
	v_pk_fma_f32 v[8:9], v[50:51], v[2:3], v[24:25] op_sel_hi:[0,1,1]
	v_cvt_f32_f16_e32 v2, v6
	v_cvt_f32_f16_sdwa v5, v7 dst_sel:DWORD dst_unused:UNUSED_PAD src0_sel:WORD_1
	v_cvt_f32_f16_sdwa v3, v6 dst_sel:DWORD dst_unused:UNUSED_PAD src0_sel:WORD_1
	v_add_u32_e32 v43, 18, v38
	v_add_u32_e32 v47, 34, v38
	v_pk_fma_f32 v[6:7], v[50:51], v[52:53], v[22:23] op_sel_hi:[0,1,1]
	v_add_u32_e32 v41, 50, v38
	v_pk_fma_f32 v[4:5], v[50:51], v[4:5], v[20:21] op_sel_hi:[0,1,1]
	v_pk_fma_f32 v[2:3], v[50:51], v[2:3], v[18:19] op_sel_hi:[0,1,1]
	s_mov_b64 s[8:9], 0
	s_branch .LBB25_943
.LBB25_942:
	s_mov_b64 s[8:9], -1
                                        ; implicit-def: $vgpr14_vgpr15_vgpr16_vgpr17
                                        ; implicit-def: $vgpr10_vgpr11_vgpr12_vgpr13
                                        ; implicit-def: $vgpr6_vgpr7_vgpr8_vgpr9
                                        ; implicit-def: $vgpr2_vgpr3_vgpr4_vgpr5
                                        ; implicit-def: $vgpr39
                                        ; implicit-def: $vgpr38
                                        ; implicit-def: $vgpr0
                                        ; implicit-def: $vgpr43
                                        ; implicit-def: $vgpr1
                                        ; implicit-def: $vgpr47
                                        ; implicit-def: $vgpr34
                                        ; implicit-def: $vgpr41
.LBB25_943:
	v_add_u32_e32 v42, 0x1100, v36
	v_add_u32_e32 v46, 0x2200, v36
	s_andn2_b64 vcc, exec, s[8:9]
	v_add_u32_e32 v51, 0x3300, v36
	s_cbranch_vccnz .LBB25_945
; %bb.944:
	v_and_b32_e32 v38, 0xfc, v113
	v_pk_mov_b32 v[2:3], v[18:19], v[18:19] op_sel:[0,1]
	v_pk_mov_b32 v[6:7], v[22:23], v[22:23] op_sel:[0,1]
	;; [unrolled: 1-line block ×4, first 2 shown]
	v_add_u32_e32 v0, 16, v38
	v_add_u32_e32 v43, 18, v38
	;; [unrolled: 1-line block ×6, first 2 shown]
	v_mov_b32_e32 v39, v113
	v_pk_mov_b32 v[4:5], v[20:21], v[20:21] op_sel:[0,1]
	v_pk_mov_b32 v[8:9], v[24:25], v[24:25] op_sel:[0,1]
	;; [unrolled: 1-line block ×4, first 2 shown]
.LBB25_945:
	v_add_f32_e32 v18, 0x40051340, v14
	v_max_f32_e32 v19, v44, v44
	v_max_f32_e32 v18, v19, v18
	v_cmp_gt_u32_e64 s[42:43], s48, v38
	v_cndmask_b32_e64 v18, v44, v18, s[42:43]
	v_or_b32_e32 v19, 1, v38
	v_add_f32_e32 v20, 0x40051340, v15
	v_max_f32_e32 v21, v18, v18
	v_max_f32_e32 v20, v21, v20
	v_cmp_gt_u32_e64 s[40:41], s48, v19
	v_cndmask_b32_e64 v18, v18, v20, s[40:41]
	v_or_b32_e32 v19, 2, v38
	;; [unrolled: 6-line block ×3, first 2 shown]
	v_add_f32_e32 v20, 0x40051340, v17
	v_max_f32_e32 v21, v18, v18
	v_max_f32_e32 v20, v21, v20
	v_cmp_gt_u32_e64 s[38:39], s48, v19
	v_cndmask_b32_e64 v18, v18, v20, s[38:39]
	v_add_f32_e32 v19, 0x40051340, v10
	v_max_f32_e32 v20, v18, v18
	v_max_f32_e32 v19, v20, v19
	v_cmp_gt_u32_e64 s[34:35], s48, v0
	v_cndmask_b32_e64 v0, v18, v19, s[34:35]
	v_add_u32_e32 v18, 17, v38
	v_add_f32_e32 v19, 0x40051340, v11
	v_max_f32_e32 v20, v0, v0
	v_max_f32_e32 v19, v20, v19
	v_cmp_gt_u32_e64 s[30:31], s48, v18
	v_cndmask_b32_e64 v0, v0, v19, s[30:31]
	v_add_f32_e32 v18, 0x40051340, v12
	v_max_f32_e32 v19, v0, v0
	v_max_f32_e32 v18, v19, v18
	v_cmp_gt_u32_e64 s[28:29], s48, v43
	v_cndmask_b32_e64 v0, v0, v18, s[28:29]
	v_add_u32_e32 v18, 19, v38
	;; [unrolled: 11-line block ×6, first 2 shown]
	v_add_f32_e32 v18, 0x40051340, v5
	v_max_f32_e32 v19, v0, v0
	v_max_f32_e32 v18, v19, v18
	v_cmp_gt_u32_e32 vcc, s48, v1
	v_cndmask_b32_e32 v0, v0, v18, vcc
	v_mbcnt_hi_u32_b32 v18, -1, v111
	v_and_b32_e32 v1, 64, v18
	v_add_u32_e32 v19, 64, v1
	v_xor_b32_e32 v1, 32, v18
	v_cmp_lt_i32_e64 s[8:9], v1, v19
	v_cndmask_b32_e64 v1, v18, v1, s[8:9]
	v_lshlrev_b32_e32 v1, 2, v1
	ds_bpermute_b32 v20, v1, v0
	v_max_f32_e32 v0, v0, v0
	s_mov_b32 s49, 0x3fb8aa3b
	s_mov_b32 s50, 0xc2ce8ed0
	s_mov_b32 s48, 0x42b17218
	s_waitcnt lgkmcnt(0)
	v_max_f32_e32 v20, v20, v20
	v_max_f32_e32 v0, v0, v20
	v_xor_b32_e32 v20, 16, v18
	v_cmp_lt_i32_e64 s[8:9], v20, v19
	v_cndmask_b32_e64 v18, v18, v20, s[8:9]
	v_lshlrev_b32_e32 v41, 2, v18
	ds_bpermute_b32 v18, v41, v0
	v_mov_b32_e32 v31, 0
	s_mov_b32 s47, 0
	v_cndmask_b32_e64 v17, v17, v17, s[40:41]
	v_cndmask_b32_e64 v11, v11, v11, s[34:35]
	s_waitcnt lgkmcnt(0)
	v_max_f32_e32 v18, v18, v18
	v_max_f32_e32 v34, v0, v18
	v_sub_f32_e32 v0, v14, v34
	v_mul_f32_e32 v14, 0x3fb8aa3b, v0
	v_fma_f32 v18, v0, s49, -v14
	v_rndne_f32_e32 v19, v14
	v_fmac_f32_e32 v18, 0x32a5705f, v0
	v_sub_f32_e32 v14, v14, v19
	v_sub_f32_e32 v15, v15, v34
	v_add_f32_e32 v14, v14, v18
	v_cvt_i32_f32_e32 v18, v19
	v_mul_f32_e32 v19, 0x3fb8aa3b, v15
	v_fma_f32 v20, v15, s49, -v19
	v_rndne_f32_e32 v21, v19
	v_exp_f32_e32 v14, v14
	v_fmac_f32_e32 v20, 0x32a5705f, v15
	v_sub_f32_e32 v19, v19, v21
	v_add_f32_e32 v19, v19, v20
	v_exp_f32_e32 v19, v19
	v_cvt_i32_f32_e32 v20, v21
	v_ldexp_f32 v14, v14, v18
	v_cmp_ngt_f32_e64 s[8:9], s50, v0
	v_cndmask_b32_e64 v18, 0, v14, s[8:9]
	v_mov_b32_e32 v14, 0x7f800000
	v_cmp_nlt_f32_e64 s[8:9], s48, v0
	v_cndmask_b32_e64 v0, v14, v18, s[8:9]
	v_ldexp_f32 v18, v19, v20
	v_cmp_ngt_f32_e64 s[8:9], s50, v15
	v_cndmask_b32_e64 v18, 0, v18, s[8:9]
	v_cmp_nlt_f32_e64 s[8:9], s48, v15
	v_cndmask_b32_e64 v18, v14, v18, s[8:9]
	s_mul_hi_i32 s9, s46, s94
	s_mul_i32 s8, s46, s94
	s_lshl_b64 s[8:9], s[8:9], 2
	v_mul_lo_u32 v20, s94, v37
	s_add_u32 s33, s33, s8
	v_ashrrev_i32_e32 v21, 31, v20
	v_cndmask_b32_e64 v0, 0, v0, s[42:43]
	s_addc_u32 s42, s53, s9
	v_lshlrev_b64 v[22:23], 2, v[20:21]
	v_mov_b32_e32 v19, s42
	v_add_co_u32_e64 v21, s[8:9], s33, v22
	v_addc_co_u32_e64 v19, s[8:9], v19, v23, s[8:9]
	s_mov_b64 s[52:53], src_private_base
	v_add_co_u32_e64 v21, s[8:9], v21, v35
	v_addc_co_u32_e64 v19, s[8:9], 0, v19, s[8:9]
	v_mov_b32_e32 v30, s53
	v_cndmask_b32_e64 v23, v30, v19, s[10:11]
	v_mov_b32_e32 v19, 0
	v_cndmask_b32_e64 v22, v31, v21, s[10:11]
	buffer_store_dword v19, off, s[0:3], 0
	buffer_store_dword v19, off, s[0:3], 0 offset:4
	buffer_store_dword v19, off, s[0:3], 0 offset:8
	;; [unrolled: 1-line block ×3, first 2 shown]
	flat_load_dwordx4 v[24:27], v[22:23]
	v_cndmask_b32_e64 v15, v16, v16, s[40:41]
	v_sub_f32_e32 v16, v15, v34
	v_mul_f32_e32 v15, 0x3fb8aa3b, v16
	v_fma_f32 v19, v16, s49, -v15
	v_rndne_f32_e32 v21, v15
	v_fmac_f32_e32 v19, 0x32a5705f, v16
	v_sub_f32_e32 v15, v15, v21
	v_add_f32_e32 v15, v15, v19
	v_exp_f32_e32 v19, v15
	v_cvt_i32_f32_e32 v21, v21
	v_mov_b32_e32 v15, s47
	v_sub_f32_e32 v17, v17, v34
	v_cndmask_b32_e64 v32, v15, v18, s[40:41]
	v_ldexp_f32 v15, v19, v21
	v_mul_f32_e32 v19, 0x3fb8aa3b, v17
	v_fma_f32 v21, v17, s49, -v19
	v_rndne_f32_e32 v22, v19
	v_fmac_f32_e32 v21, 0x32a5705f, v17
	v_sub_f32_e32 v19, v19, v22
	v_add_f32_e32 v19, v19, v21
	v_cmp_ngt_f32_e64 s[8:9], s50, v16
	v_exp_f32_e32 v21, v19
	v_cvt_i32_f32_e32 v22, v22
	v_cndmask_b32_e64 v15, 0, v15, s[8:9]
	v_cmp_nlt_f32_e64 s[8:9], s48, v16
	v_cndmask_b32_e64 v19, v14, v15, s[8:9]
	v_mov_b32_e32 v16, s47
	v_sub_f32_e32 v10, v10, v34
	v_cndmask_b32_e64 v33, v16, v19, s[36:37]
	v_mul_f32_e32 v16, 0x3fb8aa3b, v10
	v_ldexp_f32 v15, v21, v22
	v_fma_f32 v21, v10, s49, -v16
	v_rndne_f32_e32 v22, v16
	v_fmac_f32_e32 v21, 0x32a5705f, v10
	v_sub_f32_e32 v16, v16, v22
	v_add_f32_e32 v16, v16, v21
	v_exp_f32_e32 v16, v16
	v_cvt_i32_f32_e32 v21, v22
	v_cmp_ngt_f32_e64 s[8:9], s50, v17
	v_cndmask_b32_e64 v15, 0, v15, s[8:9]
	v_cmp_nlt_f32_e64 s[8:9], s48, v17
	v_cndmask_b32_e64 v23, v14, v15, s[8:9]
	v_mov_b32_e32 v15, s47
	v_cndmask_b32_e64 v37, v15, v23, s[38:39]
	v_ldexp_f32 v15, v16, v21
	v_cmp_ngt_f32_e64 s[8:9], s50, v10
	v_cndmask_b32_e64 v15, 0, v15, s[8:9]
	v_cmp_nlt_f32_e64 s[8:9], s48, v10
	v_cndmask_b32_e64 v22, v14, v15, s[8:9]
	v_sub_f32_e32 v15, v11, v34
	v_mul_f32_e32 v11, 0x3fb8aa3b, v15
	v_fma_f32 v16, v15, s49, -v11
	v_rndne_f32_e32 v17, v11
	v_fmac_f32_e32 v16, 0x32a5705f, v15
	v_sub_f32_e32 v11, v11, v17
	v_add_f32_e32 v11, v11, v16
	v_exp_f32_e32 v11, v11
	v_cvt_i32_f32_e32 v16, v17
	s_lshl_b32 s10, s94, 4
	v_mov_b32_e32 v10, s47
	v_add_u32_e32 v20, s10, v20
	v_cndmask_b32_e64 v56, v10, v22, s[34:35]
	v_ldexp_f32 v10, v11, v16
	v_cmp_ngt_f32_e64 s[8:9], s50, v15
	v_ashrrev_i32_e32 v21, 31, v20
	v_cndmask_b32_e64 v16, 0, v10, s[8:9]
	v_lshlrev_b64 v[10:11], 2, v[20:21]
	v_cndmask_b32_e64 v28, v12, v12, s[34:35]
	v_mov_b32_e32 v12, s42
	v_add_co_u32_e64 v10, s[8:9], s33, v10
	v_addc_co_u32_e64 v11, s[8:9], v12, v11, s[8:9]
	v_add_co_u32_e64 v10, s[8:9], v10, v35
	v_addc_co_u32_e64 v11, s[8:9], 0, v11, s[8:9]
	v_cndmask_b32_e64 v11, v30, v11, s[44:45]
	v_cndmask_b32_e64 v10, v31, v10, s[44:45]
	s_waitcnt vmcnt(0) lgkmcnt(0)
	ds_write_b128 v36, v[24:27]
	v_cndmask_b32_e64 v17, v13, v13, s[34:35]
	flat_load_dwordx4 v[10:13], v[10:11]
	v_sub_f32_e32 v21, v28, v34
	v_mul_f32_e32 v24, 0x3fb8aa3b, v21
	v_fma_f32 v25, v21, s49, -v24
	v_rndne_f32_e32 v26, v24
	v_fmac_f32_e32 v25, 0x32a5705f, v21
	v_sub_f32_e32 v24, v24, v26
	v_add_f32_e32 v24, v24, v25
	v_exp_f32_e32 v25, v24
	v_cvt_i32_f32_e32 v26, v26
	v_cmp_nlt_f32_e64 s[8:9], s48, v15
	v_sub_f32_e32 v17, v17, v34
	v_cndmask_b32_e64 v24, v14, v16, s[8:9]
	v_mov_b32_e32 v15, s47
	v_mul_f32_e32 v16, 0x3fb8aa3b, v17
	v_cndmask_b32_e64 v36, v15, v24, s[30:31]
	v_ldexp_f32 v15, v25, v26
	v_fma_f32 v25, v17, s49, -v16
	v_rndne_f32_e32 v26, v16
	v_fmac_f32_e32 v25, 0x32a5705f, v17
	v_sub_f32_e32 v16, v16, v26
	v_add_f32_e32 v16, v16, v25
	v_cmp_ngt_f32_e64 s[8:9], s50, v21
	v_exp_f32_e32 v27, v16
	v_cvt_i32_f32_e32 v26, v26
	v_cndmask_b32_e64 v15, 0, v15, s[8:9]
	v_cmp_nlt_f32_e64 s[8:9], s48, v21
	v_cndmask_b32_e64 v25, v14, v15, s[8:9]
	v_mov_b32_e32 v16, s47
	v_sub_f32_e32 v6, v6, v34
	v_cndmask_b32_e64 v57, v16, v25, s[28:29]
	v_mul_f32_e32 v16, 0x3fb8aa3b, v6
	v_ldexp_f32 v15, v27, v26
	v_fma_f32 v21, v6, s49, -v16
	v_rndne_f32_e32 v26, v16
	v_fmac_f32_e32 v21, 0x32a5705f, v6
	v_sub_f32_e32 v16, v16, v26
	v_add_f32_e32 v16, v16, v21
	v_exp_f32_e32 v16, v16
	v_cvt_i32_f32_e32 v21, v26
	v_cmp_ngt_f32_e64 s[8:9], s50, v17
	v_cndmask_b32_e64 v15, 0, v15, s[8:9]
	v_cmp_nlt_f32_e64 s[8:9], s48, v17
	v_cndmask_b32_e64 v27, v14, v15, s[8:9]
	v_mov_b32_e32 v15, s47
	v_cndmask_b32_e64 v58, v15, v27, s[26:27]
	v_ldexp_f32 v15, v16, v21
	v_cmp_ngt_f32_e64 s[8:9], s50, v6
	v_cndmask_b32_e64 v15, 0, v15, s[8:9]
	v_cmp_nlt_f32_e64 s[8:9], s48, v6
	v_cndmask_b32_e64 v7, v7, v7, s[24:25]
	v_cndmask_b32_e64 v26, v14, v15, s[8:9]
	v_sub_f32_e32 v15, v7, v34
	v_mul_f32_e32 v7, 0x3fb8aa3b, v15
	v_fma_f32 v16, v15, s49, -v7
	v_rndne_f32_e32 v17, v7
	v_fmac_f32_e32 v16, 0x32a5705f, v15
	v_sub_f32_e32 v7, v7, v17
	v_add_f32_e32 v7, v7, v16
	v_exp_f32_e32 v7, v7
	v_cvt_i32_f32_e32 v16, v17
	v_add_u32_e32 v20, s10, v20
	v_mov_b32_e32 v6, s47
	v_ashrrev_i32_e32 v21, 31, v20
	v_cndmask_b32_e64 v59, v6, v26, s[24:25]
	v_ldexp_f32 v16, v7, v16
	v_lshlrev_b64 v[6:7], 2, v[20:21]
	v_cndmask_b32_e64 v28, v8, v8, s[24:25]
	v_mov_b32_e32 v8, s42
	v_add_co_u32_e64 v6, s[8:9], s33, v6
	v_addc_co_u32_e64 v7, s[8:9], v8, v7, s[8:9]
	v_add_co_u32_e64 v6, s[8:9], v6, v35
	v_addc_co_u32_e64 v7, s[8:9], 0, v7, s[8:9]
	v_cndmask_b32_e64 v7, v30, v7, s[6:7]
	v_cndmask_b32_e64 v6, v31, v6, s[6:7]
	;; [unrolled: 1-line block ×3, first 2 shown]
	s_waitcnt vmcnt(0) lgkmcnt(0)
	ds_write_b128 v42, v[10:13]
	flat_load_dwordx4 v[6:9], v[6:7]
	v_sub_f32_e32 v12, v28, v34
	v_cmp_ngt_f32_e64 s[6:7], s50, v15
	v_mul_f32_e32 v11, 0x3fb8aa3b, v12
	v_cndmask_b32_e64 v10, 0, v16, s[6:7]
	v_fma_f32 v13, v12, s49, -v11
	v_rndne_f32_e32 v16, v11
	v_fmac_f32_e32 v13, 0x32a5705f, v12
	v_sub_f32_e32 v11, v11, v16
	v_add_f32_e32 v11, v11, v13
	v_exp_f32_e32 v13, v11
	v_cvt_i32_f32_e32 v16, v16
	v_cmp_nlt_f32_e64 s[6:7], s48, v15
	v_cndmask_b32_e64 v28, v14, v10, s[6:7]
	v_mov_b32_e32 v11, s47
	v_cndmask_b32_e64 v15, v11, v28, s[20:21]
	v_sub_f32_e32 v11, v17, v34
	v_ldexp_f32 v10, v13, v16
	v_mul_f32_e32 v13, 0x3fb8aa3b, v11
	v_fma_f32 v16, v11, s49, -v13
	v_rndne_f32_e32 v17, v13
	v_fmac_f32_e32 v16, 0x32a5705f, v11
	v_sub_f32_e32 v13, v13, v17
	v_add_f32_e32 v13, v13, v16
	v_exp_f32_e32 v13, v13
	v_cvt_i32_f32_e32 v17, v17
	v_cmp_ngt_f32_e64 s[6:7], s50, v12
	v_cndmask_b32_e64 v10, 0, v10, s[6:7]
	v_cmp_nlt_f32_e64 s[6:7], s48, v12
	v_sub_f32_e32 v2, v2, v34
	v_cndmask_b32_e64 v29, v14, v10, s[6:7]
	v_mov_b32_e32 v10, s47
	v_mul_f32_e32 v12, 0x3fb8aa3b, v2
	v_cndmask_b32_e64 v16, v10, v29, s[22:23]
	v_ldexp_f32 v10, v13, v17
	v_fma_f32 v13, v2, s49, -v12
	v_rndne_f32_e32 v17, v12
	v_fmac_f32_e32 v13, 0x32a5705f, v2
	v_sub_f32_e32 v12, v12, v17
	v_add_f32_e32 v12, v12, v13
	v_exp_f32_e32 v12, v12
	v_cvt_i32_f32_e32 v13, v17
	v_cmp_ngt_f32_e64 s[6:7], s50, v11
	v_cndmask_b32_e64 v10, 0, v10, s[6:7]
	v_cmp_nlt_f32_e64 s[6:7], s48, v11
	v_cndmask_b32_e64 v3, v3, v3, s[14:15]
	v_cndmask_b32_e64 v43, v14, v10, s[6:7]
	v_mov_b32_e32 v11, s47
	v_ldexp_f32 v10, v12, v13
	v_cmp_ngt_f32_e64 s[6:7], s50, v2
	v_sub_f32_e32 v3, v3, v34
	v_cndmask_b32_e64 v17, v11, v43, s[18:19]
	v_cndmask_b32_e64 v10, 0, v10, s[6:7]
	v_cmp_nlt_f32_e64 s[6:7], s48, v2
	v_cndmask_b32_e64 v11, v4, v4, s[14:15]
	v_mul_f32_e32 v4, 0x3fb8aa3b, v3
	v_cndmask_b32_e64 v42, v14, v10, s[6:7]
	v_cndmask_b32_e64 v10, v5, v5, s[14:15]
	v_fma_f32 v5, v3, s49, -v4
	v_rndne_f32_e32 v12, v4
	v_fmac_f32_e32 v5, 0x32a5705f, v3
	v_sub_f32_e32 v4, v4, v12
	v_add_f32_e32 v4, v4, v5
	v_exp_f32_e32 v21, v4
	v_add_u32_e32 v4, s10, v20
	v_ashrrev_i32_e32 v5, 31, v4
	v_lshlrev_b64 v[4:5], 2, v[4:5]
	v_mov_b32_e32 v13, s42
	v_add_co_u32_e64 v4, s[6:7], s33, v4
	v_addc_co_u32_e64 v5, s[6:7], v13, v5, s[6:7]
	v_add_co_u32_e64 v4, s[6:7], v4, v35
	v_addc_co_u32_e64 v5, s[6:7], 0, v5, s[6:7]
	v_cndmask_b32_e64 v5, v30, v5, s[4:5]
	v_cndmask_b32_e64 v4, v31, v4, s[4:5]
	v_cvt_i32_f32_e32 v12, v12
	v_mov_b32_e32 v2, s47
	s_waitcnt vmcnt(0) lgkmcnt(0)
	ds_write_b128 v46, v[6:9]
	flat_load_dwordx4 v[52:55], v[4:5]
	v_sub_f32_e32 v4, v11, v34
	v_mul_f32_e32 v5, 0x3fb8aa3b, v4
	v_fma_f32 v6, v4, s49, -v5
	v_rndne_f32_e32 v7, v5
	v_fmac_f32_e32 v6, 0x32a5705f, v4
	v_sub_f32_e32 v5, v5, v7
	v_add_f32_e32 v5, v5, v6
	v_exp_f32_e32 v5, v5
	v_cvt_i32_f32_e32 v6, v7
	v_cndmask_b32_e64 v13, v2, v42, s[14:15]
	v_ldexp_f32 v2, v21, v12
	v_cmp_ngt_f32_e64 s[4:5], s50, v3
	v_cndmask_b32_e64 v2, 0, v2, s[4:5]
	v_cmp_nlt_f32_e64 s[4:5], s48, v3
	v_cndmask_b32_e64 v46, v14, v2, s[4:5]
	v_ldexp_f32 v2, v5, v6
	v_cmp_ngt_f32_e64 s[4:5], s50, v4
	v_cndmask_b32_e64 v2, 0, v2, s[4:5]
	v_cmp_nlt_f32_e64 s[4:5], s48, v4
	v_cndmask_b32_e64 v35, v14, v2, s[4:5]
	v_mov_b32_e32 v2, s47
	v_mov_b32_e32 v3, s47
	v_cndmask_b32_e64 v8, v2, v35, s[12:13]
	v_sub_f32_e32 v2, v10, v34
	v_cndmask_b32_e64 v7, v3, v46, s[16:17]
	v_mul_f32_e32 v3, 0x3fb8aa3b, v2
	v_fma_f32 v4, v2, s49, -v3
	v_rndne_f32_e32 v5, v3
	v_fmac_f32_e32 v4, 0x32a5705f, v2
	v_sub_f32_e32 v3, v3, v5
	v_add_f32_e32 v3, v3, v4
	v_cvt_i32_f32_e32 v4, v5
	v_sub_f32_e32 v5, v44, v34
	v_mul_f32_e32 v6, 0x3fb8aa3b, v5
	v_fma_f32 v9, v5, s49, -v6
	v_rndne_f32_e32 v10, v6
	v_fmac_f32_e32 v9, 0x32a5705f, v5
	v_sub_f32_e32 v6, v6, v10
	v_exp_f32_e32 v3, v3
	v_add_f32_e32 v6, v6, v9
	v_exp_f32_e32 v6, v6
	v_cvt_i32_f32_e32 v9, v10
	v_ldexp_f32 v3, v3, v4
	v_cmp_ngt_f32_e64 s[4:5], s50, v2
	v_cndmask_b32_e64 v3, 0, v3, s[4:5]
	v_ldexp_f32 v4, v6, v9
	v_cmp_ngt_f32_e64 s[4:5], s50, v5
	v_cndmask_b32_e64 v4, 0, v4, s[4:5]
	v_cmp_nlt_f32_e64 s[4:5], s48, v5
	v_cndmask_b32_e64 v4, v14, v4, s[4:5]
	s_mov_b32 s4, 0xc1a00000
	v_cmp_le_f32_e64 s[4:5], s4, v5
	v_cndmask_b32_e64 v44, 0, v4, s[4:5]
	v_cmp_nlt_f32_e64 s[4:5], s48, v2
	v_cvt_f16_f32_e32 v2, v0
	v_cvt_f16_f32_e32 v4, v32
	;; [unrolled: 1-line block ×4, first 2 shown]
	v_cndmask_b32_e64 v47, v14, v3, s[4:5]
	v_cvt_f16_f32_e32 v11, v56
	v_cvt_f16_f32_e32 v14, v36
	;; [unrolled: 1-line block ×4, first 2 shown]
	v_pack_b32_f16 v32, v2, v4
	v_mul_u32_u24_e32 v2, 0x88, v38
	v_or_b32_e32 v2, v2, v49
	v_cvt_f16_f32_e32 v50, v44
	v_pack_b32_f16 v33, v9, v10
	v_mul_u32_u24_e32 v4, 0x110, v38
	v_or_b32_e32 v9, 3, v39
	v_lshl_add_u32 v10, v2, 1, 0
	v_lshlrev_b32_e32 v2, 1, v49
	v_pack_b32_f16 v30, v11, v14
	v_mul_i32_i24_e32 v11, 0x110, v9
	v_add3_u32 v9, 0, v4, v2
	v_pack_b32_f16 v31, v20, v21
	v_cvt_f16_f32_e32 v21, v59
	v_add3_u32 v11, 0, v11, v2
	s_mov_b32 s4, 0x5040100
	s_waitcnt vmcnt(0) lgkmcnt(0)
	ds_write_b128 v51, v[52:55]
	s_waitcnt lgkmcnt(0)
	s_barrier
	ds_read_u16 v36, v9 offset:544
	ds_read_u16 v14, v9 offset:576
	;; [unrolled: 1-line block ×8, first 2 shown]
	ds_read_u16 v37, v11
	ds_read_u16 v55, v11 offset:32
	ds_read_u16 v56, v11 offset:64
	;; [unrolled: 1-line block ×7, first 2 shown]
	v_mov_b32_e32 v3, s47
	s_waitcnt lgkmcnt(7)
	v_perm_b32 v37, v37, v36, s4
	ds_read_u16 v36, v10
	ds_read_u16 v58, v10 offset:32
	ds_read_u16 v60, v10 offset:64
	;; [unrolled: 1-line block ×15, first 2 shown]
	v_cndmask_b32_e32 v12, v3, v47, vcc
	v_pk_mul_f16 v3, v50, v121 op_sel_hi:[0,1]
	v_pk_mul_f16 v5, v50, v120 op_sel_hi:[0,1]
	s_waitcnt lgkmcnt(7)
	v_perm_b32 v36, v38, v36, s4
	v_cvt_f32_f16_e32 v2, v3
	v_cvt_f32_f16_sdwa v3, v3 dst_sel:DWORD dst_unused:UNUSED_PAD src0_sel:WORD_1
	v_cvt_f32_f16_e32 v4, v5
	v_cvt_f32_f16_sdwa v5, v5 dst_sel:DWORD dst_unused:UNUSED_PAD src0_sel:WORD_1
	v_cvt_f16_f32_e32 v38, v16
	v_cvt_f16_f32_e32 v39, v17
	v_mfma_f32_16x16x16f16 v[2:5], v[36:37], v[32:33], v[2:5]
	ds_read_u16 v16, v9 offset:4896
	ds_read_u16 v77, v9 offset:4928
	;; [unrolled: 1-line block ×16, first 2 shown]
	s_waitcnt lgkmcnt(7)
	v_perm_b32 v17, v17, v16, s4
	ds_read_u16 v16, v10 offset:4352
	ds_read_u16 v91, v10 offset:4384
	;; [unrolled: 1-line block ×16, first 2 shown]
	s_waitcnt lgkmcnt(7)
	v_perm_b32 v16, v36, v16, s4
	v_cvt_f16_f32_e32 v15, v15
	v_pk_mul_f16 v6, v50, v122 op_sel_hi:[0,1]
	v_pack_b32_f16 v37, v38, v39
	v_cvt_f16_f32_e32 v2, v2
	v_cvt_f16_f32_e32 v3, v3
	;; [unrolled: 1-line block ×4, first 2 shown]
	v_cvt_f32_f16_e32 v2, v2
	v_cvt_f32_f16_e32 v3, v3
	;; [unrolled: 1-line block ×4, first 2 shown]
	v_pack_b32_f16 v36, v21, v15
	v_cvt_f16_f32_e32 v13, v13
	v_mfma_f32_16x16x16f16 v[2:5], v[16:17], v[30:31], v[2:5]
	ds_read_u16 v15, v9 offset:9248
	ds_read_u16 v21, v9 offset:9280
	;; [unrolled: 1-line block ×16, first 2 shown]
	s_waitcnt lgkmcnt(7)
	v_perm_b32 v17, v16, v15, s4
	ds_read_u16 v15, v10 offset:8704
	ds_read_u16 v132, v10 offset:8736
	;; [unrolled: 1-line block ×16, first 2 shown]
	s_waitcnt lgkmcnt(7)
	v_perm_b32 v16, v16, v15, s4
	v_cvt_f16_f32_e32 v7, v7
	v_cvt_f16_f32_e32 v8, v8
	;; [unrolled: 1-line block ×7, first 2 shown]
	v_cvt_f32_f16_e32 v2, v2
	v_cvt_f32_f16_e32 v3, v3
	;; [unrolled: 1-line block ×4, first 2 shown]
	v_pack_b32_f16 v39, v8, v12
	v_cvt_f32_f16_e32 v8, v6
	v_mfma_f32_16x16x16f16 v[2:5], v[16:17], v[36:37], v[2:5]
	ds_read_u16 v15, v9 offset:13600
	ds_read_u16 v16, v9 offset:13632
	;; [unrolled: 1-line block ×16, first 2 shown]
	s_waitcnt lgkmcnt(7)
	v_perm_b32 v11, v38, v15, s4
	ds_read_u16 v15, v10 offset:13056
	ds_read_u16 v159, v10 offset:13088
	;; [unrolled: 1-line block ×16, first 2 shown]
	s_waitcnt lgkmcnt(7)
	v_perm_b32 v10, v10, v15, s4
	v_pk_mul_f16 v15, v50, v112 op_sel_hi:[0,1]
	v_pack_b32_f16 v38, v13, v7
	v_cvt_f32_f16_sdwa v9, v6 dst_sel:DWORD dst_unused:UNUSED_PAD src0_sel:WORD_1
	v_cvt_f16_f32_e32 v2, v2
	v_cvt_f16_f32_e32 v3, v3
	v_cvt_f16_f32_e32 v4, v4
	v_cvt_f16_f32_e32 v5, v5
	v_cvt_f32_f16_e32 v2, v2
	v_cvt_f32_f16_e32 v3, v3
	;; [unrolled: 1-line block ×4, first 2 shown]
	v_perm_b32 v7, v55, v14, s4
	v_perm_b32 v6, v70, v58, s4
	v_mfma_f32_16x16x16f16 v[2:5], v[10:11], v[38:39], v[2:5]
	v_cvt_f32_f16_e32 v10, v15
	v_cvt_f32_f16_sdwa v11, v15 dst_sel:DWORD dst_unused:UNUSED_PAD src0_sel:WORD_1
	v_pk_mul_f16 v12, v50, v110 op_sel_hi:[0,1]
	v_pk_mul_f16 v13, v50, v109 op_sel_hi:[0,1]
	v_perm_b32 v15, v56, v20, s4
	v_perm_b32 v14, v71, v60, s4
	;; [unrolled: 1-line block ×3, first 2 shown]
	v_mfma_f32_16x16x16f16 v[6:9], v[6:7], v[32:33], v[8:11]
	v_pk_mul_f16 v55, v50, v103 op_sel_hi:[0,1]
	v_cvt_f32_f16_e32 v58, v55
	v_perm_b32 v61, v128, v121, s4
	v_perm_b32 v60, v142, v135, s4
	v_add_f32_e32 v18, v18, v0
	s_nop 1
	v_perm_b32 v11, v84, v77, s4
	v_perm_b32 v10, v98, v91, s4
	s_nop 1
	v_cvt_f16_f32_e32 v6, v6
	v_cvt_f16_f32_e32 v7, v7
	;; [unrolled: 1-line block ×4, first 2 shown]
	v_cvt_f32_f16_e32 v6, v6
	v_cvt_f32_f16_e32 v7, v7
	;; [unrolled: 1-line block ×4, first 2 shown]
	v_cndmask_b32_e64 v0, v0, v18, s[40:41]
	v_perm_b32 v53, v63, v53, s4
	v_mfma_f32_16x16x16f16 v[6:9], v[10:11], v[30:31], v[6:9]
	v_perm_b32 v11, v125, v21, s4
	v_perm_b32 v10, v139, v132, s4
	;; [unrolled: 1-line block ×3, first 2 shown]
	v_pk_mul_f16 v51, v50, v104 op_sel_hi:[0,1]
	v_cvt_f32_f16_e32 v56, v51
	v_cvt_f32_f16_sdwa v57, v51 dst_sel:DWORD dst_unused:UNUSED_PAD src0_sel:WORD_1
	s_waitcnt lgkmcnt(0)
	s_nop 3
	v_cvt_f16_f32_e32 v6, v6
	v_cvt_f16_f32_e32 v7, v7
	;; [unrolled: 1-line block ×4, first 2 shown]
	v_cvt_f32_f16_e32 v6, v6
	v_cvt_f32_f16_e32 v7, v7
	;; [unrolled: 1-line block ×4, first 2 shown]
	s_barrier
	s_nop 0
	v_mfma_f32_16x16x16f16 v[6:9], v[10:11], v[36:37], v[6:9]
	v_perm_b32 v11, v152, v16, s4
	v_perm_b32 v10, v166, v159, s4
	v_pk_mul_f16 v16, v50, v108 op_sel_hi:[0,1]
	s_barrier
	s_nop 6
	v_cvt_f16_f32_e32 v6, v6
	v_cvt_f16_f32_e32 v7, v7
	;; [unrolled: 1-line block ×4, first 2 shown]
	v_cvt_f32_f16_e32 v6, v6
	v_cvt_f32_f16_e32 v7, v7
	;; [unrolled: 1-line block ×4, first 2 shown]
	s_nop 1
	v_mfma_f32_16x16x16f16 v[6:9], v[10:11], v[38:39], v[6:9]
	v_cvt_f32_f16_e32 v10, v12
	v_cvt_f32_f16_sdwa v11, v12 dst_sel:DWORD dst_unused:UNUSED_PAD src0_sel:WORD_1
	v_cvt_f32_f16_e32 v12, v13
	v_cvt_f32_f16_sdwa v13, v13 dst_sel:DWORD dst_unused:UNUSED_PAD src0_sel:WORD_1
	s_nop 1
	v_mfma_f32_16x16x16f16 v[10:13], v[14:15], v[32:33], v[10:13]
	v_perm_b32 v15, v85, v78, s4
	v_perm_b32 v14, v99, v92, s4
	s_nop 7
	s_nop 0
	v_cvt_f16_f32_e32 v10, v10
	v_cvt_f16_f32_e32 v11, v11
	;; [unrolled: 1-line block ×4, first 2 shown]
	v_cvt_f32_f16_e32 v10, v10
	v_cvt_f32_f16_e32 v11, v11
	;; [unrolled: 1-line block ×4, first 2 shown]
	s_nop 1
	v_mfma_f32_16x16x16f16 v[10:13], v[14:15], v[30:31], v[10:13]
	v_perm_b32 v15, v126, v115, s4
	v_perm_b32 v14, v140, v133, s4
	s_nop 7
	s_nop 0
	v_cvt_f16_f32_e32 v10, v10
	v_cvt_f16_f32_e32 v11, v11
	;; [unrolled: 1-line block ×4, first 2 shown]
	v_cvt_f32_f16_e32 v10, v10
	v_cvt_f32_f16_e32 v11, v11
	;; [unrolled: 1-line block ×4, first 2 shown]
	s_nop 1
	v_mfma_f32_16x16x16f16 v[10:13], v[14:15], v[36:37], v[10:13]
	v_perm_b32 v15, v153, v17, s4
	v_perm_b32 v14, v167, v160, s4
	v_pk_mul_f16 v17, v50, v107 op_sel_hi:[0,1]
	s_nop 7
	v_cvt_f16_f32_e32 v10, v10
	v_cvt_f16_f32_e32 v11, v11
	;; [unrolled: 1-line block ×4, first 2 shown]
	v_cvt_f32_f16_e32 v10, v10
	v_cvt_f32_f16_e32 v11, v11
	;; [unrolled: 1-line block ×4, first 2 shown]
	s_nop 1
	v_mfma_f32_16x16x16f16 v[10:13], v[14:15], v[38:39], v[10:13]
	v_cvt_f32_f16_e32 v14, v16
	v_cvt_f32_f16_sdwa v15, v16 dst_sel:DWORD dst_unused:UNUSED_PAD src0_sel:WORD_1
	v_cvt_f32_f16_e32 v16, v17
	v_cvt_f32_f16_sdwa v17, v17 dst_sel:DWORD dst_unused:UNUSED_PAD src0_sel:WORD_1
	s_nop 1
	v_mfma_f32_16x16x16f16 v[14:17], v[20:21], v[32:33], v[14:17]
	v_perm_b32 v21, v86, v79, s4
	v_perm_b32 v20, v100, v93, s4
	s_nop 7
	s_nop 0
	v_cvt_f16_f32_e32 v14, v14
	v_cvt_f16_f32_e32 v15, v15
	v_cvt_f16_f32_e32 v16, v16
	v_cvt_f16_f32_e32 v17, v17
	v_cvt_f32_f16_e32 v14, v14
	v_cvt_f32_f16_e32 v15, v15
	v_cvt_f32_f16_e32 v16, v16
	v_cvt_f32_f16_e32 v17, v17
	s_nop 1
	v_mfma_f32_16x16x16f16 v[14:17], v[20:21], v[30:31], v[14:17]
	v_perm_b32 v21, v127, v120, s4
	v_perm_b32 v20, v141, v134, s4
	s_nop 7
	s_nop 0
	v_cvt_f16_f32_e32 v14, v14
	v_cvt_f16_f32_e32 v15, v15
	v_cvt_f16_f32_e32 v16, v16
	v_cvt_f16_f32_e32 v17, v17
	v_cvt_f32_f16_e32 v14, v14
	v_cvt_f32_f16_e32 v15, v15
	v_cvt_f32_f16_e32 v16, v16
	v_cvt_f32_f16_e32 v17, v17
	;; [unrolled: 14-line block ×3, first 2 shown]
	s_nop 1
	v_mfma_f32_16x16x16f16 v[14:17], v[20:21], v[38:39], v[14:17]
	v_perm_b32 v21, v59, v52, s4
	v_perm_b32 v20, v73, v66, s4
	v_cvt_f32_f16_sdwa v59, v55 dst_sel:DWORD dst_unused:UNUSED_PAD src0_sel:WORD_1
	v_pk_mul_f16 v55, v50, v105 op_sel_hi:[0,1]
	s_nop 0
	v_mfma_f32_16x16x16f16 v[56:59], v[20:21], v[32:33], v[56:59]
	s_nop 7
	s_nop 2
	v_cvt_f16_f32_e32 v20, v56
	v_cvt_f16_f32_e32 v21, v57
	;; [unrolled: 1-line block ×4, first 2 shown]
	v_cvt_f32_f16_e32 v56, v20
	v_cvt_f32_f16_e32 v57, v21
	v_perm_b32 v21, v87, v80, s4
	v_perm_b32 v20, v101, v94, s4
	v_cvt_f32_f16_e32 v58, v51
	v_cvt_f32_f16_e32 v59, v52
	s_nop 1
	v_mfma_f32_16x16x16f16 v[56:59], v[20:21], v[30:31], v[56:59]
	s_nop 7
	s_nop 2
	v_cvt_f16_f32_e32 v20, v56
	v_cvt_f16_f32_e32 v21, v57
	;; [unrolled: 1-line block ×4, first 2 shown]
	v_cvt_f32_f16_e32 v56, v20
	v_cvt_f32_f16_e32 v57, v21
	v_cvt_f32_f16_e32 v58, v51
	v_cvt_f32_f16_e32 v59, v52
	v_pk_mul_f16 v52, v50, v106 op_sel_hi:[0,1]
	s_nop 0
	v_mfma_f32_16x16x16f16 v[56:59], v[60:61], v[36:37], v[56:59]
	s_nop 7
	s_nop 2
	v_cvt_f16_f32_e32 v20, v57
	v_cvt_f16_f32_e32 v21, v58
	;; [unrolled: 1-line block ×4, first 2 shown]
	v_cvt_f32_f16_e32 v57, v20
	v_cvt_f32_f16_e32 v58, v21
	v_perm_b32 v21, v155, v147, s4
	v_perm_b32 v20, v169, v162, s4
	v_cvt_f32_f16_e32 v56, v18
	v_cvt_f32_f16_e32 v59, v51
	v_add_f32_e32 v51, v0, v19
	v_cndmask_b32_e64 v0, v0, v51, s[36:37]
	v_mfma_f32_16x16x16f16 v[18:21], v[20:21], v[38:39], v[56:59]
	v_add_f32_e32 v23, v0, v23
	v_cndmask_b32_e64 v23, v0, v23, s[38:39]
	s_nop 4
	v_cvt_f32_f16_e32 v56, v52
	v_cvt_f32_f16_sdwa v57, v52 dst_sel:DWORD dst_unused:UNUSED_PAD src0_sel:WORD_1
	v_perm_b32 v52, v74, v67, s4
	v_cvt_f32_f16_e32 v58, v55
	v_cvt_f32_f16_sdwa v59, v55 dst_sel:DWORD dst_unused:UNUSED_PAD src0_sel:WORD_1
	s_nop 1
	v_mfma_f32_16x16x16f16 v[56:59], v[52:53], v[32:33], v[56:59]
	v_perm_b32 v53, v88, v81, s4
	s_nop 7
	s_nop 1
	v_cvt_f16_f32_e32 v52, v58
	v_cvt_f16_f32_e32 v0, v56
	;; [unrolled: 1-line block ×4, first 2 shown]
	v_cvt_f32_f16_e32 v58, v52
	v_perm_b32 v52, v111, v95, s4
	v_cvt_f32_f16_e32 v56, v0
	v_cvt_f32_f16_e32 v57, v51
	v_cvt_f32_f16_e32 v59, v55
	v_add_f32_e32 v0, v22, v23
	v_cndmask_b32_e64 v0, v23, v0, s[34:35]
	v_mfma_f32_16x16x16f16 v[56:59], v[52:53], v[30:31], v[56:59]
	v_add_f32_e32 v24, v24, v0
	v_cndmask_b32_e64 v0, v0, v24, s[30:31]
	v_perm_b32 v53, v156, v149, s4
	v_pk_mul_f16 v55, v50, v118 op_sel_hi:[0,1]
	s_nop 6
	v_cvt_f16_f32_e32 v22, v56
	v_cvt_f16_f32_e32 v23, v57
	;; [unrolled: 1-line block ×4, first 2 shown]
	v_cvt_f32_f16_e32 v56, v22
	v_cvt_f32_f16_e32 v57, v23
	v_perm_b32 v23, v129, v122, s4
	v_perm_b32 v22, v143, v136, s4
	v_cvt_f32_f16_e32 v58, v51
	v_cvt_f32_f16_e32 v59, v52
	v_add_f32_e32 v51, v25, v0
	v_perm_b32 v52, v170, v163, s4
	v_mfma_f32_16x16x16f16 v[22:25], v[22:23], v[36:37], v[56:59]
	v_cndmask_b32_e64 v0, v0, v51, s[28:29]
	v_pk_mul_f16 v51, v50, v119 op_sel_hi:[0,1]
	v_add_f32_e32 v27, v27, v0
	v_cndmask_b32_e64 v27, v0, v27, s[26:27]
	s_nop 2
	v_cvt_f32_f16_e32 v56, v51
	v_cvt_f32_f16_sdwa v57, v51 dst_sel:DWORD dst_unused:UNUSED_PAD src0_sel:WORD_1
	v_cvt_f32_f16_e32 v58, v55
	s_nop 0
	v_cvt_f16_f32_e32 v22, v22
	v_cvt_f16_f32_e32 v23, v23
	;; [unrolled: 1-line block ×4, first 2 shown]
	v_cvt_f32_f16_e32 v22, v22
	v_cvt_f32_f16_e32 v23, v23
	;; [unrolled: 1-line block ×4, first 2 shown]
	v_cvt_f32_f16_sdwa v59, v55 dst_sel:DWORD dst_unused:UNUSED_PAD src0_sel:WORD_1
	s_nop 0
	v_mfma_f32_16x16x16f16 v[22:25], v[52:53], v[38:39], v[22:25]
	v_perm_b32 v53, v64, v54, s4
	v_perm_b32 v52, v75, v68, s4
	s_nop 1
	v_mfma_f32_16x16x16f16 v[52:55], v[52:53], v[32:33], v[56:59]
	s_nop 6
	v_perm_b32 v57, v89, v82, s4
	s_nop 2
	v_cvt_f16_f32_e32 v0, v52
	v_cvt_f16_f32_e32 v51, v53
	;; [unrolled: 1-line block ×4, first 2 shown]
	v_perm_b32 v56, v113, v96, s4
	v_cvt_f32_f16_e32 v52, v0
	v_cvt_f32_f16_e32 v53, v51
	;; [unrolled: 1-line block ×4, first 2 shown]
	v_add_f32_e32 v0, v26, v27
	v_cndmask_b32_e64 v0, v27, v0, s[24:25]
	v_mfma_f32_16x16x16f16 v[52:55], v[56:57], v[30:31], v[52:55]
	v_add_f32_e32 v28, v28, v0
	v_cndmask_b32_e64 v0, v0, v28, s[20:21]
	v_add_f32_e32 v28, v29, v0
	v_cndmask_b32_e64 v0, v0, v28, s[22:23]
	v_pk_mul_f16 v56, v50, v116 op_sel_hi:[0,1]
	v_add_f32_e32 v43, v43, v0
	v_cndmask_b32_e64 v43, v0, v43, s[18:19]
	s_nop 3
	v_cvt_f16_f32_e32 v26, v52
	v_cvt_f16_f32_e32 v27, v53
	;; [unrolled: 1-line block ×4, first 2 shown]
	v_cvt_f32_f16_e32 v52, v26
	v_cvt_f32_f16_e32 v53, v27
	v_perm_b32 v27, v130, v123, s4
	v_perm_b32 v26, v144, v137, s4
	v_cvt_f32_f16_e32 v54, v51
	v_cvt_f32_f16_e32 v55, v55
	v_pk_mul_f16 v51, v50, v117 op_sel_hi:[0,1]
	v_cvt_f32_f16_e32 v50, v51
	v_mfma_f32_16x16x16f16 v[26:29], v[26:27], v[36:37], v[52:55]
	v_cvt_f32_f16_sdwa v51, v51 dst_sel:DWORD dst_unused:UNUSED_PAD src0_sel:WORD_1
	v_add_f32_e32 v0, v42, v43
	v_cndmask_b32_e64 v0, v43, v0, s[14:15]
	v_perm_b32 v43, v131, v124, s4
	s_nop 2
	v_perm_b32 v53, v157, v150, s4
	v_perm_b32 v52, v171, v164, s4
	v_perm_b32 v55, v65, v62, s4
	s_nop 0
	v_cvt_f16_f32_e32 v26, v26
	v_cvt_f16_f32_e32 v27, v27
	;; [unrolled: 1-line block ×4, first 2 shown]
	v_cvt_f32_f16_e32 v26, v26
	v_cvt_f32_f16_e32 v27, v27
	;; [unrolled: 1-line block ×4, first 2 shown]
	v_perm_b32 v54, v76, v69, s4
	s_nop 0
	v_mfma_f32_16x16x16f16 v[26:29], v[52:53], v[38:39], v[26:29]
	v_cvt_f32_f16_e32 v52, v56
	v_cvt_f32_f16_sdwa v53, v56 dst_sel:DWORD dst_unused:UNUSED_PAD src0_sel:WORD_1
	s_nop 1
	v_mfma_f32_16x16x16f16 v[50:53], v[54:55], v[32:33], v[50:53]
	s_nop 7
	s_nop 2
	v_cvt_f16_f32_e32 v32, v50
	v_cvt_f16_f32_e32 v33, v51
	;; [unrolled: 1-line block ×4, first 2 shown]
	v_cvt_f32_f16_e32 v50, v32
	v_cvt_f32_f16_e32 v51, v33
	v_perm_b32 v33, v90, v83, s4
	v_perm_b32 v32, v114, v97, s4
	v_cvt_f32_f16_e32 v52, v42
	v_cvt_f32_f16_e32 v53, v53
	v_add_f32_e32 v42, v46, v0
	v_cndmask_b32_e64 v0, v0, v42, s[16:17]
	v_mfma_f32_16x16x16f16 v[30:33], v[32:33], v[30:31], v[50:53]
	v_perm_b32 v42, v145, v138, s4
	v_add_f32_e32 v35, v35, v0
	v_cndmask_b32_e64 v0, v0, v35, s[12:13]
	v_add_f32_e32 v35, v47, v0
	v_cndmask_b32_e32 v0, v0, v35, vcc
	v_fmac_f32_e32 v0, v45, v44
	ds_bpermute_b32 v1, v1, v0
	s_nop 3
	v_cvt_f16_f32_e32 v30, v30
	v_cvt_f16_f32_e32 v31, v31
	;; [unrolled: 1-line block ×4, first 2 shown]
	v_cvt_f32_f16_e32 v30, v30
	v_cvt_f32_f16_e32 v31, v31
	;; [unrolled: 1-line block ×4, first 2 shown]
	s_waitcnt lgkmcnt(0)
	v_add_f32_e32 v1, v0, v1
	ds_bpermute_b32 v35, v41, v1
	v_mfma_f32_16x16x16f16 v[30:33], v[42:43], v[36:37], v[30:33]
	v_perm_b32 v37, v158, v151, s4
	v_perm_b32 v36, v172, v165, s4
	v_cmp_lt_u32_e32 vcc, 15, v48
                                        ; implicit-def: $vgpr0
	s_nop 7
	v_cvt_f16_f32_e32 v30, v30
	v_cvt_f16_f32_e32 v31, v31
	;; [unrolled: 1-line block ×4, first 2 shown]
	v_cvt_f32_f16_e32 v30, v30
	v_cvt_f32_f16_e32 v31, v31
	;; [unrolled: 1-line block ×4, first 2 shown]
	s_nop 1
	v_mfma_f32_16x16x16f16 v[30:33], v[36:37], v[38:39], v[30:33]
	s_and_saveexec_b64 s[4:5], vcc
	s_xor_b64 s[4:5], exec, s[4:5]
; %bb.946:
	v_lshlrev_b32_e32 v0, 4, v148
                                        ; implicit-def: $vgpr1
                                        ; implicit-def: $vgpr35
                                        ; implicit-def: $vgpr34
; %bb.947:
	s_or_saveexec_b64 s[4:5], s[4:5]
	v_readlane_b32 s12, v253, 34
	v_readlane_b32 s18, v253, 40
	;; [unrolled: 1-line block ×7, first 2 shown]
	s_mov_b64 s[18:19], s[26:27]
	v_add_u32_e32 v36, 48, v148
	v_add_u32_e32 v37, 32, v148
	;; [unrolled: 1-line block ×3, first 2 shown]
	v_and_b32_e32 v39, 15, v148
	v_readlane_b32 s13, v253, 35
	v_readlane_b32 s14, v253, 36
	;; [unrolled: 1-line block ×11, first 2 shown]
	s_xor_b64 exec, exec, s[4:5]
	s_cbranch_execz .LBB25_949
; %bb.948:
	s_add_i32 s6, s6, s10
	s_lshl_b32 s6, s6, 6
	s_mov_b32 s7, 0
	v_lshlrev_b32_e32 v0, 4, v148
	s_lshl_b64 s[6:7], s[6:7], 3
	s_waitcnt lgkmcnt(0)
	v_add_f32_e32 v35, v1, v35
	v_or_b32_e32 v1, v0, v48
	s_add_u32 s6, s18, s6
	s_addc_u32 s7, s19, s7
	v_lshlrev_b32_e32 v1, 3, v1
	global_store_dwordx2 v1, v[34:35], s[6:7]
.LBB25_949:
	s_or_b64 exec, exec, s[4:5]
	v_cvt_f16_f32_e32 v1, v2
	v_cvt_f16_f32_e32 v2, v3
	v_cvt_f16_f32_e32 v3, v4
	v_cvt_f16_f32_e32 v4, v5
	v_cvt_f16_f32_e32 v5, v6
	v_cvt_f16_f32_e32 v6, v8
	v_cvt_f16_f32_e32 v8, v9
	v_cvt_f16_f32_e32 v7, v7
	v_pack_b32_f16 v3, v3, v4
	v_pack_b32_f16 v1, v1, v2
	v_pack_b32_f16 v2, v6, v8
	v_pack_b32_f16 v4, v5, v7
	v_cvt_f16_f32_e32 v5, v10
	v_cvt_f16_f32_e32 v6, v11
	v_cvt_f16_f32_e32 v7, v12
	v_cvt_f16_f32_e32 v8, v13
	v_cvt_f16_f32_e32 v9, v14
	v_cvt_f16_f32_e32 v10, v16
	v_cvt_f16_f32_e32 v11, v17
	v_cvt_f16_f32_e32 v12, v15
	v_pack_b32_f16 v7, v7, v8
	v_pack_b32_f16 v5, v5, v6
	v_pack_b32_f16 v6, v10, v11
	v_pack_b32_f16 v8, v9, v12
	;; [unrolled: 12-line block ×3, first 2 shown]
	v_cvt_f16_f32_e32 v13, v26
	v_cvt_f16_f32_e32 v14, v27
	v_cvt_f16_f32_e32 v15, v28
	v_cvt_f16_f32_e32 v16, v29
	v_cvt_f16_f32_e32 v17, v30
	v_cvt_f16_f32_e32 v18, v32
	v_cvt_f16_f32_e32 v19, v33
	v_cvt_f16_f32_e32 v20, v31
	v_or_b32_e32 v0, v0, v49
	s_movk_i32 s6, 0x44
	v_mad_i32_i24 v0, v0, s6, v102
	v_readlane_b32 s8, v253, 8
	v_lshl_add_u32 v0, v0, 2, 0
	v_readlane_b32 s9, v253, 9
	v_pack_b32_f16 v15, v15, v16
	v_pack_b32_f16 v13, v13, v14
	;; [unrolled: 1-line block ×4, first 2 shown]
	ds_write2_b32 v0, v1, v3 offset1:1
	ds_write2_b32 v0, v4, v2 offset0:8 offset1:9
	ds_write2_b32 v0, v5, v7 offset0:16 offset1:17
	ds_write2_b32 v0, v8, v6 offset0:24 offset1:25
	ds_write2_b32 v0, v9, v11 offset0:32 offset1:33
	ds_write2_b32 v0, v12, v10 offset0:40 offset1:41
	ds_write2_b32 v0, v13, v15 offset0:48 offset1:49
	ds_write2_b32 v0, v16, v14 offset0:56 offset1:57
	s_waitcnt lgkmcnt(0)
	s_barrier
	s_load_dword s4, s[8:9], 0x10
	s_load_dword s7, s[8:9], 0x0
	s_mov_b32 s5, 0
	v_mad_u32_u24 v8, v148, s6, v48
	v_mov_b32_e32 v1, 0
	s_waitcnt lgkmcnt(0)
	s_lshr_b32 s4, s4, 16
	s_cmp_lg_u32 s4, 0
	s_cselect_b64 s[8:9], -1, 0
	s_cmp_lg_u64 s[8:9], 0
	s_addc_u32 s4, s7, 0
	s_lshl_b32 s4, s4, 7
	s_lshl_b64 s[8:9], s[4:5], 3
	s_add_u32 s7, s18, s8
	s_addc_u32 s8, s19, s9
	s_lshl_b32 s4, s10, 12
	s_lshl_b64 s[4:5], s[4:5], 3
	s_add_u32 s4, s7, s4
	v_sub_u32_e32 v0, v8, v40
	s_addc_u32 s5, s8, s5
	v_lshlrev_b64 v[2:3], 3, v[0:1]
	v_lshl_add_u32 v9, v8, 2, 0
	v_mov_b32_e32 v0, s5
	v_add_co_u32_e32 v2, vcc, s4, v2
	ds_read_b32 v5, v9
	ds_read_b32 v6, v9 offset:1088
	ds_read_b32 v7, v9 offset:2176
	;; [unrolled: 1-line block ×7, first 2 shown]
	v_addc_co_u32_e32 v3, vcc, v0, v3, vcc
	buffer_load_dword v0, off, s[0:3], 0 offset:148 ; 4-byte Folded Reload
	s_waitcnt lgkmcnt(7)
	v_cvt_f32_f16_e32 v4, v5
	v_cvt_f32_f16_sdwa v5, v5 dst_sel:DWORD dst_unused:UNUSED_PAD src0_sel:WORD_1
	v_add_u32_e32 v15, 0x110, v8
	s_movk_i32 s7, 0x7f0
	v_pk_add_f32 v[4:5], v[4:5], 0 op_sel_hi:[1,0]
	global_store_dwordx2 v[2:3], v[4:5], off
	s_waitcnt lgkmcnt(6)
	v_cvt_f32_f16_e32 v4, v6
	v_cvt_f32_f16_sdwa v5, v6 dst_sel:DWORD dst_unused:UNUSED_PAD src0_sel:WORD_1
	v_and_or_b32 v6, v37, s7, v39
	v_mad_u32_u24 v6, v6, s6, v48
	v_lshl_add_u32 v6, v6, 2, 0
	v_pk_add_f32 v[4:5], v[4:5], 0 op_sel_hi:[1,0]
	s_waitcnt vmcnt(1)
	v_lshlrev_b32_e32 v0, 2, v0
	v_sub_u32_e32 v0, v15, v0
	v_lshlrev_b64 v[2:3], 3, v[0:1]
	v_mov_b32_e32 v0, s5
	v_add_co_u32_e32 v2, vcc, s4, v2
	v_addc_co_u32_e32 v3, vcc, v0, v3, vcc
	buffer_load_dword v0, off, s[0:3], 0 offset:144 ; 4-byte Folded Reload
	s_waitcnt vmcnt(0)
	v_lshlrev_b32_e32 v0, 2, v0
	v_sub_u32_e32 v0, v15, v0
	v_add_u32_e32 v0, 0x110, v0
	global_store_dwordx2 v[2:3], v[4:5], off
	v_lshlrev_b64 v[2:3], 3, v[0:1]
	v_mov_b32_e32 v0, s5
	v_add_co_u32_e32 v2, vcc, s4, v2
	v_addc_co_u32_e32 v3, vcc, v0, v3, vcc
	buffer_load_dword v0, off, s[0:3], 0 offset:140 ; 4-byte Folded Reload
	s_waitcnt lgkmcnt(5)
	v_cvt_f32_f16_e32 v4, v7
	v_cvt_f32_f16_sdwa v5, v7 dst_sel:DWORD dst_unused:UNUSED_PAD src0_sel:WORD_1
	v_add_u32_e32 v15, 0x330, v8
	v_and_or_b32 v7, v36, s7, v39
	v_mad_u32_u24 v7, v7, s6, v48
	v_pk_add_f32 v[4:5], v[4:5], 0 op_sel_hi:[1,0]
	global_store_dwordx2 v[2:3], v[4:5], off
	s_waitcnt lgkmcnt(4)
	v_cvt_f32_f16_e32 v4, v10
	v_cvt_f32_f16_sdwa v5, v10 dst_sel:DWORD dst_unused:UNUSED_PAD src0_sel:WORD_1
	v_lshl_add_u32 v7, v7, 2, 0
	v_pk_add_f32 v[4:5], v[4:5], 0 op_sel_hi:[1,0]
	s_waitcnt vmcnt(1)
	v_lshlrev_b32_e32 v0, 2, v0
	v_sub_u32_e32 v0, v15, v0
	v_lshlrev_b64 v[2:3], 3, v[0:1]
	v_mov_b32_e32 v0, s5
	v_add_co_u32_e32 v2, vcc, s4, v2
	v_addc_co_u32_e32 v3, vcc, v0, v3, vcc
	v_and_or_b32 v0, v38, s7, v39
	v_mad_u32_u24 v0, v0, s6, v48
	v_lshl_add_u32 v0, v0, 2, 0
	ds_read_b32 v0, v0
	ds_read_b32 v10, v6
	ds_read_b32 v16, v7
	global_store_dwordx2 v[2:3], v[4:5], off
	s_waitcnt lgkmcnt(6)
	v_cvt_f32_f16_e32 v4, v11
	v_cvt_f32_f16_sdwa v5, v11 dst_sel:DWORD dst_unused:UNUSED_PAD src0_sel:WORD_1
	s_waitcnt lgkmcnt(2)
	v_cvt_f32_f16_e32 v6, v0
	v_cvt_f32_f16_sdwa v7, v0 dst_sel:DWORD dst_unused:UNUSED_PAD src0_sel:WORD_1
	v_lshlrev_b32_e32 v0, 6, v38
	v_add_lshl_u32 v0, v0, v48, 3
	v_pk_add_f32 v[4:5], v[4:5], 0 op_sel_hi:[1,0]
	v_pk_add_f32 v[2:3], v[6:7], 0 op_sel_hi:[1,0]
	global_store_dwordx2 v0, v[2:3], s[4:5]
	buffer_load_dword v0, off, s[0:3], 0 offset:136 ; 4-byte Folded Reload
	v_add_u32_e32 v6, 0x660, v8
	s_waitcnt lgkmcnt(1)
	v_cvt_f32_f16_sdwa v7, v10 dst_sel:DWORD dst_unused:UNUSED_PAD src0_sel:WORD_1
	s_waitcnt vmcnt(0)
	v_lshlrev_b32_e32 v0, 2, v0
	v_sub_u32_e32 v0, v15, v0
	v_add_u32_e32 v0, 0x220, v0
	v_lshlrev_b64 v[2:3], 3, v[0:1]
	v_mov_b32_e32 v0, s5
	v_add_co_u32_e32 v2, vcc, s4, v2
	v_addc_co_u32_e32 v3, vcc, v0, v3, vcc
	buffer_load_dword v0, off, s[0:3], 0 offset:132 ; 4-byte Folded Reload
	s_waitcnt vmcnt(0)
	v_lshlrev_b32_e32 v0, 2, v0
	v_sub_u32_e32 v0, v6, v0
	global_store_dwordx2 v[2:3], v[4:5], off
	v_lshlrev_b64 v[2:3], 3, v[0:1]
	v_mov_b32_e32 v0, s5
	v_add_co_u32_e32 v2, vcc, s4, v2
	v_addc_co_u32_e32 v3, vcc, v0, v3, vcc
	buffer_load_dword v0, off, s[0:3], 0 offset:128 ; 4-byte Folded Reload
	v_cvt_f32_f16_e32 v4, v12
	v_cvt_f32_f16_sdwa v5, v12 dst_sel:DWORD dst_unused:UNUSED_PAD src0_sel:WORD_1
	v_add_u32_e32 v12, 0xbb0, v8
	v_pk_add_f32 v[4:5], v[4:5], 0 op_sel_hi:[1,0]
	global_store_dwordx2 v[2:3], v[4:5], off
	v_cvt_f32_f16_e32 v4, v13
	v_cvt_f32_f16_sdwa v5, v13 dst_sel:DWORD dst_unused:UNUSED_PAD src0_sel:WORD_1
	v_pk_add_f32 v[4:5], v[4:5], 0 op_sel_hi:[1,0]
	s_waitcnt vmcnt(1)
	v_lshlrev_b32_e32 v0, 2, v0
	v_sub_u32_e32 v0, v6, v0
	v_add_u32_e32 v0, 0x110, v0
	v_cvt_f32_f16_e32 v6, v10
	v_lshlrev_b64 v[2:3], 3, v[0:1]
	v_mov_b32_e32 v0, s5
	v_add_co_u32_e32 v2, vcc, s4, v2
	v_addc_co_u32_e32 v3, vcc, v0, v3, vcc
	v_lshlrev_b32_e32 v0, 6, v37
	global_store_dwordx2 v[2:3], v[4:5], off
	v_add_lshl_u32 v0, v0, v48, 3
	v_pk_add_f32 v[2:3], v[6:7], 0 op_sel_hi:[1,0]
	global_store_dwordx2 v0, v[2:3], s[4:5]
	buffer_load_dword v0, off, s[0:3], 0 offset:124 ; 4-byte Folded Reload
	v_add_u32_e32 v6, 0x990, v8
	v_cvt_f32_f16_e32 v4, v14
	v_cvt_f32_f16_sdwa v5, v14 dst_sel:DWORD dst_unused:UNUSED_PAD src0_sel:WORD_1
	s_waitcnt lgkmcnt(0)
	v_cvt_f32_f16_sdwa v7, v16 dst_sel:DWORD dst_unused:UNUSED_PAD src0_sel:WORD_1
	v_pk_add_f32 v[4:5], v[4:5], 0 op_sel_hi:[1,0]
	s_waitcnt vmcnt(0)
	v_lshlrev_b32_e32 v0, 2, v0
	v_sub_u32_e32 v0, v6, v0
	v_lshlrev_b64 v[2:3], 3, v[0:1]
	v_mov_b32_e32 v0, s5
	v_add_co_u32_e32 v2, vcc, s4, v2
	v_addc_co_u32_e32 v3, vcc, v0, v3, vcc
	buffer_load_dword v0, off, s[0:3], 0 offset:120 ; 4-byte Folded Reload
	s_waitcnt vmcnt(0)
	v_lshlrev_b32_e32 v0, 2, v0
	v_sub_u32_e32 v0, v6, v0
	v_add_u32_e32 v0, 0x110, v0
	global_store_dwordx2 v[2:3], v[4:5], off
	v_lshlrev_b64 v[2:3], 3, v[0:1]
	v_mov_b32_e32 v0, s5
	v_add_co_u32_e32 v2, vcc, s4, v2
	ds_read_b32 v5, v9 offset:10880
	ds_read_b32 v6, v9 offset:11968
	;; [unrolled: 1-line block ×5, first 2 shown]
	v_addc_co_u32_e32 v3, vcc, v0, v3, vcc
	buffer_load_dword v0, off, s[0:3], 0 offset:116 ; 4-byte Folded Reload
	s_waitcnt lgkmcnt(4)
	v_cvt_f32_f16_e32 v4, v5
	v_cvt_f32_f16_sdwa v5, v5 dst_sel:DWORD dst_unused:UNUSED_PAD src0_sel:WORD_1
	v_pk_add_f32 v[4:5], v[4:5], 0 op_sel_hi:[1,0]
	global_store_dwordx2 v[2:3], v[4:5], off
	s_waitcnt lgkmcnt(3)
	v_cvt_f32_f16_e32 v4, v6
	v_cvt_f32_f16_sdwa v5, v6 dst_sel:DWORD dst_unused:UNUSED_PAD src0_sel:WORD_1
	v_cvt_f32_f16_e32 v6, v16
	v_pk_add_f32 v[4:5], v[4:5], 0 op_sel_hi:[1,0]
	s_waitcnt vmcnt(1)
	v_lshlrev_b32_e32 v0, 2, v0
	v_sub_u32_e32 v0, v12, v0
	v_lshlrev_b64 v[2:3], 3, v[0:1]
	v_mov_b32_e32 v0, s5
	v_add_co_u32_e32 v2, vcc, s4, v2
	v_addc_co_u32_e32 v3, vcc, v0, v3, vcc
	v_lshlrev_b32_e32 v0, 6, v36
	global_store_dwordx2 v[2:3], v[4:5], off
	v_add_lshl_u32 v0, v0, v48, 3
	v_pk_add_f32 v[2:3], v[6:7], 0 op_sel_hi:[1,0]
	global_store_dwordx2 v0, v[2:3], s[4:5]
	buffer_load_dword v0, off, s[0:3], 0 offset:112 ; 4-byte Folded Reload
	s_waitcnt lgkmcnt(2)
	v_cvt_f32_f16_e32 v4, v10
	v_cvt_f32_f16_sdwa v5, v10 dst_sel:DWORD dst_unused:UNUSED_PAD src0_sel:WORD_1
	v_add_u32_e32 v6, 0xee0, v8
	v_pk_add_f32 v[4:5], v[4:5], 0 op_sel_hi:[1,0]
	s_waitcnt vmcnt(0)
	v_lshlrev_b32_e32 v0, 2, v0
	v_sub_u32_e32 v0, v12, v0
	v_add_u32_e32 v0, 0x220, v0
	v_lshlrev_b64 v[2:3], 3, v[0:1]
	v_mov_b32_e32 v0, s5
	v_add_co_u32_e32 v2, vcc, s4, v2
	v_addc_co_u32_e32 v3, vcc, v0, v3, vcc
	buffer_load_dword v0, off, s[0:3], 0 offset:108 ; 4-byte Folded Reload
	s_waitcnt vmcnt(0)
	v_lshlrev_b32_e32 v0, 2, v0
	v_sub_u32_e32 v0, v6, v0
	global_store_dwordx2 v[2:3], v[4:5], off
	v_lshlrev_b64 v[2:3], 3, v[0:1]
	v_mov_b32_e32 v0, s5
	v_add_co_u32_e32 v2, vcc, s4, v2
	v_addc_co_u32_e32 v3, vcc, v0, v3, vcc
	buffer_load_dword v0, off, s[0:3], 0 offset:104 ; 4-byte Folded Reload
	s_waitcnt lgkmcnt(1)
	v_cvt_f32_f16_e32 v4, v11
	v_cvt_f32_f16_sdwa v5, v11 dst_sel:DWORD dst_unused:UNUSED_PAD src0_sel:WORD_1
	v_pk_add_f32 v[4:5], v[4:5], 0 op_sel_hi:[1,0]
	global_store_dwordx2 v[2:3], v[4:5], off
	s_waitcnt lgkmcnt(0)
	v_cvt_f32_f16_e32 v2, v9
	v_cvt_f32_f16_sdwa v3, v9 dst_sel:DWORD dst_unused:UNUSED_PAD src0_sel:WORD_1
	v_mov_b32_e32 v4, s5
	v_pk_add_f32 v[2:3], v[2:3], 0 op_sel_hi:[1,0]
	s_waitcnt vmcnt(1)
	v_lshlrev_b32_e32 v0, 2, v0
	v_sub_u32_e32 v0, v6, v0
	v_add_u32_e32 v0, 0x110, v0
	v_lshlrev_b64 v[0:1], 3, v[0:1]
	v_add_co_u32_e32 v0, vcc, s4, v0
	v_addc_co_u32_e32 v1, vcc, v4, v1, vcc
	global_store_dwordx2 v[0:1], v[2:3], off
.LBB25_950:
	s_endpgm
	.section	.rodata,"a",@progbits
	.p2align	6, 0x0
	.amdhsa_kernel _ZL18flash_attn_ext_f16ILi128ELi128ELi64ELi1ELb1ELb0EEvPKcS1_S1_S1_S1_PKiPfP15HIP_vector_typeIfLj2EEffffjfiS5_IjLj3EEiiiiiiiiiiiliiliiiiil
		.amdhsa_group_segment_fixed_size 0
		.amdhsa_private_segment_fixed_size 192
		.amdhsa_kernarg_size 464
		.amdhsa_user_sgpr_count 8
		.amdhsa_user_sgpr_private_segment_buffer 1
		.amdhsa_user_sgpr_dispatch_ptr 0
		.amdhsa_user_sgpr_queue_ptr 0
		.amdhsa_user_sgpr_kernarg_segment_ptr 1
		.amdhsa_user_sgpr_dispatch_id 0
		.amdhsa_user_sgpr_flat_scratch_init 1
		.amdhsa_user_sgpr_kernarg_preload_length 0
		.amdhsa_user_sgpr_kernarg_preload_offset 0
		.amdhsa_user_sgpr_private_segment_size 0
		.amdhsa_uses_dynamic_stack 0
		.amdhsa_system_sgpr_private_segment_wavefront_offset 1
		.amdhsa_system_sgpr_workgroup_id_x 1
		.amdhsa_system_sgpr_workgroup_id_y 0
		.amdhsa_system_sgpr_workgroup_id_z 0
		.amdhsa_system_sgpr_workgroup_info 0
		.amdhsa_system_vgpr_workitem_id 1
		.amdhsa_next_free_vgpr 256
		.amdhsa_next_free_sgpr 98
		.amdhsa_accum_offset 256
		.amdhsa_reserve_vcc 1
		.amdhsa_reserve_flat_scratch 1
		.amdhsa_float_round_mode_32 0
		.amdhsa_float_round_mode_16_64 0
		.amdhsa_float_denorm_mode_32 3
		.amdhsa_float_denorm_mode_16_64 3
		.amdhsa_dx10_clamp 1
		.amdhsa_ieee_mode 1
		.amdhsa_fp16_overflow 0
		.amdhsa_tg_split 0
		.amdhsa_exception_fp_ieee_invalid_op 0
		.amdhsa_exception_fp_denorm_src 0
		.amdhsa_exception_fp_ieee_div_zero 0
		.amdhsa_exception_fp_ieee_overflow 0
		.amdhsa_exception_fp_ieee_underflow 0
		.amdhsa_exception_fp_ieee_inexact 0
		.amdhsa_exception_int_div_zero 0
	.end_amdhsa_kernel
	.section	.text._ZL18flash_attn_ext_f16ILi128ELi128ELi64ELi1ELb1ELb0EEvPKcS1_S1_S1_S1_PKiPfP15HIP_vector_typeIfLj2EEffffjfiS5_IjLj3EEiiiiiiiiiiiliiliiiiil,"axG",@progbits,_ZL18flash_attn_ext_f16ILi128ELi128ELi64ELi1ELb1ELb0EEvPKcS1_S1_S1_S1_PKiPfP15HIP_vector_typeIfLj2EEffffjfiS5_IjLj3EEiiiiiiiiiiiliiliiiiil,comdat
.Lfunc_end25:
	.size	_ZL18flash_attn_ext_f16ILi128ELi128ELi64ELi1ELb1ELb0EEvPKcS1_S1_S1_S1_PKiPfP15HIP_vector_typeIfLj2EEffffjfiS5_IjLj3EEiiiiiiiiiiiliiliiiiil, .Lfunc_end25-_ZL18flash_attn_ext_f16ILi128ELi128ELi64ELi1ELb1ELb0EEvPKcS1_S1_S1_S1_PKiPfP15HIP_vector_typeIfLj2EEffffjfiS5_IjLj3EEiiiiiiiiiiiliiliiiiil
                                        ; -- End function
	.section	.AMDGPU.csdata,"",@progbits
; Kernel info:
; codeLenInByte = 107176
; NumSgprs: 104
; NumVgprs: 256
; NumAgprs: 0
; TotalNumVgprs: 256
; ScratchSize: 192
; MemoryBound: 0
; FloatMode: 240
; IeeeMode: 1
; LDSByteSize: 0 bytes/workgroup (compile time only)
; SGPRBlocks: 12
; VGPRBlocks: 31
; NumSGPRsForWavesPerEU: 104
; NumVGPRsForWavesPerEU: 256
; AccumOffset: 256
; Occupancy: 2
; WaveLimiterHint : 0
; COMPUTE_PGM_RSRC2:SCRATCH_EN: 1
; COMPUTE_PGM_RSRC2:USER_SGPR: 8
; COMPUTE_PGM_RSRC2:TRAP_HANDLER: 0
; COMPUTE_PGM_RSRC2:TGID_X_EN: 1
; COMPUTE_PGM_RSRC2:TGID_Y_EN: 0
; COMPUTE_PGM_RSRC2:TGID_Z_EN: 0
; COMPUTE_PGM_RSRC2:TIDIG_COMP_CNT: 1
; COMPUTE_PGM_RSRC3_GFX90A:ACCUM_OFFSET: 63
; COMPUTE_PGM_RSRC3_GFX90A:TG_SPLIT: 0
	.section	.text._ZL33flash_attn_stream_k_fixup_uniformILi128ELi64ELi1EEvPfPK15HIP_vector_typeIfLj2EEiiiiiiS1_IjLj3EES5_S5_,"axG",@progbits,_ZL33flash_attn_stream_k_fixup_uniformILi128ELi64ELi1EEvPfPK15HIP_vector_typeIfLj2EEiiiiiiS1_IjLj3EES5_S5_,comdat
	.globl	_ZL33flash_attn_stream_k_fixup_uniformILi128ELi64ELi1EEvPfPK15HIP_vector_typeIfLj2EEiiiiiiS1_IjLj3EES5_S5_ ; -- Begin function _ZL33flash_attn_stream_k_fixup_uniformILi128ELi64ELi1EEvPfPK15HIP_vector_typeIfLj2EEiiiiiiS1_IjLj3EES5_S5_
	.p2align	8
	.type	_ZL33flash_attn_stream_k_fixup_uniformILi128ELi64ELi1EEvPfPK15HIP_vector_typeIfLj2EEiiiiiiS1_IjLj3EES5_S5_,@function
_ZL33flash_attn_stream_k_fixup_uniformILi128ELi64ELi1EEvPfPK15HIP_vector_typeIfLj2EEiiiiiiS1_IjLj3EES5_S5_: ; @_ZL33flash_attn_stream_k_fixup_uniformILi128ELi64ELi1EEvPfPK15HIP_vector_typeIfLj2EEiiiiiiS1_IjLj3EES5_S5_
; %bb.0:
	s_load_dwordx8 s[12:19], s[4:5], 0x1c
	s_load_dwordx2 s[10:11], s[4:5], 0x10
	s_load_dwordx4 s[0:3], s[4:5], 0x3c
	s_waitcnt lgkmcnt(0)
	s_mul_hi_u32 s9, s15, s6
	s_add_i32 s9, s6, s9
	s_lshr_b32 s9, s9, s16
	s_mul_i32 s15, s9, s17
	s_sub_i32 s15, s6, s15
	s_mul_hi_u32 s16, s15, s18
	s_add_i32 s16, s15, s16
	s_lshr_b32 s16, s16, s19
	s_mul_i32 s0, s16, s0
	s_sub_i32 s0, s15, s0
	;; [unrolled: 5-line block ×3, first 2 shown]
	s_lshl_b32 s0, s17, 6
	s_add_i32 s0, s0, s7
	s_cmp_lt_i32 s0, s10
	s_cselect_b64 s[0:1], -1, 0
	s_add_i32 s2, s15, s8
	s_cmp_lt_i32 s2, s13
	s_cselect_b64 s[2:3], -1, 0
	s_and_b64 s[0:1], s[0:1], s[2:3]
	s_andn2_b64 vcc, exec, s[0:1]
	s_cbranch_vccnz .LBB26_6
; %bb.1:
	s_load_dwordx4 s[0:3], s[4:5], 0x0
	s_mul_i32 s4, s9, s10
	s_add_i32 s4, s4, s7
	s_mul_i32 s4, s4, s11
	s_mul_i32 s16, s16, s13
	s_add_i32 s4, s4, s8
	s_add_i32 s4, s4, s16
	s_mul_i32 s5, s11, s17
	s_add_i32 s4, s4, s15
	s_lshl_b32 s5, s5, 13
	s_lshl_b32 s4, s4, 7
	s_add_i32 s5, s5, s4
	v_or_b32_e32 v2, s5, v0
	v_ashrrev_i32_e32 v3, 31, v2
	v_lshlrev_b64 v[2:3], 2, v[2:3]
	s_waitcnt lgkmcnt(0)
	v_mov_b32_e32 v1, s1
	v_add_co_u32_e32 v2, vcc, s0, v2
	v_addc_co_u32_e32 v3, vcc, v1, v3, vcc
	global_load_dword v8, v[2:3], off
	s_add_i32 s4, s7, s8
	s_mul_i32 s7, s6, s14
	s_add_i32 s5, s7, s14
	s_lshl_b32 s0, s5, 6
	s_add_i32 s0, s4, s0
	s_sub_i32 s0, s0, 64
	s_ashr_i32 s1, s0, 31
	s_lshl_b64 s[0:1], s[0:1], 3
	s_add_u32 s0, s2, s0
	s_addc_u32 s1, s3, s1
	s_load_dword s10, s[0:1], 0x4
	s_add_i32 s8, s5, -2
	s_cmp_lt_i32 s8, s7
	s_cbranch_scc1 .LBB26_4
; %bb.2:
	s_lshl_b32 s8, s12, 8
	s_ashr_i32 s9, s8, 31
	s_lshl_b64 s[8:9], s[8:9], 2
	s_add_u32 s8, s2, s8
	s_addc_u32 s11, s3, s9
	s_add_i32 s6, s6, 1
	s_add_i32 s9, s5, -1
	s_mul_i32 s5, s14, s6
	s_load_dword s0, s[0:1], 0x0
	s_lshl_b32 s1, s4, 7
	s_lshl_b32 s6, s5, 13
	s_add_i32 s1, s1, s6
	v_or_b32_e32 v0, s1, v0
	s_lshl_b32 s1, s5, 6
	s_add_i32 s1, s4, s1
	s_lshl_b32 s4, s12, 6
	s_add_i32 s1, s1, s4
	v_add_u32_e32 v0, 0xffffc000, v0
	s_add_i32 s4, s1, 0xffffff80
	s_waitcnt lgkmcnt(0)
	v_mov_b32_e32 v7, s10
	v_mov_b32_e32 v6, s0
	;; [unrolled: 1-line block ×3, first 2 shown]
	s_mov_b32 s6, 0x3fb8aa3b
	s_mov_b32 s10, 0xc2ce8ed0
	;; [unrolled: 1-line block ×3, first 2 shown]
	v_mov_b32_e32 v5, 0x7f800000
	s_mov_b32 s12, 0xc1a00000
.LBB26_3:                               ; =>This Inner Loop Header: Depth=1
	v_ashrrev_i32_e32 v1, 31, v0
	v_lshlrev_b64 v[10:11], 2, v[0:1]
	v_add_co_u32_e32 v10, vcc, s8, v10
	v_addc_co_u32_e32 v11, vcc, v4, v11, vcc
	global_load_dword v1, v[10:11], off
	s_ashr_i32 s5, s4, 31
	s_lshl_b64 s[0:1], s[4:5], 3
	s_add_u32 s0, s2, s0
	s_addc_u32 s1, s3, s1
	s_load_dwordx2 s[14:15], s[0:1], 0x0
	s_waitcnt vmcnt(1)
	v_mov_b32_e32 v9, v8
	v_max_f32_e32 v8, v6, v6
	v_mov_b32_e32 v10, v7
	s_add_i32 s9, s9, -1
	s_waitcnt lgkmcnt(0)
	v_max_f32_e64 v7, s14, s14
	v_max_f32_e32 v7, v8, v7
	v_sub_f32_e32 v11, s14, v7
	v_sub_f32_e32 v8, v6, v7
	v_mul_f32_e32 v12, 0x3fb8aa3b, v11
	v_mov_b32_e32 v6, v7
	v_mul_f32_e32 v7, 0x3fb8aa3b, v8
	v_fma_f32 v15, v11, s6, -v12
	v_rndne_f32_e32 v16, v12
	v_fma_f32 v13, v8, s6, -v7
	v_rndne_f32_e32 v14, v7
	v_fmac_f32_e32 v15, 0x32a5705f, v11
	v_sub_f32_e32 v12, v12, v16
	v_fmac_f32_e32 v13, 0x32a5705f, v8
	v_sub_f32_e32 v7, v7, v14
	v_add_f32_e32 v12, v12, v15
	v_cvt_i32_f32_e32 v16, v16
	v_add_f32_e32 v7, v7, v13
	v_exp_f32_e32 v12, v12
	v_cvt_i32_f32_e32 v14, v14
	v_exp_f32_e32 v7, v7
	v_cmp_ngt_f32_e32 vcc, s10, v11
	v_ldexp_f32 v12, v12, v16
	v_cmp_ngt_f32_e64 s[0:1], s10, v8
	v_ldexp_f32 v7, v7, v14
	v_cndmask_b32_e32 v12, 0, v12, vcc
	v_cmp_nlt_f32_e32 vcc, s11, v11
	v_cndmask_b32_e64 v7, 0, v7, s[0:1]
	v_cmp_nlt_f32_e64 s[0:1], s11, v8
	v_cndmask_b32_e32 v12, v5, v12, vcc
	v_cmp_le_f32_e32 vcc, s12, v11
	v_cndmask_b32_e64 v7, v5, v7, s[0:1]
	v_cmp_le_f32_e64 s[0:1], s12, v8
	v_cndmask_b32_e32 v8, 0, v12, vcc
	s_sub_i32 s4, s4, 64
	v_cndmask_b32_e64 v11, 0, v7, s[0:1]
	v_mul_f32_e32 v7, s15, v8
	v_add_u32_e32 v0, 0xffffe000, v0
	s_cmp_le_i32 s9, s7
	v_fmac_f32_e32 v7, v10, v11
	s_waitcnt vmcnt(0)
	v_mul_f32_e32 v8, v1, v8
	v_fmac_f32_e32 v8, v9, v11
	s_cbranch_scc0 .LBB26_3
	s_branch .LBB26_5
.LBB26_4:
	s_waitcnt lgkmcnt(0)
	v_mov_b32_e32 v7, s10
.LBB26_5:
	s_waitcnt vmcnt(0)
	v_div_scale_f32 v0, s[0:1], v7, v7, v8
	v_rcp_f32_e32 v1, v0
	v_div_scale_f32 v4, vcc, v8, v7, v8
	v_fma_f32 v5, -v0, v1, 1.0
	v_fmac_f32_e32 v1, v5, v1
	v_mul_f32_e32 v5, v4, v1
	v_fma_f32 v6, -v0, v5, v4
	v_fmac_f32_e32 v5, v6, v1
	v_fma_f32 v0, -v0, v5, v4
	v_div_fmas_f32 v0, v0, v1, v5
	v_div_fixup_f32 v0, v0, v7, v8
	global_store_dword v[2:3], v0, off
.LBB26_6:
	s_endpgm
	.section	.rodata,"a",@progbits
	.p2align	6, 0x0
	.amdhsa_kernel _ZL33flash_attn_stream_k_fixup_uniformILi128ELi64ELi1EEvPfPK15HIP_vector_typeIfLj2EEiiiiiiS1_IjLj3EES5_S5_
		.amdhsa_group_segment_fixed_size 0
		.amdhsa_private_segment_fixed_size 0
		.amdhsa_kernarg_size 76
		.amdhsa_user_sgpr_count 6
		.amdhsa_user_sgpr_private_segment_buffer 1
		.amdhsa_user_sgpr_dispatch_ptr 0
		.amdhsa_user_sgpr_queue_ptr 0
		.amdhsa_user_sgpr_kernarg_segment_ptr 1
		.amdhsa_user_sgpr_dispatch_id 0
		.amdhsa_user_sgpr_flat_scratch_init 0
		.amdhsa_user_sgpr_kernarg_preload_length 0
		.amdhsa_user_sgpr_kernarg_preload_offset 0
		.amdhsa_user_sgpr_private_segment_size 0
		.amdhsa_uses_dynamic_stack 0
		.amdhsa_system_sgpr_private_segment_wavefront_offset 0
		.amdhsa_system_sgpr_workgroup_id_x 1
		.amdhsa_system_sgpr_workgroup_id_y 1
		.amdhsa_system_sgpr_workgroup_id_z 1
		.amdhsa_system_sgpr_workgroup_info 0
		.amdhsa_system_vgpr_workitem_id 0
		.amdhsa_next_free_vgpr 17
		.amdhsa_next_free_sgpr 20
		.amdhsa_accum_offset 20
		.amdhsa_reserve_vcc 1
		.amdhsa_reserve_flat_scratch 0
		.amdhsa_float_round_mode_32 0
		.amdhsa_float_round_mode_16_64 0
		.amdhsa_float_denorm_mode_32 3
		.amdhsa_float_denorm_mode_16_64 3
		.amdhsa_dx10_clamp 1
		.amdhsa_ieee_mode 1
		.amdhsa_fp16_overflow 0
		.amdhsa_tg_split 0
		.amdhsa_exception_fp_ieee_invalid_op 0
		.amdhsa_exception_fp_denorm_src 0
		.amdhsa_exception_fp_ieee_div_zero 0
		.amdhsa_exception_fp_ieee_overflow 0
		.amdhsa_exception_fp_ieee_underflow 0
		.amdhsa_exception_fp_ieee_inexact 0
		.amdhsa_exception_int_div_zero 0
	.end_amdhsa_kernel
	.section	.text._ZL33flash_attn_stream_k_fixup_uniformILi128ELi64ELi1EEvPfPK15HIP_vector_typeIfLj2EEiiiiiiS1_IjLj3EES5_S5_,"axG",@progbits,_ZL33flash_attn_stream_k_fixup_uniformILi128ELi64ELi1EEvPfPK15HIP_vector_typeIfLj2EEiiiiiiS1_IjLj3EES5_S5_,comdat
.Lfunc_end26:
	.size	_ZL33flash_attn_stream_k_fixup_uniformILi128ELi64ELi1EEvPfPK15HIP_vector_typeIfLj2EEiiiiiiS1_IjLj3EES5_S5_, .Lfunc_end26-_ZL33flash_attn_stream_k_fixup_uniformILi128ELi64ELi1EEvPfPK15HIP_vector_typeIfLj2EEiiiiiiS1_IjLj3EES5_S5_
                                        ; -- End function
	.section	.AMDGPU.csdata,"",@progbits
; Kernel info:
; codeLenInByte = 840
; NumSgprs: 24
; NumVgprs: 17
; NumAgprs: 0
; TotalNumVgprs: 17
; ScratchSize: 0
; MemoryBound: 0
; FloatMode: 240
; IeeeMode: 1
; LDSByteSize: 0 bytes/workgroup (compile time only)
; SGPRBlocks: 2
; VGPRBlocks: 2
; NumSGPRsForWavesPerEU: 24
; NumVGPRsForWavesPerEU: 17
; AccumOffset: 20
; Occupancy: 8
; WaveLimiterHint : 0
; COMPUTE_PGM_RSRC2:SCRATCH_EN: 0
; COMPUTE_PGM_RSRC2:USER_SGPR: 6
; COMPUTE_PGM_RSRC2:TRAP_HANDLER: 0
; COMPUTE_PGM_RSRC2:TGID_X_EN: 1
; COMPUTE_PGM_RSRC2:TGID_Y_EN: 1
; COMPUTE_PGM_RSRC2:TGID_Z_EN: 1
; COMPUTE_PGM_RSRC2:TIDIG_COMP_CNT: 0
; COMPUTE_PGM_RSRC3_GFX90A:ACCUM_OFFSET: 4
; COMPUTE_PGM_RSRC3_GFX90A:TG_SPLIT: 0
	.section	.text._ZL33flash_attn_stream_k_fixup_generalILi128ELi64ELi1EEvPfPK15HIP_vector_typeIfLj2EEiiiiS1_IjLj3EES5_S5_S5_,"axG",@progbits,_ZL33flash_attn_stream_k_fixup_generalILi128ELi64ELi1EEvPfPK15HIP_vector_typeIfLj2EEiiiiS1_IjLj3EES5_S5_S5_,comdat
	.globl	_ZL33flash_attn_stream_k_fixup_generalILi128ELi64ELi1EEvPfPK15HIP_vector_typeIfLj2EEiiiiS1_IjLj3EES5_S5_S5_ ; -- Begin function _ZL33flash_attn_stream_k_fixup_generalILi128ELi64ELi1EEvPfPK15HIP_vector_typeIfLj2EEiiiiS1_IjLj3EES5_S5_S5_
	.p2align	8
	.type	_ZL33flash_attn_stream_k_fixup_generalILi128ELi64ELi1EEvPfPK15HIP_vector_typeIfLj2EEiiiiS1_IjLj3EES5_S5_S5_,@function
_ZL33flash_attn_stream_k_fixup_generalILi128ELi64ELi1EEvPfPK15HIP_vector_typeIfLj2EEiiiiS1_IjLj3EES5_S5_S5_: ; @_ZL33flash_attn_stream_k_fixup_generalILi128ELi64ELi1EEvPfPK15HIP_vector_typeIfLj2EEiiiiS1_IjLj3EES5_S5_S5_
; %bb.0:
	s_load_dwordx4 s[12:15], s[4:5], 0x10
	s_load_dword s9, s[4:5], 0x50
	s_mov_b32 s2, 0
	s_waitcnt lgkmcnt(0)
	s_mul_hi_i32 s3, s15, s6
	s_cmp_lg_u64 s[2:3], 0
	s_mul_i32 s2, s15, s6
	s_cbranch_scc0 .LBB27_21
; %bb.1:
	v_cvt_f32_u32_e32 v1, s9
	v_cvt_f32_ubyte0_e32 v2, 0
	s_sub_u32 s10, 0, s9
	s_subb_u32 s11, 0, 0
	v_madmk_f32 v1, v2, 0x4f800000, v1
	v_rcp_f32_e32 v1, v1
	v_mul_f32_e32 v1, 0x5f7ffffc, v1
	v_mul_f32_e32 v2, 0x2f800000, v1
	v_trunc_f32_e32 v2, v2
	v_madmk_f32 v1, v2, 0xcf800000, v1
	v_cvt_u32_f32_e32 v2, v2
	v_cvt_u32_f32_e32 v1, v1
	v_readfirstlane_b32 s16, v2
	v_readfirstlane_b32 s17, v1
	s_mul_i32 s18, s10, s16
	s_mul_hi_u32 s20, s10, s17
	s_mul_i32 s19, s11, s17
	s_add_i32 s18, s20, s18
	s_add_i32 s18, s18, s19
	s_mul_i32 s21, s10, s17
	s_mul_hi_u32 s19, s17, s18
	s_mul_i32 s20, s17, s18
	s_mul_hi_u32 s17, s17, s21
	s_add_u32 s17, s17, s20
	s_addc_u32 s19, 0, s19
	s_mul_hi_u32 s22, s16, s21
	s_mul_i32 s21, s16, s21
	s_add_u32 s17, s17, s21
	s_mul_hi_u32 s20, s16, s18
	s_addc_u32 s17, s19, s22
	s_addc_u32 s19, s20, 0
	s_mul_i32 s18, s16, s18
	s_add_u32 s17, s17, s18
	s_addc_u32 s18, 0, s19
	v_add_co_u32_e32 v1, vcc, s17, v1
	s_cmp_lg_u64 vcc, 0
	s_addc_u32 s16, s16, s18
	v_readfirstlane_b32 s18, v1
	s_mul_i32 s17, s10, s16
	s_mul_hi_u32 s19, s10, s18
	s_add_i32 s17, s19, s17
	s_mul_i32 s11, s11, s18
	s_add_i32 s17, s17, s11
	s_mul_i32 s10, s10, s18
	s_mul_hi_u32 s19, s16, s10
	s_mul_i32 s20, s16, s10
	s_mul_i32 s22, s18, s17
	s_mul_hi_u32 s10, s18, s10
	s_mul_hi_u32 s21, s18, s17
	s_add_u32 s10, s10, s22
	s_addc_u32 s18, 0, s21
	s_add_u32 s10, s10, s20
	s_mul_hi_u32 s11, s16, s17
	s_addc_u32 s10, s18, s19
	s_addc_u32 s11, s11, 0
	s_mul_i32 s17, s16, s17
	s_add_u32 s10, s10, s17
	s_addc_u32 s11, 0, s11
	v_add_co_u32_e32 v1, vcc, s10, v1
	s_cmp_lg_u64 vcc, 0
	s_addc_u32 s18, s16, s11
	s_ashr_i32 s10, s3, 31
	s_add_u32 s16, s2, s10
	s_mov_b32 s11, s10
	s_addc_u32 s17, s3, s10
	s_xor_b64 s[16:17], s[16:17], s[10:11]
	v_readfirstlane_b32 s20, v1
	s_mul_i32 s19, s16, s18
	s_mul_hi_u32 s21, s16, s20
	s_mul_hi_u32 s3, s16, s18
	s_add_u32 s19, s21, s19
	s_addc_u32 s3, 0, s3
	s_mul_hi_u32 s22, s17, s20
	s_mul_i32 s20, s17, s20
	s_add_u32 s19, s19, s20
	s_mul_hi_u32 s21, s17, s18
	s_addc_u32 s3, s3, s22
	s_addc_u32 s19, s21, 0
	s_mul_i32 s18, s17, s18
	s_add_u32 s3, s3, s18
	s_addc_u32 s18, 0, s19
	s_add_u32 s19, s3, 1
	s_addc_u32 s20, s18, 0
	s_add_u32 s21, s3, 2
	s_mul_i32 s23, s9, s18
	s_mul_hi_u32 s24, s9, s3
	s_addc_u32 s22, s18, 0
	s_add_i32 s24, s24, s23
	s_mul_i32 s23, s9, s3
	v_mov_b32_e32 v1, s23
	v_sub_co_u32_e32 v1, vcc, s16, v1
	s_cmp_lg_u64 vcc, 0
	s_subb_u32 s16, s17, s24
	v_subrev_co_u32_e32 v2, vcc, s9, v1
	s_cmp_lg_u64 vcc, 0
	s_subb_u32 s17, s16, 0
	v_readfirstlane_b32 s23, v2
	s_cmp_ge_u32 s23, s9
	s_cselect_b32 s23, -1, 0
	s_cmp_eq_u32 s17, 0
	s_cselect_b32 s17, s23, -1
	s_cmp_lg_u32 s17, 0
	s_cselect_b32 s17, s22, s20
	v_readfirstlane_b32 s20, v1
	s_cselect_b32 s19, s21, s19
	s_cmp_ge_u32 s20, s9
	s_cselect_b32 s20, -1, 0
	s_cmp_eq_u32 s16, 0
	s_cselect_b32 s16, s20, -1
	s_cmp_lg_u32 s16, 0
	s_cselect_b32 s17, s17, s18
	s_cselect_b32 s16, s19, s3
	s_xor_b64 s[16:17], s[16:17], s[10:11]
	s_sub_u32 s20, s16, s10
	s_load_dwordx4 s[16:19], s[4:5], 0x44
	s_cbranch_execnz .LBB27_3
.LBB27_2:
	v_cvt_f32_u32_e32 v1, s9
	s_sub_i32 s0, 0, s9
	v_rcp_iflag_f32_e32 v1, v1
	v_mul_f32_e32 v1, 0x4f7ffffe, v1
	v_cvt_u32_f32_e32 v1, v1
	v_readfirstlane_b32 s1, v1
	s_mul_i32 s0, s0, s1
	s_mul_hi_u32 s0, s1, s0
	s_add_i32 s1, s1, s0
	s_mul_hi_u32 s0, s2, s1
	s_mul_i32 s3, s0, s9
	s_sub_i32 s2, s2, s3
	s_add_i32 s1, s0, 1
	s_sub_i32 s3, s2, s9
	s_cmp_ge_u32 s2, s9
	s_cselect_b32 s0, s1, s0
	s_cselect_b32 s2, s3, s2
	s_add_i32 s1, s0, 1
	s_cmp_ge_u32 s2, s9
	s_cselect_b32 s20, s1, s0
.LBB27_3:
	s_add_i32 s0, s6, 1
	s_mul_hi_i32 s3, s15, s0
	s_mov_b32 s2, 0
	s_cmp_lg_u64 s[2:3], 0
	s_mul_i32 s2, s15, s0
	s_cbranch_scc0 .LBB27_22
; %bb.4:
	v_cvt_f32_u32_e32 v1, s9
	v_cvt_f32_ubyte0_e32 v2, 0
	s_sub_u32 s10, 0, s9
	s_subb_u32 s11, 0, 0
	v_madmk_f32 v1, v2, 0x4f800000, v1
	v_rcp_f32_e32 v1, v1
	v_mul_f32_e32 v1, 0x5f7ffffc, v1
	v_mul_f32_e32 v2, 0x2f800000, v1
	v_trunc_f32_e32 v2, v2
	v_madmk_f32 v1, v2, 0xcf800000, v1
	v_cvt_u32_f32_e32 v2, v2
	v_cvt_u32_f32_e32 v1, v1
	s_waitcnt lgkmcnt(0)
	v_readfirstlane_b32 s19, v2
	v_readfirstlane_b32 s21, v1
	s_mul_i32 s22, s10, s19
	s_mul_hi_u32 s24, s10, s21
	s_mul_i32 s23, s11, s21
	s_add_i32 s22, s24, s22
	s_add_i32 s22, s22, s23
	s_mul_i32 s25, s10, s21
	s_mul_hi_u32 s23, s21, s22
	s_mul_i32 s24, s21, s22
	s_mul_hi_u32 s21, s21, s25
	s_add_u32 s21, s21, s24
	s_addc_u32 s23, 0, s23
	s_mul_hi_u32 s26, s19, s25
	s_mul_i32 s25, s19, s25
	s_add_u32 s21, s21, s25
	s_mul_hi_u32 s24, s19, s22
	s_addc_u32 s21, s23, s26
	s_addc_u32 s23, s24, 0
	s_mul_i32 s22, s19, s22
	s_add_u32 s21, s21, s22
	s_addc_u32 s22, 0, s23
	v_add_co_u32_e32 v1, vcc, s21, v1
	s_cmp_lg_u64 vcc, 0
	s_addc_u32 s19, s19, s22
	v_readfirstlane_b32 s22, v1
	s_mul_i32 s21, s10, s19
	s_mul_hi_u32 s23, s10, s22
	s_add_i32 s21, s23, s21
	s_mul_i32 s11, s11, s22
	s_add_i32 s21, s21, s11
	s_mul_i32 s10, s10, s22
	s_mul_hi_u32 s23, s19, s10
	s_mul_i32 s24, s19, s10
	s_mul_i32 s26, s22, s21
	s_mul_hi_u32 s10, s22, s10
	s_mul_hi_u32 s25, s22, s21
	s_add_u32 s10, s10, s26
	s_addc_u32 s22, 0, s25
	s_add_u32 s10, s10, s24
	s_mul_hi_u32 s11, s19, s21
	s_addc_u32 s10, s22, s23
	s_addc_u32 s11, s11, 0
	s_mul_i32 s21, s19, s21
	s_add_u32 s10, s10, s21
	s_addc_u32 s11, 0, s11
	v_add_co_u32_e32 v1, vcc, s10, v1
	s_cmp_lg_u64 vcc, 0
	s_addc_u32 s19, s19, s11
	s_ashr_i32 s10, s3, 31
	s_add_u32 s22, s2, s10
	s_mov_b32 s11, s10
	s_addc_u32 s23, s3, s10
	s_xor_b64 s[22:23], s[22:23], s[10:11]
	v_readfirstlane_b32 s21, v1
	s_mul_i32 s11, s22, s19
	s_mul_hi_u32 s24, s22, s21
	s_mul_hi_u32 s3, s22, s19
	s_add_u32 s11, s24, s11
	s_addc_u32 s3, 0, s3
	s_mul_hi_u32 s25, s23, s21
	s_mul_i32 s21, s23, s21
	s_add_u32 s11, s11, s21
	s_mul_hi_u32 s24, s23, s19
	s_addc_u32 s3, s3, s25
	s_addc_u32 s11, s24, 0
	s_mul_i32 s19, s23, s19
	s_add_u32 s3, s3, s19
	s_addc_u32 s11, 0, s11
	s_mul_i32 s11, s9, s11
	s_mul_hi_u32 s24, s9, s3
	s_add_i32 s24, s24, s11
	s_mul_i32 s11, s9, s3
	v_mov_b32_e32 v1, s11
	s_add_u32 s19, s3, 1
	s_add_u32 s21, s3, 2
	v_sub_co_u32_e32 v1, vcc, s22, v1
	s_cmp_lg_u64 vcc, 0
	s_subb_u32 s11, s23, s24
	v_subrev_co_u32_e32 v2, vcc, s9, v1
	s_cmp_lg_u64 vcc, 0
	s_subb_u32 s22, s11, 0
	v_cmp_le_u32_e32 vcc, s9, v2
	s_cmp_eq_u32 s22, 0
	v_cndmask_b32_e64 v2, 0, -1, vcc
	s_cselect_b64 vcc, -1, 0
	v_cndmask_b32_e32 v2, -1, v2, vcc
	v_mov_b32_e32 v3, s19
	v_mov_b32_e32 v4, s21
	v_cmp_ne_u32_e32 vcc, 0, v2
	v_cndmask_b32_e32 v2, v3, v4, vcc
	v_cmp_le_u32_e32 vcc, s9, v1
	s_cmp_eq_u32 s11, 0
	v_cndmask_b32_e64 v1, 0, -1, vcc
	s_cselect_b64 vcc, -1, 0
	v_cndmask_b32_e32 v1, -1, v1, vcc
	v_mov_b32_e32 v3, s3
	v_cmp_ne_u32_e32 vcc, 0, v1
	v_cndmask_b32_e32 v1, v3, v2, vcc
	v_xor_b32_e32 v1, s10, v1
	v_subrev_co_u32_e32 v2, vcc, s10, v1
	s_cbranch_execnz .LBB27_6
.LBB27_5:
	v_cvt_f32_u32_e32 v1, s9
	s_sub_i32 s0, 0, s9
	s_mov_b32 s1, 0
	v_rcp_iflag_f32_e32 v1, v1
	v_mul_f32_e32 v1, 0x4f7ffffe, v1
	v_cvt_u32_f32_e32 v1, v1
	v_readfirstlane_b32 s3, v1
	s_mul_i32 s0, s0, s3
	s_mul_hi_u32 s0, s3, s0
	s_add_i32 s3, s3, s0
	s_mul_hi_u32 s0, s2, s3
	s_mul_i32 s10, s0, s9
	s_sub_i32 s2, s2, s10
	s_add_i32 s3, s0, 1
	s_sub_i32 s10, s2, s9
	s_cmp_ge_u32 s2, s9
	s_cselect_b32 s0, s3, s0
	s_cselect_b32 s2, s10, s2
	s_add_i32 s3, s0, 1
	s_cmp_ge_u32 s2, s9
	s_cselect_b32 s0, s3, s0
	v_pk_mov_b32 v[2:3], s[0:1], s[0:1] op_sel:[0,1]
.LBB27_6:
	s_waitcnt lgkmcnt(0)
	s_mul_hi_u32 s0, s20, s16
	s_add_i32 s0, s0, s20
	v_mul_hi_u32 v1, v2, s16
	s_lshr_b32 s19, s0, s17
	v_add_u32_e32 v1, v1, v2
	s_mul_i32 s0, s19, s18
	v_lshrrev_b32_e32 v1, s17, v1
	s_cmp_eq_u32 s0, s20
	v_cmp_eq_u32_e64 s[0:1], s19, v1
	v_mul_lo_u32 v1, v1, s18
	v_cmp_eq_u32_e32 vcc, s20, v2
	s_cselect_b64 s[10:11], -1, 0
	v_cmp_ne_u32_e64 s[2:3], v1, v2
	s_and_b64 s[0:1], s[0:1], s[2:3]
	s_or_b64 s[2:3], vcc, s[10:11]
	s_or_b64 s[0:1], s[2:3], s[0:1]
	s_and_b64 vcc, exec, s[0:1]
	s_cbranch_vccnz .LBB27_24
; %bb.7:
	s_load_dwordx8 s[24:31], s[4:5], 0x20
	s_load_dword s0, s[4:5], 0x40
	s_mov_b32 s10, 0
	s_waitcnt lgkmcnt(0)
	s_mul_hi_u32 s1, s20, s24
	s_add_i32 s1, s1, s20
	s_lshr_b32 s11, s1, s25
	s_mul_i32 s1, s11, s26
	s_sub_i32 s1, s20, s1
	s_mul_hi_u32 s2, s1, s27
	s_add_i32 s2, s1, s2
	s_lshr_b32 s25, s2, s28
	s_mul_i32 s2, s25, s29
	s_sub_i32 s1, s1, s2
	;; [unrolled: 5-line block ×3, first 2 shown]
	s_mul_hi_u32 s1, s0, s16
	s_add_i32 s0, s0, s1
	s_lshr_b32 s26, s0, s17
	s_lshl_b32 s0, s26, 6
	s_add_i32 s0, s0, s7
	s_cmp_lt_i32 s0, s12
	s_cselect_b64 s[0:1], -1, 0
	s_add_i32 s2, s24, s8
	s_cmp_lt_i32 s2, s14
	s_cselect_b64 s[2:3], -1, 0
	s_and_b64 s[0:1], s[0:1], s[2:3]
	s_andn2_b64 vcc, exec, s[0:1]
	s_cbranch_vccnz .LBB27_24
; %bb.8:
	s_load_dwordx4 s[0:3], s[4:5], 0x0
	s_lshl_b32 s4, s9, 8
	s_mov_b32 s5, s10
	s_add_i32 s21, s7, s8
	s_lshl_b64 s[4:5], s[4:5], 2
	s_waitcnt lgkmcnt(0)
	s_add_u32 s22, s2, s4
	s_mul_i32 s4, s11, s12
	s_addc_u32 s23, s3, s5
	s_add_i32 s4, s4, s7
	s_mul_i32 s4, s4, s13
	s_mul_i32 s25, s25, s14
	s_add_i32 s4, s4, s8
	s_add_i32 s4, s4, s25
	s_mul_i32 s5, s13, s26
	s_add_i32 s4, s4, s24
	s_lshl_b32 s5, s5, 13
	s_lshl_b32 s4, s4, 7
	s_add_i32 s5, s5, s4
	v_or_b32_e32 v2, s5, v0
	v_ashrrev_i32_e32 v3, 31, v2
	v_lshlrev_b64 v[2:3], 2, v[2:3]
	v_mov_b32_e32 v1, s1
	v_add_co_u32_e32 v2, vcc, s0, v2
	v_addc_co_u32_e32 v3, vcc, v1, v3, vcc
	global_load_dword v5, v[2:3], off
	v_lshl_or_b32 v4, s21, 7, v0
	v_cvt_f32_u32_e32 v0, s9
	v_cvt_f32_ubyte0_e32 v1, 0
	s_lshl_b32 s0, s6, 6
	s_add_i32 s0, s0, s21
	v_mac_f32_e32 v0, 0x4f800000, v1
	v_rcp_f32_e32 v0, v0
	v_cvt_f32_u32_e32 v1, s9
	s_ashr_i32 s1, s0, 31
	s_lshl_b64 s[0:1], s[0:1], 3
	v_mul_f32_e32 v0, 0x5f7ffffc, v0
	v_rcp_iflag_f32_e32 v1, v1
	s_add_u32 s0, s2, s0
	v_mul_f32_e32 v9, 0x2f800000, v0
	s_addc_u32 s1, s3, s1
	v_trunc_f32_e32 v10, v9
	s_load_dwordx2 s[0:1], s[0:1], 0x0
	v_mac_f32_e32 v0, 0xcf800000, v10
	v_cvt_u32_f32_e32 v9, v0
	v_mul_f32_e32 v0, 0x4f7ffffe, v1
	v_cvt_u32_f32_e32 v10, v10
	v_cvt_u32_f32_e32 v11, v0
	s_add_i32 s8, s6, -1
	s_waitcnt lgkmcnt(0)
	v_mov_b32_e32 v6, s1
	v_mov_b32_e32 v7, s0
	;; [unrolled: 1-line block ×3, first 2 shown]
	s_mov_b32 s6, 0x3fb8aa3b
	s_mov_b32 s7, 0xc2ce8ed0
	;; [unrolled: 1-line block ×4, first 2 shown]
	v_mov_b32_e32 v12, 0x7f800000
	s_mul_hi_i32 s11, s8, s15
	s_cmp_lg_u64 s[10:11], 0
	s_mul_i32 s4, s8, s15
	s_cbranch_scc0 .LBB27_15
.LBB27_9:
	s_sub_u32 s0, 0, s9
	v_readfirstlane_b32 s5, v9
	v_readfirstlane_b32 s24, v10
	s_subb_u32 s1, 0, 0
	s_mul_hi_u32 s20, s0, s5
	s_mul_i32 s25, s0, s24
	s_mul_i32 s14, s1, s5
	s_add_i32 s20, s20, s25
	s_add_i32 s20, s20, s14
	s_mul_i32 s26, s0, s5
	s_mul_hi_u32 s14, s5, s20
	s_mul_i32 s25, s5, s20
	s_mul_hi_u32 s5, s5, s26
	s_add_u32 s5, s5, s25
	s_addc_u32 s14, 0, s14
	s_mul_hi_u32 s27, s24, s26
	s_mul_i32 s26, s24, s26
	s_add_u32 s5, s5, s26
	s_mul_hi_u32 s25, s24, s20
	s_addc_u32 s5, s14, s27
	s_addc_u32 s14, s25, 0
	s_mul_i32 s20, s24, s20
	s_add_u32 s5, s5, s20
	s_addc_u32 s14, 0, s14
	v_add_co_u32_e32 v0, vcc, s5, v9
	s_cmp_lg_u64 vcc, 0
	s_addc_u32 s5, s24, s14
	v_readfirstlane_b32 s20, v0
	s_mul_i32 s14, s0, s5
	s_mul_hi_u32 s24, s0, s20
	s_add_i32 s14, s24, s14
	s_mul_i32 s1, s1, s20
	s_add_i32 s14, s14, s1
	s_mul_i32 s0, s0, s20
	s_mul_hi_u32 s24, s5, s0
	s_mul_i32 s25, s5, s0
	s_mul_i32 s27, s20, s14
	s_mul_hi_u32 s0, s20, s0
	s_mul_hi_u32 s26, s20, s14
	s_add_u32 s0, s0, s27
	s_addc_u32 s20, 0, s26
	s_add_u32 s0, s0, s25
	s_mul_hi_u32 s1, s5, s14
	s_addc_u32 s0, s20, s24
	s_addc_u32 s1, s1, 0
	s_mul_i32 s14, s5, s14
	s_add_u32 s0, s0, s14
	s_addc_u32 s1, 0, s1
	v_add_co_u32_e32 v0, vcc, s0, v0
	s_cmp_lg_u64 vcc, 0
	s_addc_u32 s5, s5, s1
	s_ashr_i32 s0, s11, 31
	s_add_u32 s24, s4, s0
	s_mov_b32 s1, s0
	s_addc_u32 s25, s11, s0
	s_xor_b64 s[24:25], s[24:25], s[0:1]
	v_readfirstlane_b32 s14, v0
	s_mul_i32 s11, s24, s5
	s_mul_hi_u32 s20, s24, s14
	s_mul_hi_u32 s1, s24, s5
	s_add_u32 s11, s20, s11
	s_addc_u32 s1, 0, s1
	s_mul_hi_u32 s26, s25, s14
	s_mul_i32 s14, s25, s14
	s_add_u32 s11, s11, s14
	s_mul_hi_u32 s20, s25, s5
	s_addc_u32 s1, s1, s26
	s_addc_u32 s11, s20, 0
	s_mul_i32 s5, s25, s5
	s_add_u32 s1, s1, s5
	s_addc_u32 s5, 0, s11
	s_mul_i32 s5, s9, s5
	s_mul_hi_u32 s20, s9, s1
	s_add_i32 s20, s20, s5
	s_mul_i32 s5, s9, s1
	v_mov_b32_e32 v0, s5
	s_add_u32 s11, s1, 1
	s_add_u32 s14, s1, 2
	v_sub_co_u32_e32 v0, vcc, s24, v0
	s_cmp_lg_u64 vcc, 0
	s_subb_u32 s5, s25, s20
	v_subrev_co_u32_e32 v1, vcc, s9, v0
	s_cmp_lg_u64 vcc, 0
	s_subb_u32 s20, s5, 0
	v_cmp_le_u32_e32 vcc, s9, v1
	s_cmp_eq_u32 s20, 0
	v_cndmask_b32_e64 v1, 0, -1, vcc
	s_cselect_b64 vcc, -1, 0
	v_cndmask_b32_e32 v1, -1, v1, vcc
	v_mov_b32_e32 v13, s11
	v_mov_b32_e32 v14, s14
	v_cmp_ne_u32_e32 vcc, 0, v1
	v_cndmask_b32_e32 v1, v13, v14, vcc
	v_cmp_le_u32_e32 vcc, s9, v0
	s_cmp_eq_u32 s5, 0
	v_cndmask_b32_e64 v0, 0, -1, vcc
	s_cselect_b64 vcc, -1, 0
	v_cndmask_b32_e32 v0, -1, v0, vcc
	v_mov_b32_e32 v13, s1
	v_cmp_ne_u32_e32 vcc, 0, v0
	v_cndmask_b32_e32 v0, v13, v1, vcc
	v_xor_b32_e32 v0, s0, v0
	v_subrev_co_u32_e32 v0, vcc, s0, v0
	s_cbranch_execnz .LBB27_11
.LBB27_10:
	s_sub_i32 s0, 0, s9
	v_mul_lo_u32 v0, s0, v11
	v_mul_hi_u32 v0, v11, v0
	v_add_u32_e32 v0, v11, v0
	v_mul_hi_u32 v0, s4, v0
	v_mul_lo_u32 v13, v0, s9
	v_sub_u32_e32 v13, s4, v13
	v_add_u32_e32 v1, 1, v0
	v_subrev_u32_e32 v14, s9, v13
	v_cmp_le_u32_e32 vcc, s9, v13
	v_cndmask_b32_e32 v13, v13, v14, vcc
	v_cndmask_b32_e32 v0, v0, v1, vcc
	v_add_u32_e32 v1, 1, v0
	v_cmp_le_u32_e32 vcc, s9, v13
	v_cndmask_b32_e32 v0, v0, v1, vcc
.LBB27_11:
	v_cmp_ne_u32_e32 vcc, v8, v0
	s_cbranch_vccz .LBB27_14
; %bb.12:
	s_add_i32 s0, s8, s9
	s_lshl_b32 s0, s0, 6
	v_mul_hi_u32 v1, v0, s16
	s_add_i32 s0, s0, s21
	s_mov_b32 s1, s10
	v_add_u32_e32 v1, v1, v0
	s_lshl_b64 s[0:1], s[0:1], 3
	v_lshrrev_b32_e32 v1, s17, v1
	s_add_u32 s4, s2, s0
	v_mul_lo_u32 v13, v1, s18
	s_addc_u32 s5, s3, s1
	v_cmp_eq_u32_e32 vcc, v13, v0
	v_cmp_gt_u32_e64 s[0:1], s19, v1
	s_or_b64 s[0:1], s[0:1], vcc
	s_and_b64 vcc, exec, s[0:1]
	s_cbranch_vccnz .LBB27_16
; %bb.13:
	s_add_i32 s11, s8, -1
	s_mov_b64 s[0:1], 0
	s_branch .LBB27_17
.LBB27_14:
                                        ; implicit-def: $sgpr0_sgpr1
                                        ; implicit-def: $vgpr14
                                        ; implicit-def: $vgpr1
                                        ; implicit-def: $vgpr13
                                        ; implicit-def: $sgpr11
                                        ; implicit-def: $vgpr0
	s_branch .LBB27_18
.LBB27_15:
                                        ; implicit-def: $vgpr0_vgpr1
	s_branch .LBB27_10
.LBB27_16:
	s_mov_b64 s[0:1], -1
	s_mov_b32 s11, s8
	v_mov_b32_e32 v0, v8
.LBB27_17:
	v_lshl_add_u32 v14, s8, 13, v4
	v_ashrrev_i32_e32 v15, 31, v14
	v_lshlrev_b64 v[14:15], 2, v[14:15]
	v_mov_b32_e32 v1, s23
	v_add_co_u32_e32 v14, vcc, s22, v14
	v_addc_co_u32_e32 v15, vcc, v1, v15, vcc
	global_load_dword v14, v[14:15], off
	s_load_dwordx2 s[4:5], s[4:5], 0x0
	v_max_f32_e32 v1, v7, v7
	s_waitcnt lgkmcnt(0)
	v_max_f32_e64 v13, s4, s4
	v_max_f32_e32 v1, v1, v13
	v_sub_f32_e32 v13, v7, v1
	v_sub_f32_e32 v15, s4, v1
	v_mul_f32_e32 v16, 0x3fb8aa3b, v13
	v_mul_f32_e32 v17, 0x3fb8aa3b, v15
	v_fma_f32 v18, v13, s6, -v16
	v_rndne_f32_e32 v19, v16
	v_fma_f32 v20, v15, s6, -v17
	v_rndne_f32_e32 v21, v17
	v_fmac_f32_e32 v18, 0x32a5705f, v13
	v_sub_f32_e32 v16, v16, v19
	v_fmac_f32_e32 v20, 0x32a5705f, v15
	v_sub_f32_e32 v17, v17, v21
	v_add_f32_e32 v16, v16, v18
	v_cvt_i32_f32_e32 v19, v19
	v_add_f32_e32 v17, v17, v20
	v_exp_f32_e32 v16, v16
	v_cvt_i32_f32_e32 v21, v21
	v_exp_f32_e32 v17, v17
	v_cmp_ngt_f32_e32 vcc, s7, v13
	v_ldexp_f32 v16, v16, v19
	v_cndmask_b32_e32 v16, 0, v16, vcc
	v_ldexp_f32 v17, v17, v21
	v_cmp_ngt_f32_e32 vcc, s7, v15
	v_cndmask_b32_e32 v17, 0, v17, vcc
	v_cmp_nlt_f32_e32 vcc, s12, v13
	v_cndmask_b32_e32 v16, v12, v16, vcc
	v_cmp_nlt_f32_e32 vcc, s12, v15
	v_cndmask_b32_e32 v17, v12, v17, vcc
	v_cmp_le_f32_e32 vcc, s13, v13
	v_cndmask_b32_e32 v16, 0, v16, vcc
	v_cmp_le_f32_e32 vcc, s13, v15
	v_cndmask_b32_e32 v15, 0, v17, vcc
	v_mul_f32_e32 v13, s5, v15
	v_fmac_f32_e32 v13, v6, v16
	s_waitcnt vmcnt(0)
	v_mul_f32_e32 v14, v14, v15
	v_fmac_f32_e32 v14, v5, v16
	s_cbranch_execnz .LBB27_19
.LBB27_18:
	s_add_i32 s11, s8, -1
	s_mov_b64 s[0:1], 0
	v_mov_b32_e32 v0, v8
	v_mov_b32_e32 v13, v6
	;; [unrolled: 1-line block ×3, first 2 shown]
	s_waitcnt vmcnt(0)
	v_mov_b32_e32 v14, v5
.LBB27_19:
	s_andn2_b64 vcc, exec, s[0:1]
	s_cbranch_vccz .LBB27_23
; %bb.20:
	v_mov_b32_e32 v8, v0
	s_mov_b32 s8, s11
	v_mov_b32_e32 v6, v13
	v_mov_b32_e32 v7, v1
	s_waitcnt vmcnt(0)
	v_mov_b32_e32 v5, v14
	s_mul_hi_i32 s11, s8, s15
	s_cmp_lg_u64 s[10:11], 0
	s_mul_i32 s4, s8, s15
	s_cbranch_scc1 .LBB27_9
	s_branch .LBB27_15
.LBB27_21:
                                        ; implicit-def: $sgpr20_sgpr21
	s_load_dwordx4 s[16:19], s[4:5], 0x44
	s_branch .LBB27_2
.LBB27_22:
                                        ; implicit-def: $vgpr2_vgpr3
	s_branch .LBB27_5
.LBB27_23:
	v_div_scale_f32 v0, s[0:1], v13, v13, v14
	v_rcp_f32_e32 v1, v0
	v_div_scale_f32 v4, vcc, v14, v13, v14
	s_waitcnt vmcnt(0)
	v_fma_f32 v5, -v0, v1, 1.0
	v_fmac_f32_e32 v1, v5, v1
	v_mul_f32_e32 v5, v4, v1
	v_fma_f32 v6, -v0, v5, v4
	v_fmac_f32_e32 v5, v6, v1
	v_fma_f32 v0, -v0, v5, v4
	v_div_fmas_f32 v0, v0, v1, v5
	v_div_fixup_f32 v0, v0, v13, v14
	global_store_dword v[2:3], v0, off
.LBB27_24:
	s_endpgm
	.section	.rodata,"a",@progbits
	.p2align	6, 0x0
	.amdhsa_kernel _ZL33flash_attn_stream_k_fixup_generalILi128ELi64ELi1EEvPfPK15HIP_vector_typeIfLj2EEiiiiS1_IjLj3EES5_S5_S5_
		.amdhsa_group_segment_fixed_size 0
		.amdhsa_private_segment_fixed_size 0
		.amdhsa_kernarg_size 336
		.amdhsa_user_sgpr_count 6
		.amdhsa_user_sgpr_private_segment_buffer 1
		.amdhsa_user_sgpr_dispatch_ptr 0
		.amdhsa_user_sgpr_queue_ptr 0
		.amdhsa_user_sgpr_kernarg_segment_ptr 1
		.amdhsa_user_sgpr_dispatch_id 0
		.amdhsa_user_sgpr_flat_scratch_init 0
		.amdhsa_user_sgpr_kernarg_preload_length 0
		.amdhsa_user_sgpr_kernarg_preload_offset 0
		.amdhsa_user_sgpr_private_segment_size 0
		.amdhsa_uses_dynamic_stack 0
		.amdhsa_system_sgpr_private_segment_wavefront_offset 0
		.amdhsa_system_sgpr_workgroup_id_x 1
		.amdhsa_system_sgpr_workgroup_id_y 1
		.amdhsa_system_sgpr_workgroup_id_z 1
		.amdhsa_system_sgpr_workgroup_info 0
		.amdhsa_system_vgpr_workitem_id 0
		.amdhsa_next_free_vgpr 22
		.amdhsa_next_free_sgpr 32
		.amdhsa_accum_offset 24
		.amdhsa_reserve_vcc 1
		.amdhsa_reserve_flat_scratch 0
		.amdhsa_float_round_mode_32 0
		.amdhsa_float_round_mode_16_64 0
		.amdhsa_float_denorm_mode_32 3
		.amdhsa_float_denorm_mode_16_64 3
		.amdhsa_dx10_clamp 1
		.amdhsa_ieee_mode 1
		.amdhsa_fp16_overflow 0
		.amdhsa_tg_split 0
		.amdhsa_exception_fp_ieee_invalid_op 0
		.amdhsa_exception_fp_denorm_src 0
		.amdhsa_exception_fp_ieee_div_zero 0
		.amdhsa_exception_fp_ieee_overflow 0
		.amdhsa_exception_fp_ieee_underflow 0
		.amdhsa_exception_fp_ieee_inexact 0
		.amdhsa_exception_int_div_zero 0
	.end_amdhsa_kernel
	.section	.text._ZL33flash_attn_stream_k_fixup_generalILi128ELi64ELi1EEvPfPK15HIP_vector_typeIfLj2EEiiiiS1_IjLj3EES5_S5_S5_,"axG",@progbits,_ZL33flash_attn_stream_k_fixup_generalILi128ELi64ELi1EEvPfPK15HIP_vector_typeIfLj2EEiiiiS1_IjLj3EES5_S5_S5_,comdat
.Lfunc_end27:
	.size	_ZL33flash_attn_stream_k_fixup_generalILi128ELi64ELi1EEvPfPK15HIP_vector_typeIfLj2EEiiiiS1_IjLj3EES5_S5_S5_, .Lfunc_end27-_ZL33flash_attn_stream_k_fixup_generalILi128ELi64ELi1EEvPfPK15HIP_vector_typeIfLj2EEiiiiS1_IjLj3EES5_S5_S5_
                                        ; -- End function
	.section	.AMDGPU.csdata,"",@progbits
; Kernel info:
; codeLenInByte = 2816
; NumSgprs: 36
; NumVgprs: 22
; NumAgprs: 0
; TotalNumVgprs: 22
; ScratchSize: 0
; MemoryBound: 0
; FloatMode: 240
; IeeeMode: 1
; LDSByteSize: 0 bytes/workgroup (compile time only)
; SGPRBlocks: 4
; VGPRBlocks: 2
; NumSGPRsForWavesPerEU: 36
; NumVGPRsForWavesPerEU: 22
; AccumOffset: 24
; Occupancy: 8
; WaveLimiterHint : 0
; COMPUTE_PGM_RSRC2:SCRATCH_EN: 0
; COMPUTE_PGM_RSRC2:USER_SGPR: 6
; COMPUTE_PGM_RSRC2:TRAP_HANDLER: 0
; COMPUTE_PGM_RSRC2:TGID_X_EN: 1
; COMPUTE_PGM_RSRC2:TGID_Y_EN: 1
; COMPUTE_PGM_RSRC2:TGID_Z_EN: 1
; COMPUTE_PGM_RSRC2:TIDIG_COMP_CNT: 0
; COMPUTE_PGM_RSRC3_GFX90A:ACCUM_OFFSET: 5
; COMPUTE_PGM_RSRC3_GFX90A:TG_SPLIT: 0
	.section	.text._ZL26flash_attn_combine_resultsILi128EEvPKfPK15HIP_vector_typeIfLj2EEPfi,"axG",@progbits,_ZL26flash_attn_combine_resultsILi128EEvPKfPK15HIP_vector_typeIfLj2EEPfi,comdat
	.globl	_ZL26flash_attn_combine_resultsILi128EEvPKfPK15HIP_vector_typeIfLj2EEPfi ; -- Begin function _ZL26flash_attn_combine_resultsILi128EEvPKfPK15HIP_vector_typeIfLj2EEPfi
	.p2align	8
	.type	_ZL26flash_attn_combine_resultsILi128EEvPKfPK15HIP_vector_typeIfLj2EEPfi,@function
_ZL26flash_attn_combine_resultsILi128EEvPKfPK15HIP_vector_typeIfLj2EEPfi: ; @_ZL26flash_attn_combine_resultsILi128EEvPKfPK15HIP_vector_typeIfLj2EEPfi
; %bb.0:
	s_load_dwordx2 s[10:11], s[4:5], 0x20
	s_load_dword s17, s[4:5], 0x18
	s_load_dwordx4 s[0:3], s[4:5], 0x0
	s_load_dwordx2 s[14:15], s[4:5], 0x10
	s_waitcnt lgkmcnt(0)
	s_mul_i32 s4, s10, s8
	s_add_i32 s4, s4, s6
	s_mul_i32 s16, s4, s11
	s_add_i32 s16, s16, s7
	s_lshl_b32 s18, s17, 1
	s_mul_i32 s4, s16, s17
	v_cmp_gt_i32_e32 vcc, s18, v0
	s_and_saveexec_b64 s[6:7], vcc
	s_cbranch_execz .LBB28_13
; %bb.1:
	v_xad_u32 v1, v0, -1, s18
	s_movk_i32 s8, 0x7f
	s_ashr_i32 s5, s4, 31
	v_cmp_lt_u32_e32 vcc, s8, v1
	s_mov_b64 s[10:11], -1
	v_mov_b32_e32 v2, v0
	s_and_saveexec_b64 s[8:9], vcc
	s_cbranch_execz .LBB28_10
; %bb.2:
	v_lshrrev_b32_e32 v6, 7, v1
	s_lshl_b64 s[10:11], s[4:5], 3
	v_add_u32_e32 v2, -1, v6
	s_add_u32 s19, s2, s10
	v_or_b32_e32 v1, 0x80, v0
	v_lshrrev_b32_e32 v3, 1, v2
	s_addc_u32 s20, s3, s11
	v_add_u32_e32 v7, 1, v3
	v_cmp_lt_u32_e32 vcc, 13, v2
	v_mov_b32_e32 v4, 0
	v_pk_mov_b32 v[2:3], v[0:1], v[0:1] op_sel:[0,1]
	s_and_saveexec_b64 s[10:11], vcc
	s_cbranch_execz .LBB28_6
; %bb.3:
	v_and_b32_e32 v8, -8, v7
	s_mov_b32 s21, 0
	v_lshl_add_u32 v9, v0, 2, 0
	s_mov_b64 s[12:13], 0
	v_mov_b32_e32 v10, s20
	v_mov_b32_e32 v5, 0
	v_pk_mov_b32 v[2:3], v[0:1], v[0:1] op_sel:[0,1]
.LBB28_4:                               ; =>This Inner Loop Header: Depth=1
	v_mov_b32_e32 v4, v2
	v_lshlrev_b64 v[26:27], 2, v[4:5]
	v_add_u32_e32 v12, 0x100, v3
	v_mov_b32_e32 v13, v5
	v_add_co_u32_e32 v26, vcc, s19, v26
	v_lshlrev_b64 v[12:13], 2, v[12:13]
	v_addc_co_u32_e32 v27, vcc, v10, v27, vcc
	v_add_u32_e32 v14, 0x200, v3
	v_mov_b32_e32 v15, v5
	v_add_co_u32_e32 v12, vcc, s19, v12
	v_lshlrev_b64 v[14:15], 2, v[14:15]
	v_addc_co_u32_e32 v13, vcc, v10, v13, vcc
	;; [unrolled: 5-line block ×7, first 2 shown]
	v_mov_b32_e32 v4, v3
	v_add_co_u32_e32 v24, vcc, s19, v24
	v_lshlrev_b64 v[28:29], 2, v[4:5]
	v_addc_co_u32_e32 v25, vcc, v10, v25, vcc
	v_add_u32_e32 v4, 0x100, v2
	v_add_co_u32_e32 v28, vcc, s19, v28
	v_addc_co_u32_e32 v29, vcc, v10, v29, vcc
	global_load_dword v1, v[26:27], off
	v_lshlrev_b64 v[26:27], 2, v[4:5]
	v_add_u32_e32 v4, 0x200, v2
	v_add_co_u32_e32 v26, vcc, s19, v26
	v_addc_co_u32_e32 v27, vcc, v10, v27, vcc
	v_lshlrev_b64 v[30:31], 2, v[4:5]
	v_add_u32_e32 v4, 0x300, v2
	global_load_dword v11, v[28:29], off
	global_load_dword v32, v[26:27], off
	;; [unrolled: 1-line block ×3, first 2 shown]
	v_add_co_u32_e32 v12, vcc, s19, v30
	v_addc_co_u32_e32 v13, vcc, v10, v31, vcc
	v_lshlrev_b64 v[26:27], 2, v[4:5]
	v_add_u32_e32 v4, 0x400, v2
	v_add_co_u32_e32 v26, vcc, s19, v26
	v_addc_co_u32_e32 v27, vcc, v10, v27, vcc
	v_lshlrev_b64 v[28:29], 2, v[4:5]
	v_add_u32_e32 v4, 0x500, v2
	global_load_dword v30, v[12:13], off
	global_load_dword v31, v[14:15], off
	;; [unrolled: 1-line block ×4, first 2 shown]
	v_add_co_u32_e32 v12, vcc, s19, v28
	v_addc_co_u32_e32 v13, vcc, v10, v29, vcc
	v_lshlrev_b64 v[14:15], 2, v[4:5]
	v_add_u32_e32 v4, 0x600, v2
	v_add_co_u32_e32 v14, vcc, s19, v14
	v_addc_co_u32_e32 v15, vcc, v10, v15, vcc
	v_lshlrev_b64 v[16:17], 2, v[4:5]
	v_add_u32_e32 v4, 0x700, v2
	global_load_dword v26, v[12:13], off
	global_load_dword v27, v[18:19], off
	;; [unrolled: 1-line block ×4, first 2 shown]
	v_add_co_u32_e32 v12, vcc, s19, v16
	v_addc_co_u32_e32 v13, vcc, v10, v17, vcc
	v_lshlrev_b64 v[14:15], 2, v[4:5]
	v_add_co_u32_e32 v14, vcc, s19, v14
	v_addc_co_u32_e32 v15, vcc, v10, v15, vcc
	global_load_dword v16, v[12:13], off
	global_load_dword v17, v[22:23], off
	global_load_dword v18, v[14:15], off
	global_load_dword v19, v[24:25], off
	v_add_u32_e32 v8, -8, v8
	s_add_i32 s21, s21, 16
	v_cmp_eq_u32_e32 vcc, 0, v8
	v_add_u32_e32 v3, 0x800, v3
	v_mov_b32_e32 v4, s21
	s_or_b64 s[12:13], vcc, s[12:13]
	v_add_u32_e32 v2, 0x800, v2
	s_waitcnt vmcnt(14)
	ds_write2st64_b32 v9, v1, v11 offset1:2
	s_waitcnt vmcnt(12)
	ds_write2st64_b32 v9, v32, v33 offset0:4 offset1:6
	s_waitcnt vmcnt(10)
	ds_write2st64_b32 v9, v30, v31 offset0:8 offset1:10
	;; [unrolled: 2-line block ×7, first 2 shown]
	v_add_u32_e32 v9, 0x2000, v9
	s_andn2_b64 exec, exec, s[12:13]
	s_cbranch_execnz .LBB28_4
; %bb.5:
	s_or_b64 exec, exec, s[12:13]
.LBB28_6:
	s_or_b64 exec, exec, s[10:11]
	v_and_b32_e32 v1, 7, v7
	v_cmp_ne_u32_e32 vcc, 0, v1
	s_and_saveexec_b64 s[10:11], vcc
	s_cbranch_execz .LBB28_9
; %bb.7:
	v_lshlrev_b32_e32 v5, 2, v0
	v_lshl_or_b32 v4, v4, 9, v5
	v_add_u32_e32 v7, 0, v4
	s_mov_b64 s[12:13], 0
	v_mov_b32_e32 v8, s20
	v_mov_b32_e32 v5, 0
.LBB28_8:                               ; =>This Inner Loop Header: Depth=1
	v_mov_b32_e32 v4, v2
	v_lshlrev_b64 v[10:11], 2, v[4:5]
	v_mov_b32_e32 v4, v3
	v_add_co_u32_e32 v10, vcc, s19, v10
	v_addc_co_u32_e32 v11, vcc, v8, v11, vcc
	v_lshlrev_b64 v[12:13], 2, v[4:5]
	v_add_co_u32_e32 v12, vcc, s19, v12
	v_addc_co_u32_e32 v13, vcc, v8, v13, vcc
	global_load_dword v4, v[10:11], off
	global_load_dword v9, v[12:13], off
	v_add_u32_e32 v1, -1, v1
	v_cmp_eq_u32_e32 vcc, 0, v1
	v_add_u32_e32 v2, 0x100, v2
	v_add_u32_e32 v3, 0x100, v3
	s_or_b64 s[12:13], vcc, s[12:13]
	s_waitcnt vmcnt(0)
	ds_write2st64_b32 v7, v4, v9 offset1:2
	v_add_u32_e32 v7, 0x400, v7
	s_andn2_b64 exec, exec, s[12:13]
	s_cbranch_execnz .LBB28_8
.LBB28_9:
	s_or_b64 exec, exec, s[10:11]
	v_add_u32_e32 v1, 1, v6
	v_and_b32_e32 v3, 0x3fffffe, v1
	v_cmp_ne_u32_e32 vcc, v1, v3
	v_lshl_or_b32 v2, v3, 7, v0
	s_orn2_b64 s[10:11], vcc, exec
.LBB28_10:
	s_or_b64 exec, exec, s[8:9]
	s_and_b64 exec, exec, s[10:11]
	s_cbranch_execz .LBB28_13
; %bb.11:
	s_lshl_b64 s[8:9], s[4:5], 3
	v_mov_b32_e32 v3, 0
	s_add_u32 s2, s2, s8
	v_lshlrev_b64 v[4:5], 2, v[2:3]
	s_addc_u32 s3, s3, s9
	v_mov_b32_e32 v1, s3
	v_add_co_u32_e32 v4, vcc, s2, v4
	v_addc_co_u32_e32 v5, vcc, v1, v5, vcc
	v_lshl_add_u32 v1, v2, 2, 0
	s_mov_b64 s[2:3], 0
.LBB28_12:                              ; =>This Inner Loop Header: Depth=1
	global_load_dword v3, v[4:5], off
	v_add_co_u32_e32 v4, vcc, 0x200, v4
	v_add_u32_e32 v2, 0x80, v2
	v_addc_co_u32_e32 v5, vcc, 0, v5, vcc
	v_cmp_le_i32_e32 vcc, s18, v2
	s_or_b64 s[2:3], vcc, s[2:3]
	s_waitcnt vmcnt(0)
	ds_write_b32 v1, v3
	v_add_u32_e32 v1, 0x200, v1
	s_andn2_b64 exec, exec, s[2:3]
	s_cbranch_execnz .LBB28_12
.LBB28_13:
	s_or_b64 exec, exec, s[6:7]
	v_mov_b32_e32 v1, 0
	s_waitcnt lgkmcnt(0)
	s_barrier
	ds_read_b32 v1, v1
	s_cmp_lt_i32 s17, 2
	s_cbranch_scc1 .LBB28_21
; %bb.14:
	s_add_i32 s2, s17, -1
	s_add_i32 s3, s17, -2
	s_cmp_lt_u32 s3, 7
	s_cbranch_scc1 .LBB28_18
; %bb.15:
	s_mov_b32 s6, 0
	s_add_i32 s3, 0, 8
	s_and_b32 s5, s2, -8
.LBB28_16:                              ; =>This Inner Loop Header: Depth=1
	v_mov_b32_e32 v8, s3
	ds_read2_b32 v[2:3], v8 offset1:2
	ds_read2_b32 v[4:5], v8 offset0:4 offset1:6
	ds_read2_b32 v[6:7], v8 offset0:8 offset1:10
	;; [unrolled: 1-line block ×3, first 2 shown]
	s_mov_b32 s7, s6
	s_waitcnt lgkmcnt(3)
	v_max3_f32 v1, v1, v2, v3
	s_waitcnt lgkmcnt(2)
	v_max3_f32 v1, v1, v4, v5
	s_add_i32 s3, s3, 64
	s_add_i32 s6, s6, 8
	s_waitcnt lgkmcnt(1)
	v_max3_f32 v1, v1, v6, v7
	s_cmp_eq_u32 s5, s6
	s_waitcnt lgkmcnt(0)
	v_max3_f32 v1, v1, v8, v9
	s_cbranch_scc0 .LBB28_16
; %bb.17:
	s_add_i32 s3, s7, 9
	s_and_b32 s2, s2, 7
	s_cmp_eq_u32 s2, 0
	s_cbranch_scc0 .LBB28_19
	s_branch .LBB28_21
.LBB28_18:
	s_mov_b32 s3, 1
	s_and_b32 s2, s2, 7
	s_cmp_eq_u32 s2, 0
	s_cbranch_scc1 .LBB28_21
.LBB28_19:
	s_lshl_b32 s3, s3, 3
	s_add_i32 s3, s3, 0
.LBB28_20:                              ; =>This Inner Loop Header: Depth=1
	v_mov_b32_e32 v2, s3
	ds_read_b32 v2, v2
	s_waitcnt lgkmcnt(1)
	v_max_f32_e32 v1, v1, v1
	s_add_i32 s3, s3, 8
	s_add_i32 s2, s2, -1
	s_cmp_lg_u32 s2, 0
	s_waitcnt lgkmcnt(0)
	v_max_f32_e32 v2, v2, v2
	v_max_f32_e32 v1, v1, v2
	s_cbranch_scc1 .LBB28_20
.LBB28_21:
	s_cmp_lt_i32 s17, 1
	s_cbranch_scc1 .LBB28_26
; %bb.22:
	s_lshl_b32 s2, s4, 7
	s_ashr_i32 s3, s2, 31
	s_lshl_b64 s[2:3], s[2:3], 2
	s_add_u32 s18, s0, s2
	s_addc_u32 s19, s1, s3
	s_cmp_lt_u32 s17, 8
	v_mov_b32_e32 v6, 0
	s_cbranch_scc1 .LBB28_27
; %bb.23:
	s_and_b32 s20, s17, 0x7ffffff8
	v_or_b32_e32 v2, 0x380, v0
	s_mov_b32 s21, 0
	v_mov_b32_e32 v5, 0
	s_mov_b32 s22, 0x3fb8aa3b
	s_mov_b32 s23, 0xc2ce8ed0
	;; [unrolled: 1-line block ×3, first 2 shown]
	v_mov_b32_e32 v8, 0x7f800000
	v_mov_b32_e32 v9, s19
	s_mov_b32 s25, 0
	v_mov_b32_e32 v7, 0
	v_mov_b32_e32 v6, 0
.LBB28_24:                              ; =>This Inner Loop Header: Depth=1
	v_add_u32_e32 v4, 0xfffffc80, v2
	v_lshlrev_b64 v[26:27], 2, v[4:5]
	v_mov_b32_e32 v3, v5
	v_add_co_u32_e32 v26, vcc, s18, v26
	v_lshlrev_b64 v[28:29], 2, v[2:3]
	v_addc_co_u32_e32 v27, vcc, v9, v27, vcc
	v_add_u32_e32 v4, 0xfffffd00, v2
	v_add_co_u32_e32 v28, vcc, s18, v28
	v_mov_b32_e32 v22, s21
	v_lshlrev_b64 v[30:31], 2, v[4:5]
	v_addc_co_u32_e32 v29, vcc, v9, v29, vcc
	ds_read2_b64 v[10:13], v22 offset1:1
	ds_read2_b64 v[14:17], v22 offset0:2 offset1:3
	ds_read2_b64 v[18:21], v22 offset0:4 offset1:5
	ds_read2_b64 v[22:25], v22 offset0:6 offset1:7
	v_add_u32_e32 v4, 0xfffffd80, v2
	global_load_dword v3, v[26:27], off
	v_add_co_u32_e32 v26, vcc, s18, v30
	v_addc_co_u32_e32 v27, vcc, v9, v31, vcc
	v_lshlrev_b64 v[30:31], 2, v[4:5]
	v_add_u32_e32 v4, 0xfffffe00, v2
	v_add_co_u32_e32 v30, vcc, s18, v30
	v_addc_co_u32_e32 v31, vcc, v9, v31, vcc
	v_lshlrev_b64 v[32:33], 2, v[4:5]
	v_add_u32_e32 v4, 0xfffffe80, v2
	global_load_dword v34, v[26:27], off
	global_load_dword v35, v[30:31], off
	v_add_co_u32_e32 v26, vcc, s18, v32
	v_addc_co_u32_e32 v27, vcc, v9, v33, vcc
	v_lshlrev_b64 v[30:31], 2, v[4:5]
	v_add_u32_e32 v4, 0xffffff00, v2
	v_add_co_u32_e32 v30, vcc, s18, v30
	v_addc_co_u32_e32 v31, vcc, v9, v31, vcc
	v_lshlrev_b64 v[32:33], 2, v[4:5]
	global_load_dword v36, v[26:27], off
	v_add_u32_e32 v4, 0xffffff80, v2
	global_load_dword v28, v[28:29], off
	v_add_co_u32_e32 v26, vcc, s18, v32
	v_addc_co_u32_e32 v27, vcc, v9, v33, vcc
	global_load_dword v42, v[30:31], off
	s_waitcnt lgkmcnt(3)
	v_sub_f32_e32 v12, v12, v1
	global_load_dword v26, v[26:27], off
	v_lshlrev_b64 v[30:31], 2, v[4:5]
	v_add_co_u32_e32 v30, vcc, s18, v30
	v_addc_co_u32_e32 v31, vcc, v9, v31, vcc
	global_load_dword v30, v[30:31], off
	s_waitcnt lgkmcnt(2)
	v_sub_f32_e32 v14, v14, v1
	v_sub_f32_e32 v10, v10, v1
	v_mul_f32_e32 v38, 0x3fb8aa3b, v12
	v_mul_f32_e32 v39, 0x3fb8aa3b, v14
	s_waitcnt lgkmcnt(1)
	v_sub_f32_e32 v18, v18, v1
	s_waitcnt lgkmcnt(0)
	v_sub_f32_e32 v22, v22, v1
	v_mul_f32_e32 v37, 0x3fb8aa3b, v10
	v_fma_f32 v45, v12, s22, -v38
	v_rndne_f32_e32 v46, v38
	v_fma_f32 v47, v14, s22, -v39
	v_rndne_f32_e32 v48, v39
	v_sub_f32_e32 v16, v16, v1
	v_sub_f32_e32 v20, v20, v1
	v_mul_f32_e32 v41, 0x3fb8aa3b, v18
	v_mul_f32_e32 v32, 0x3fb8aa3b, v22
	v_fma_f32 v33, v10, s22, -v37
	v_rndne_f32_e32 v44, v37
	v_fmac_f32_e32 v45, 0x32a5705f, v12
	v_sub_f32_e32 v38, v38, v46
	v_fmac_f32_e32 v47, 0x32a5705f, v14
	v_sub_f32_e32 v39, v39, v48
	v_mul_f32_e32 v40, 0x3fb8aa3b, v16
	v_mul_f32_e32 v43, 0x3fb8aa3b, v20
	v_fma_f32 v27, v18, s22, -v41
	v_rndne_f32_e32 v31, v41
	v_fmac_f32_e32 v33, 0x32a5705f, v10
	v_sub_f32_e32 v37, v37, v44
	v_add_f32_e32 v38, v38, v45
	v_fma_f32 v45, v22, s22, -v32
	v_add_f32_e32 v39, v39, v47
	v_rndne_f32_e32 v47, v32
	v_fma_f32 v49, v16, s22, -v40
	v_rndne_f32_e32 v50, v40
	v_fma_f32 v29, v20, s22, -v43
	v_add_f32_e32 v33, v37, v33
	v_rndne_f32_e32 v37, v43
	v_fmac_f32_e32 v27, 0x32a5705f, v18
	v_sub_f32_e32 v41, v41, v31
	v_fmac_f32_e32 v45, 0x32a5705f, v22
	v_sub_f32_e32 v32, v32, v47
	;; [unrolled: 2-line block ×3, first 2 shown]
	v_add_f32_e32 v27, v41, v27
	v_cvt_i32_f32_e32 v44, v44
	v_fmac_f32_e32 v29, 0x32a5705f, v20
	v_sub_f32_e32 v43, v43, v37
	v_add_f32_e32 v32, v32, v45
	v_exp_f32_e32 v33, v33
	v_add_f32_e32 v40, v40, v49
	v_cvt_i32_f32_e32 v46, v46
	v_cvt_i32_f32_e32 v31, v31
	;; [unrolled: 1-line block ×3, first 2 shown]
	v_add_f32_e32 v29, v43, v29
	v_exp_f32_e32 v38, v38
	v_exp_f32_e32 v27, v27
	;; [unrolled: 1-line block ×3, first 2 shown]
	v_sub_f32_e32 v24, v24, v1
	v_cvt_i32_f32_e32 v48, v48
	v_cvt_i32_f32_e32 v50, v50
	;; [unrolled: 1-line block ×3, first 2 shown]
	v_exp_f32_e32 v39, v39
	v_exp_f32_e32 v40, v40
	;; [unrolled: 1-line block ×3, first 2 shown]
	v_mul_f32_e32 v4, 0x3fb8aa3b, v24
	v_fma_f32 v49, v24, s22, -v4
	v_rndne_f32_e32 v41, v4
	v_ldexp_f32 v33, v33, v44
	v_cmp_ngt_f32_e64 s[12:13], s23, v10
	v_fmac_f32_e32 v49, 0x32a5705f, v24
	v_sub_f32_e32 v4, v4, v41
	v_ldexp_f32 v38, v38, v46
	v_cmp_ngt_f32_e32 vcc, s23, v12
	v_ldexp_f32 v27, v27, v31
	v_ldexp_f32 v31, v32, v47
	v_cndmask_b32_e64 v32, 0, v33, s[12:13]
	v_cmp_nlt_f32_e64 s[12:13], s24, v10
	v_add_f32_e32 v4, v4, v49
	v_ldexp_f32 v39, v39, v48
	v_cmp_ngt_f32_e64 s[0:1], s23, v14
	v_ldexp_f32 v40, v40, v50
	v_cmp_ngt_f32_e64 s[2:3], s23, v16
	v_cmp_ngt_f32_e64 s[4:5], s23, v18
	v_ldexp_f32 v29, v29, v37
	v_cmp_ngt_f32_e64 s[6:7], s23, v20
	v_cmp_ngt_f32_e64 s[8:9], s23, v22
	v_cndmask_b32_e32 v33, 0, v38, vcc
	v_cmp_nlt_f32_e32 vcc, s24, v12
	v_cndmask_b32_e64 v10, v8, v32, s[12:13]
	v_cvt_i32_f32_e32 v41, v41
	v_exp_f32_e32 v4, v4
	v_cndmask_b32_e64 v12, 0, v39, s[0:1]
	v_cmp_nlt_f32_e64 s[0:1], s24, v14
	v_cndmask_b32_e64 v14, 0, v40, s[2:3]
	v_cmp_nlt_f32_e64 s[2:3], s24, v16
	;; [unrolled: 2-line block ×5, first 2 shown]
	v_cndmask_b32_e32 v22, v8, v33, vcc
	v_fmac_f32_e32 v7, v10, v11
	s_waitcnt vmcnt(7)
	v_fmac_f32_e32 v6, v3, v10
	v_cndmask_b32_e64 v12, v8, v12, s[0:1]
	v_fmac_f32_e32 v7, v22, v13
	s_waitcnt vmcnt(6)
	v_fmac_f32_e32 v6, v34, v22
	v_cndmask_b32_e64 v14, v8, v14, s[2:3]
	;; [unrolled: 4-line block ×3, first 2 shown]
	v_fmac_f32_e32 v7, v14, v17
	s_waitcnt vmcnt(4)
	v_fmac_f32_e32 v6, v36, v14
	v_ldexp_f32 v4, v4, v41
	v_cmp_ngt_f32_e64 s[10:11], s23, v24
	v_cndmask_b32_e64 v18, v8, v18, s[6:7]
	v_fmac_f32_e32 v7, v16, v19
	s_waitcnt vmcnt(2)
	v_fmac_f32_e32 v6, v42, v16
	v_cndmask_b32_e64 v4, 0, v4, s[10:11]
	v_cmp_nlt_f32_e64 s[10:11], s24, v24
	v_cndmask_b32_e64 v20, v8, v20, s[8:9]
	v_fmac_f32_e32 v7, v18, v21
	s_waitcnt vmcnt(1)
	v_fmac_f32_e32 v6, v26, v18
	s_add_i32 s25, s25, 8
	s_add_i32 s21, s21, 64
	v_cndmask_b32_e64 v4, v8, v4, s[10:11]
	v_fmac_f32_e32 v7, v20, v23
	s_waitcnt vmcnt(0)
	v_fmac_f32_e32 v6, v30, v20
	s_cmp_eq_u32 s20, s25
	v_add_u32_e32 v2, 0x400, v2
	v_fmac_f32_e32 v7, v4, v25
	v_fmac_f32_e32 v6, v28, v4
	s_cbranch_scc0 .LBB28_24
; %bb.25:
	s_and_b32 s0, s17, 7
	s_cmp_eq_u32 s0, 0
	s_cbranch_scc0 .LBB28_28
	s_branch .LBB28_30
.LBB28_26:
	s_waitcnt lgkmcnt(0)
	v_mov_b32_e32 v1, 0x7fc00000
	s_branch .LBB28_31
.LBB28_27:
	s_mov_b32 s20, 0
	v_mov_b32_e32 v7, 0
	s_and_b32 s0, s17, 7
	s_cmp_eq_u32 s0, 0
	s_cbranch_scc1 .LBB28_30
.LBB28_28:
	s_lshl_b32 s1, s20, 3
	v_lshl_or_b32 v2, s20, 7, v0
	s_add_i32 s1, s1, 0
	s_mov_b32 s2, 0x3fb8aa3b
	s_mov_b32 s3, 0xc2ce8ed0
	;; [unrolled: 1-line block ×3, first 2 shown]
	v_mov_b32_e32 v4, 0x7f800000
	v_mov_b32_e32 v3, 0
	;; [unrolled: 1-line block ×3, first 2 shown]
.LBB28_29:                              ; =>This Inner Loop Header: Depth=1
	v_lshlrev_b64 v[8:9], 2, v[2:3]
	v_add_co_u32_e32 v8, vcc, s18, v8
	v_addc_co_u32_e32 v9, vcc, v5, v9, vcc
	global_load_dword v10, v[8:9], off
	v_mov_b32_e32 v8, s1
	ds_read_b64 v[8:9], v8
	s_add_i32 s1, s1, 8
	s_add_i32 s0, s0, -1
	v_add_u32_e32 v2, 0x80, v2
	s_cmp_lg_u32 s0, 0
	s_waitcnt lgkmcnt(0)
	v_sub_f32_e32 v8, v8, v1
	v_mul_f32_e32 v11, 0x3fb8aa3b, v8
	v_fma_f32 v12, v8, s2, -v11
	v_rndne_f32_e32 v13, v11
	v_fmac_f32_e32 v12, 0x32a5705f, v8
	v_sub_f32_e32 v11, v11, v13
	v_add_f32_e32 v11, v11, v12
	v_cvt_i32_f32_e32 v13, v13
	v_exp_f32_e32 v11, v11
	v_cmp_ngt_f32_e32 vcc, s3, v8
	v_ldexp_f32 v11, v11, v13
	v_cndmask_b32_e32 v11, 0, v11, vcc
	v_cmp_nlt_f32_e32 vcc, s4, v8
	v_cndmask_b32_e32 v8, v4, v11, vcc
	v_fmac_f32_e32 v7, v8, v9
	s_waitcnt vmcnt(0)
	v_fmac_f32_e32 v6, v10, v8
	s_cbranch_scc1 .LBB28_29
.LBB28_30:
	s_waitcnt lgkmcnt(0)
	v_div_scale_f32 v1, s[0:1], v7, v7, v6
	v_rcp_f32_e32 v2, v1
	v_div_scale_f32 v3, vcc, v6, v7, v6
	v_fma_f32 v4, -v1, v2, 1.0
	v_fmac_f32_e32 v2, v4, v2
	v_mul_f32_e32 v4, v3, v2
	v_fma_f32 v5, -v1, v4, v3
	v_fmac_f32_e32 v4, v5, v2
	v_fma_f32 v1, -v1, v4, v3
	v_div_fmas_f32 v1, v1, v2, v4
	v_div_fixup_f32 v1, v1, v7, v6
.LBB28_31:
	s_lshl_b32 s0, s16, 7
	s_ashr_i32 s1, s0, 31
	s_lshl_b64 s[0:1], s[0:1], 2
	s_add_u32 s0, s14, s0
	s_addc_u32 s1, s15, s1
	v_lshlrev_b32_e32 v0, 2, v0
	global_store_dword v0, v1, s[0:1]
	s_endpgm
	.section	.rodata,"a",@progbits
	.p2align	6, 0x0
	.amdhsa_kernel _ZL26flash_attn_combine_resultsILi128EEvPKfPK15HIP_vector_typeIfLj2EEPfi
		.amdhsa_group_segment_fixed_size 0
		.amdhsa_private_segment_fixed_size 0
		.amdhsa_kernarg_size 288
		.amdhsa_user_sgpr_count 6
		.amdhsa_user_sgpr_private_segment_buffer 1
		.amdhsa_user_sgpr_dispatch_ptr 0
		.amdhsa_user_sgpr_queue_ptr 0
		.amdhsa_user_sgpr_kernarg_segment_ptr 1
		.amdhsa_user_sgpr_dispatch_id 0
		.amdhsa_user_sgpr_flat_scratch_init 0
		.amdhsa_user_sgpr_kernarg_preload_length 0
		.amdhsa_user_sgpr_kernarg_preload_offset 0
		.amdhsa_user_sgpr_private_segment_size 0
		.amdhsa_uses_dynamic_stack 0
		.amdhsa_system_sgpr_private_segment_wavefront_offset 0
		.amdhsa_system_sgpr_workgroup_id_x 1
		.amdhsa_system_sgpr_workgroup_id_y 1
		.amdhsa_system_sgpr_workgroup_id_z 1
		.amdhsa_system_sgpr_workgroup_info 0
		.amdhsa_system_vgpr_workitem_id 0
		.amdhsa_next_free_vgpr 51
		.amdhsa_next_free_sgpr 26
		.amdhsa_accum_offset 52
		.amdhsa_reserve_vcc 1
		.amdhsa_reserve_flat_scratch 0
		.amdhsa_float_round_mode_32 0
		.amdhsa_float_round_mode_16_64 0
		.amdhsa_float_denorm_mode_32 3
		.amdhsa_float_denorm_mode_16_64 3
		.amdhsa_dx10_clamp 1
		.amdhsa_ieee_mode 1
		.amdhsa_fp16_overflow 0
		.amdhsa_tg_split 0
		.amdhsa_exception_fp_ieee_invalid_op 0
		.amdhsa_exception_fp_denorm_src 0
		.amdhsa_exception_fp_ieee_div_zero 0
		.amdhsa_exception_fp_ieee_overflow 0
		.amdhsa_exception_fp_ieee_underflow 0
		.amdhsa_exception_fp_ieee_inexact 0
		.amdhsa_exception_int_div_zero 0
	.end_amdhsa_kernel
	.section	.text._ZL26flash_attn_combine_resultsILi128EEvPKfPK15HIP_vector_typeIfLj2EEPfi,"axG",@progbits,_ZL26flash_attn_combine_resultsILi128EEvPKfPK15HIP_vector_typeIfLj2EEPfi,comdat
.Lfunc_end28:
	.size	_ZL26flash_attn_combine_resultsILi128EEvPKfPK15HIP_vector_typeIfLj2EEPfi, .Lfunc_end28-_ZL26flash_attn_combine_resultsILi128EEvPKfPK15HIP_vector_typeIfLj2EEPfi
                                        ; -- End function
	.section	.AMDGPU.csdata,"",@progbits
; Kernel info:
; codeLenInByte = 3048
; NumSgprs: 30
; NumVgprs: 51
; NumAgprs: 0
; TotalNumVgprs: 51
; ScratchSize: 0
; MemoryBound: 0
; FloatMode: 240
; IeeeMode: 1
; LDSByteSize: 0 bytes/workgroup (compile time only)
; SGPRBlocks: 3
; VGPRBlocks: 6
; NumSGPRsForWavesPerEU: 30
; NumVGPRsForWavesPerEU: 51
; AccumOffset: 52
; Occupancy: 8
; WaveLimiterHint : 0
; COMPUTE_PGM_RSRC2:SCRATCH_EN: 0
; COMPUTE_PGM_RSRC2:USER_SGPR: 6
; COMPUTE_PGM_RSRC2:TRAP_HANDLER: 0
; COMPUTE_PGM_RSRC2:TGID_X_EN: 1
; COMPUTE_PGM_RSRC2:TGID_Y_EN: 1
; COMPUTE_PGM_RSRC2:TGID_Z_EN: 1
; COMPUTE_PGM_RSRC2:TIDIG_COMP_CNT: 0
; COMPUTE_PGM_RSRC3_GFX90A:ACCUM_OFFSET: 12
; COMPUTE_PGM_RSRC3_GFX90A:TG_SPLIT: 0
	.section	.text._ZL18flash_attn_ext_f16ILi256ELi256ELi64ELi1ELb0ELb0EEvPKcS1_S1_S1_S1_PKiPfP15HIP_vector_typeIfLj2EEffffjfiS5_IjLj3EEiiiiiiiiiiiliiliiiiil,"axG",@progbits,_ZL18flash_attn_ext_f16ILi256ELi256ELi64ELi1ELb0ELb0EEvPKcS1_S1_S1_S1_PKiPfP15HIP_vector_typeIfLj2EEffffjfiS5_IjLj3EEiiiiiiiiiiiliiliiiiil,comdat
	.globl	_ZL18flash_attn_ext_f16ILi256ELi256ELi64ELi1ELb0ELb0EEvPKcS1_S1_S1_S1_PKiPfP15HIP_vector_typeIfLj2EEffffjfiS5_IjLj3EEiiiiiiiiiiiliiliiiiil ; -- Begin function _ZL18flash_attn_ext_f16ILi256ELi256ELi64ELi1ELb0ELb0EEvPKcS1_S1_S1_S1_PKiPfP15HIP_vector_typeIfLj2EEffffjfiS5_IjLj3EEiiiiiiiiiiiliiliiiiil
	.p2align	8
	.type	_ZL18flash_attn_ext_f16ILi256ELi256ELi64ELi1ELb0ELb0EEvPKcS1_S1_S1_S1_PKiPfP15HIP_vector_typeIfLj2EEffffjfiS5_IjLj3EEiiiiiiiiiiiliiliiiiil,@function
_ZL18flash_attn_ext_f16ILi256ELi256ELi64ELi1ELb0ELb0EEvPKcS1_S1_S1_S1_PKiPfP15HIP_vector_typeIfLj2EEffffjfiS5_IjLj3EEiiiiiiiiiiiliiliiiiil: ; @_ZL18flash_attn_ext_f16ILi256ELi256ELi64ELi1ELb0ELb0EEvPKcS1_S1_S1_S1_PKiPfP15HIP_vector_typeIfLj2EEffffjfiS5_IjLj3EEiiiiiiiiiiiliiliiiiil
; %bb.0:
	s_load_dwordx2 s[14:15], s[4:5], 0x80
	s_load_dwordx4 s[84:87], s[4:5], 0x64
	s_add_u32 flat_scratch_lo, s6, s9
	s_addc_u32 flat_scratch_hi, s7, 0
	s_add_u32 s0, s0, s9
	s_addc_u32 s1, s1, 0
	s_waitcnt lgkmcnt(0)
	s_abs_i32 s7, s15
	v_mov_b32_e32 v19, v0
	v_cvt_f32_u32_e32 v0, s7
	s_sub_i32 s10, 0, s7
	s_abs_i32 s9, s85
	s_mov_b32 s34, s8
	v_rcp_iflag_f32_e32 v0, v0
	s_xor_b32 s8, s85, s15
	s_ashr_i32 s8, s8, 31
                                        ; implicit-def: $vgpr254 : SGPR spill to VGPR lane
	s_load_dword s60, s[4:5], 0xd0
	v_mul_f32_e32 v0, 0x4f7ffffe, v0
	v_cvt_u32_f32_e32 v0, v0
	s_mov_b32 s6, 0
	v_cvt_f32_ubyte0_e32 v2, 0
	s_waitcnt lgkmcnt(0)
	v_cvt_f32_u32_e32 v1, s60
	v_readfirstlane_b32 s11, v0
	s_mul_i32 s10, s10, s11
	s_mul_hi_u32 s10, s11, s10
	s_add_i32 s11, s11, s10
	s_mul_hi_u32 s10, s9, s11
	s_mul_i32 s11, s10, s7
	s_sub_i32 s9, s9, s11
	s_add_i32 s12, s10, 1
	s_sub_i32 s11, s9, s7
	s_cmp_ge_u32 s9, s7
	s_cselect_b32 s10, s12, s10
	s_cselect_b32 s9, s11, s9
	s_add_i32 s11, s10, 1
	s_cmp_ge_u32 s9, s7
	s_cselect_b32 s7, s11, s10
	s_add_i32 s9, s14, 63
	s_xor_b32 s7, s7, s8
	s_ashr_i32 s10, s9, 31
	s_sub_i32 s8, s7, s8
	s_lshr_b32 s7, s10, 26
	s_add_i32 s9, s9, s7
	s_add_i32 s7, s84, 63
	s_lshr_b32 s7, s7, 6
	s_ashr_i32 s9, s9, 6
	v_writelane_b32 v254, s7, 0
	v_writelane_b32 v254, s9, 1
	s_mul_i32 s7, s7, s9
	v_writelane_b32 v254, s8, 2
	v_writelane_b32 v254, s7, 3
	s_mul_i32 s7, s7, s8
	s_mov_b32 s8, s14
	v_writelane_b32 v254, s8, 4
	v_writelane_b32 v254, s9, 5
	;; [unrolled: 1-line block ×3, first 2 shown]
	s_mul_i32 s7, s7, s15
	s_mul_i32 s10, s7, s86
	s_ashr_i32 s11, s10, 31
	v_writelane_b32 v254, s7, 7
	s_mul_i32 s7, s11, s34
	s_mul_hi_u32 s8, s10, s34
	s_add_i32 s7, s8, s7
	s_add_u32 s58, s4, 0xd0
	s_addc_u32 s59, s5, 0
	s_mul_i32 s12, s10, s34
	s_cmp_lg_u64 s[6:7], 0
	s_cbranch_scc0 .LBB29_2
; %bb.1:
	v_madmk_f32 v0, v2, 0x4f800000, v1
	v_rcp_f32_e32 v0, v0
	s_sub_u32 s6, 0, s60
	s_subb_u32 s13, 0, 0
	s_mov_b64 s[8:9], 0
	v_mul_f32_e32 v0, 0x5f7ffffc, v0
	v_mul_f32_e32 v3, 0x2f800000, v0
	v_trunc_f32_e32 v3, v3
	v_madmk_f32 v0, v3, 0xcf800000, v0
	v_cvt_u32_f32_e32 v3, v3
	v_cvt_u32_f32_e32 v0, v0
	v_readfirstlane_b32 s14, v3
	v_readfirstlane_b32 s15, v0
	s_mul_hi_u32 s17, s6, s15
	s_mul_i32 s18, s6, s14
	s_mul_i32 s16, s13, s15
	s_add_i32 s17, s17, s18
	s_add_i32 s17, s17, s16
	s_mul_i32 s19, s6, s15
	s_mul_hi_u32 s16, s15, s17
	s_mul_i32 s18, s15, s17
	s_mul_hi_u32 s15, s15, s19
	s_add_u32 s15, s15, s18
	s_addc_u32 s16, 0, s16
	s_mul_hi_u32 s20, s14, s19
	s_mul_i32 s19, s14, s19
	s_add_u32 s15, s15, s19
	s_mul_hi_u32 s18, s14, s17
	s_addc_u32 s15, s16, s20
	s_addc_u32 s16, s18, 0
	s_mul_i32 s17, s14, s17
	s_add_u32 s15, s15, s17
	s_addc_u32 s16, 0, s16
	v_add_co_u32_e32 v0, vcc, s15, v0
	s_cmp_lg_u64 vcc, 0
	s_addc_u32 s14, s14, s16
	v_readfirstlane_b32 s16, v0
	s_mul_i32 s15, s6, s14
	s_mul_hi_u32 s17, s6, s16
	s_add_i32 s15, s17, s15
	s_mul_i32 s13, s13, s16
	s_add_i32 s15, s15, s13
	s_mul_i32 s6, s6, s16
	s_mul_hi_u32 s17, s14, s6
	s_mul_i32 s18, s14, s6
	s_mul_i32 s20, s16, s15
	s_mul_hi_u32 s6, s16, s6
	s_mul_hi_u32 s19, s16, s15
	s_add_u32 s6, s6, s20
	s_addc_u32 s16, 0, s19
	s_add_u32 s6, s6, s18
	s_mul_hi_u32 s13, s14, s15
	s_addc_u32 s6, s16, s17
	s_addc_u32 s13, s13, 0
	s_mul_i32 s15, s14, s15
	s_add_u32 s6, s6, s15
	s_addc_u32 s13, 0, s13
	v_add_co_u32_e32 v0, vcc, s6, v0
	s_cmp_lg_u64 vcc, 0
	s_addc_u32 s13, s14, s13
	s_ashr_i32 s14, s7, 31
	s_add_u32 s6, s12, s14
	s_mov_b32 s15, s14
	s_addc_u32 s7, s7, s14
	s_xor_b64 s[6:7], s[6:7], s[14:15]
	v_readfirstlane_b32 s18, v0
	s_mul_i32 s17, s6, s13
	s_mul_hi_u32 s19, s6, s18
	s_mul_hi_u32 s16, s6, s13
	s_add_u32 s17, s19, s17
	s_addc_u32 s16, 0, s16
	s_mul_hi_u32 s20, s7, s18
	s_mul_i32 s18, s7, s18
	s_add_u32 s17, s17, s18
	s_mul_hi_u32 s19, s7, s13
	s_addc_u32 s16, s16, s20
	s_addc_u32 s17, s19, 0
	s_mul_i32 s13, s7, s13
	s_add_u32 s13, s16, s13
	s_addc_u32 s16, 0, s17
	s_add_u32 s17, s13, 1
	s_addc_u32 s18, s16, 0
	s_add_u32 s19, s13, 2
	s_mul_i32 s21, s60, s16
	s_mul_hi_u32 s22, s60, s13
	s_addc_u32 s20, s16, 0
	s_add_i32 s22, s22, s21
	s_mul_i32 s21, s60, s13
	v_mov_b32_e32 v0, s21
	v_sub_co_u32_e32 v0, vcc, s6, v0
	s_cmp_lg_u64 vcc, 0
	s_subb_u32 s6, s7, s22
	v_subrev_co_u32_e32 v3, vcc, s60, v0
	s_cmp_lg_u64 vcc, 0
	s_subb_u32 s7, s6, 0
	v_readfirstlane_b32 s21, v3
	s_cmp_ge_u32 s21, s60
	s_cselect_b32 s21, -1, 0
	s_cmp_eq_u32 s7, 0
	s_cselect_b32 s7, s21, -1
	s_cmp_lg_u32 s7, 0
	s_cselect_b32 s7, s20, s18
	v_readfirstlane_b32 s18, v0
	s_cselect_b32 s17, s19, s17
	s_cmp_ge_u32 s18, s60
	s_cselect_b32 s18, -1, 0
	s_cmp_eq_u32 s6, 0
	s_cselect_b32 s6, s18, -1
	s_cmp_lg_u32 s6, 0
	s_cselect_b32 s7, s7, s16
	s_cselect_b32 s6, s17, s13
	s_xor_b64 s[6:7], s[6:7], s[14:15]
	s_sub_u32 s94, s6, s14
	s_branch .LBB29_3
.LBB29_2:
	s_mov_b64 s[8:9], -1
                                        ; implicit-def: $sgpr94_sgpr95
.LBB29_3:
	s_load_dwordx2 s[6:7], s[4:5], 0x74
	v_cvt_f32_u32_e32 v0, s60
	s_andn2_b64 vcc, exec, s[8:9]
	s_waitcnt lgkmcnt(0)
	v_writelane_b32 v254, s6, 8
	v_writelane_b32 v254, s7, 9
	s_cbranch_vccnz .LBB29_5
; %bb.4:
	v_rcp_iflag_f32_e32 v3, v0
	s_sub_i32 s6, 0, s60
	v_mul_f32_e32 v3, 0x4f7ffffe, v3
	v_cvt_u32_f32_e32 v3, v3
	v_readfirstlane_b32 s7, v3
	s_mul_i32 s6, s6, s7
	s_mul_hi_u32 s6, s7, s6
	s_add_i32 s7, s7, s6
	s_mul_hi_u32 s6, s12, s7
	s_mul_i32 s8, s6, s60
	s_sub_i32 s8, s12, s8
	s_add_i32 s7, s6, 1
	s_sub_i32 s9, s8, s60
	s_cmp_ge_u32 s8, s60
	s_cselect_b32 s6, s7, s6
	s_cselect_b32 s8, s9, s8
	s_add_i32 s7, s6, 1
	s_cmp_ge_u32 s8, s60
	s_cselect_b32 s94, s7, s6
.LBB29_5:
	s_add_i32 s6, s34, 1
	s_mul_i32 s7, s11, s6
	s_mul_hi_u32 s8, s10, s6
	s_add_i32 s9, s8, s7
	s_mov_b32 s8, 0
	s_cmp_lg_u64 s[8:9], 0
	s_mul_i32 s8, s10, s6
	s_cbranch_scc0 .LBB29_525
; %bb.6:
	v_madmk_f32 v1, v2, 0x4f800000, v1
	v_rcp_f32_e32 v1, v1
	s_sub_u32 s10, 0, s60
	s_subb_u32 s11, 0, 0
	v_mul_f32_e32 v1, 0x5f7ffffc, v1
	v_mul_f32_e32 v2, 0x2f800000, v1
	v_trunc_f32_e32 v2, v2
	v_madmk_f32 v1, v2, 0xcf800000, v1
	v_cvt_u32_f32_e32 v2, v2
	v_cvt_u32_f32_e32 v1, v1
	v_readfirstlane_b32 s12, v2
	v_readfirstlane_b32 s13, v1
	s_mul_hi_u32 s15, s10, s13
	s_mul_i32 s16, s10, s12
	s_mul_i32 s14, s11, s13
	s_add_i32 s15, s15, s16
	s_add_i32 s15, s15, s14
	s_mul_i32 s17, s10, s13
	s_mul_hi_u32 s14, s13, s15
	s_mul_i32 s16, s13, s15
	s_mul_hi_u32 s13, s13, s17
	s_add_u32 s13, s13, s16
	s_addc_u32 s14, 0, s14
	s_mul_hi_u32 s18, s12, s17
	s_mul_i32 s17, s12, s17
	s_add_u32 s13, s13, s17
	s_mul_hi_u32 s16, s12, s15
	s_addc_u32 s13, s14, s18
	s_addc_u32 s14, s16, 0
	s_mul_i32 s15, s12, s15
	s_add_u32 s13, s13, s15
	s_addc_u32 s14, 0, s14
	v_add_co_u32_e32 v1, vcc, s13, v1
	s_cmp_lg_u64 vcc, 0
	s_addc_u32 s12, s12, s14
	v_readfirstlane_b32 s14, v1
	s_mul_i32 s13, s10, s12
	s_mul_hi_u32 s15, s10, s14
	s_add_i32 s13, s15, s13
	s_mul_i32 s11, s11, s14
	s_add_i32 s13, s13, s11
	s_mul_i32 s10, s10, s14
	s_mul_hi_u32 s15, s12, s10
	s_mul_i32 s16, s12, s10
	s_mul_i32 s18, s14, s13
	s_mul_hi_u32 s10, s14, s10
	s_mul_hi_u32 s17, s14, s13
	s_add_u32 s10, s10, s18
	s_addc_u32 s14, 0, s17
	s_add_u32 s10, s10, s16
	s_mul_hi_u32 s11, s12, s13
	s_addc_u32 s10, s14, s15
	s_addc_u32 s11, s11, 0
	s_mul_i32 s13, s12, s13
	s_add_u32 s10, s10, s13
	s_addc_u32 s11, 0, s11
	v_add_co_u32_e32 v1, vcc, s10, v1
	s_cmp_lg_u64 vcc, 0
	s_addc_u32 s14, s12, s11
	s_ashr_i32 s10, s9, 31
	s_add_u32 s12, s8, s10
	s_mov_b32 s11, s10
	s_addc_u32 s13, s9, s10
	s_xor_b64 s[12:13], s[12:13], s[10:11]
	v_readfirstlane_b32 s16, v1
	s_mul_i32 s15, s12, s14
	s_mul_hi_u32 s17, s12, s16
	s_mul_hi_u32 s9, s12, s14
	s_add_u32 s15, s17, s15
	s_addc_u32 s9, 0, s9
	s_mul_hi_u32 s18, s13, s16
	s_mul_i32 s16, s13, s16
	s_add_u32 s15, s15, s16
	s_mul_hi_u32 s17, s13, s14
	s_addc_u32 s9, s9, s18
	s_addc_u32 s15, s17, 0
	s_mul_i32 s14, s13, s14
	s_add_u32 s9, s9, s14
	s_addc_u32 s14, 0, s15
	s_add_u32 s15, s9, 1
	s_addc_u32 s16, s14, 0
	s_add_u32 s17, s9, 2
	s_mul_i32 s19, s60, s14
	s_mul_hi_u32 s20, s60, s9
	s_addc_u32 s18, s14, 0
	s_add_i32 s20, s20, s19
	s_mul_i32 s19, s60, s9
	v_mov_b32_e32 v1, s19
	v_sub_co_u32_e32 v1, vcc, s12, v1
	s_cmp_lg_u64 vcc, 0
	s_subb_u32 s12, s13, s20
	v_subrev_co_u32_e32 v2, vcc, s60, v1
	s_cmp_lg_u64 vcc, 0
	s_subb_u32 s13, s12, 0
	v_readfirstlane_b32 s19, v2
	s_cmp_ge_u32 s19, s60
	s_cselect_b32 s19, -1, 0
	s_cmp_eq_u32 s13, 0
	s_cselect_b32 s13, s19, -1
	s_cmp_lg_u32 s13, 0
	s_cselect_b32 s13, s18, s16
	v_readfirstlane_b32 s16, v1
	s_cselect_b32 s15, s17, s15
	s_cmp_ge_u32 s16, s60
	s_cselect_b32 s16, -1, 0
	s_cmp_eq_u32 s12, 0
	s_cselect_b32 s12, s16, -1
	s_cmp_lg_u32 s12, 0
	s_cselect_b32 s13, s13, s14
	s_cselect_b32 s12, s15, s9
	s_xor_b64 s[12:13], s[12:13], s[10:11]
	s_sub_u32 s10, s12, s10
	v_writelane_b32 v254, s10, 10
	v_writelane_b32 v254, s11, 11
	s_load_dwordx2 s[98:99], s[4:5], 0x5c
	s_cbranch_execnz .LBB29_8
.LBB29_7:
	v_rcp_iflag_f32_e32 v0, v0
	s_sub_i32 s6, 0, s60
	v_mul_f32_e32 v0, 0x4f7ffffe, v0
	v_cvt_u32_f32_e32 v0, v0
	v_readfirstlane_b32 s7, v0
	s_mul_i32 s6, s6, s7
	s_mul_hi_u32 s6, s7, s6
	s_add_i32 s7, s7, s6
	s_mul_hi_u32 s6, s8, s7
	s_mul_i32 s9, s6, s60
	s_sub_i32 s8, s8, s9
	s_add_i32 s7, s6, 1
	s_sub_i32 s9, s8, s60
	s_cmp_ge_u32 s8, s60
	s_cselect_b32 s6, s7, s6
	s_cselect_b32 s8, s9, s8
	s_add_i32 s7, s6, 1
	s_cmp_ge_u32 s8, s60
	s_cselect_b32 s6, s7, s6
	v_writelane_b32 v254, s6, 10
	v_writelane_b32 v254, s7, 11
.LBB29_8:
	s_load_dwordx16 s[12:27], s[4:5], 0x0
	s_load_dwordx4 s[36:39], s[4:5], 0x40
	s_load_dword s6, s[4:5], 0x50
	s_ashr_i32 s56, s87, 3
	v_bfe_u32 v246, v19, 10, 10
	s_mov_b32 s35, 0
	v_lshlrev_b32_e32 v244, 3, v246
	s_waitcnt lgkmcnt(0)
	v_writelane_b32 v254, s6, 12
	s_load_dwordx2 s[6:7], s[4:5], 0x8c
	s_load_dwordx4 s[8:11], s[4:5], 0x98
	s_load_dwordx2 s[28:29], s[4:5], 0xa8
	s_load_dwordx2 s[42:43], s[4:5], 0xb8
	s_nop 0
	s_load_dwordx2 s[4:5], s[4:5], 0xc8
	v_add_u32_e32 v227, 8, v246
	s_waitcnt lgkmcnt(0)
	s_ashr_i32 s66, s6, 2
	s_ashr_i32 s86, s10, 2
	v_writelane_b32 v254, s28, 13
	v_writelane_b32 v254, s29, 14
	;; [unrolled: 1-line block ×4, first 2 shown]
	v_readlane_b32 s28, v254, 1
	s_abs_i32 s95, s28
	v_cvt_f32_u32_e32 v0, s95
	s_mov_b32 s5, s7
	v_writelane_b32 v254, s4, 17
	v_writelane_b32 v254, s5, 18
	v_rcp_iflag_f32_e32 v0, v0
	s_mov_b64 s[4:5], s[8:9]
	s_mov_b32 s7, s11
	v_writelane_b32 v254, s4, 19
	v_mul_f32_e32 v0, 0x4f7ffffe, v0
	v_cvt_u32_f32_e32 v0, v0
	v_writelane_b32 v254, s5, 20
	v_writelane_b32 v254, s6, 21
	;; [unrolled: 1-line block ×3, first 2 shown]
	s_sub_i32 s6, 0, s95
	v_readfirstlane_b32 s7, v0
	s_mul_i32 s6, s6, s7
	s_ashr_i32 s5, s28, 31
	s_mul_hi_u32 s6, s7, s6
	v_writelane_b32 v254, s5, 23
	s_abs_i32 s5, s94
	s_add_i32 s47, s7, s6
	s_mul_hi_u32 s6, s5, s47
	s_mul_i32 s6, s6, s95
	s_sub_i32 s5, s5, s6
	s_ashr_i32 s88, s43, 1
	s_ashr_i32 s4, s94, 31
	s_sub_i32 s6, s5, s95
	s_cmp_ge_u32 s5, s95
	s_cselect_b32 s5, s6, s5
	s_sub_i32 s6, s5, s95
	s_cmp_ge_u32 s5, s95
	s_cselect_b32 s5, s6, s5
	s_xor_b32 s5, s5, s4
	s_sub_i32 s48, s5, s4
	v_readlane_b32 s4, v254, 10
	v_readlane_b32 s5, v254, 11
	v_writelane_b32 v254, s12, 24
	v_writelane_b32 v254, s13, 25
	;; [unrolled: 1-line block ×7, first 2 shown]
	s_mov_b32 s8, s4
	s_sub_i32 s4, s4, s94
	v_writelane_b32 v254, s19, 31
	s_add_i32 s6, s4, s48
	v_writelane_b32 v254, s20, 32
	s_min_i32 s92, s28, s6
	v_writelane_b32 v254, s21, 33
	s_cmp_gt_i32 s8, s94
	v_writelane_b32 v254, s22, 34
	s_cselect_b64 s[40:41], -1, 0
	s_cmp_le_i32 s8, s94
	v_cvt_f16_f32_e32 v0, s36
	v_writelane_b32 v254, s23, 35
	s_cselect_b64 s[4:5], -1, 0
	s_cmp_gt_i32 s28, s6
	v_writelane_b32 v254, s24, 36
	s_cselect_b64 s[6:7], -1, 0
	v_writelane_b32 v254, s25, 37
	s_or_b64 s[4:5], s[6:7], s[4:5]
	v_writelane_b32 v254, s26, 38
	s_and_b64 vcc, exec, s[4:5]
	v_pack_b32_f16 v113, v0, v0
	v_add_u32_e32 v120, 16, v246
	v_add_u32_e32 v119, 24, v246
	;; [unrolled: 1-line block ×6, first 2 shown]
	v_lshlrev_b32_e32 v108, 4, v246
	v_and_b32_e32 v245, 1, v246
	v_lshrrev_b32_e32 v243, 1, v246
	v_writelane_b32 v254, s27, 39
	s_cbranch_vccz .LBB29_11
; %bb.9:
	s_andn2_b64 vcc, exec, s[40:41]
	s_cbranch_vccz .LBB29_475
.LBB29_10:
	s_endpgm
.LBB29_11:
	v_writelane_b32 v254, s60, 40
	v_writelane_b32 v254, s58, 41
	s_cmp_lg_u64 s[18:19], 0
	v_writelane_b32 v254, s59, 42
	s_cselect_b64 s[4:5], -1, 0
	v_writelane_b32 v254, s4, 43
	v_writelane_b32 v254, s5, 44
	s_mul_i32 s4, s84, s85
	s_cmp_eq_u64 s[20:21], 0
	v_writelane_b32 v254, s4, 45
	s_cselect_b64 s[4:5], -1, 0
	v_writelane_b32 v254, s4, 46
	v_writelane_b32 v254, s5, 47
	s_mov_b64 s[6:7], s[38:39]
	s_mov_b32 s5, s37
	v_and_b32_e32 v42, 0x3ff, v19
	v_writelane_b32 v254, s4, 48
	v_lshrrev_b32_e32 v3, 3, v42
	v_writelane_b32 v254, s5, 49
	v_and_b32_e32 v1, 15, v42
	v_and_b32_e32 v18, 62, v3
	v_writelane_b32 v254, s6, 50
	v_mul_u32_u24_e32 v2, 0x210, v1
	v_lshlrev_b32_e32 v3, 2, v18
	v_writelane_b32 v254, s7, 51
	v_cmp_nle_f32_e64 s[4:5], s37, 0
	v_add3_u32 v10, 0, v2, v3
	v_lshrrev_b32_e32 v2, 5, v42
	v_writelane_b32 v254, s4, 52
	s_cmp_lg_u64 s[22:23], 0
	buffer_store_dword v19, off, s[0:3], 0 offset:232 ; 4-byte Folded Spill
	v_lshl_add_u32 v80, v246, 1, v2
	v_lshrrev_b32_e32 v19, 2, v42
	v_writelane_b32 v254, s5, 53
	s_cselect_b64 s[4:5], -1, 0
	v_and_b32_e32 v0, 0xff0, v244
	s_movk_i32 s8, 0x210
	s_mov_b64 s[82:83], s[26:27]
	v_and_b32_e32 v11, 16, v108
	v_and_b32_e32 v20, 0x7c, v19
	v_mul_lo_u32 v16, s86, v80
	s_lshl_b32 s30, s86, 4
	v_mad_u32_u24 v122, v0, s8, v10
	s_mov_b64 s[80:81], s[24:25]
	s_mov_b64 s[78:79], s[22:23]
	;; [unrolled: 1-line block ×7, first 2 shown]
	s_movk_i32 s14, 0x90
	v_mad_u32_u24 v133, v11, s8, v10
	v_add_u32_e32 v88, v11, v20
	v_or_b32_e32 v0, v0, v1
	v_add_u16_e32 v10, v11, v20
	v_add_u32_e32 v14, s30, v16
	v_mad_u32_u24 v0, v0, s14, 0
	v_lshrrev_b16_e32 v10, 1, v10
	v_add_u32_e32 v90, 32, v88
	v_add_u32_e32 v95, 34, v88
	;; [unrolled: 1-line block ×3, first 2 shown]
	v_lshl_add_u32 v135, v10, 2, v0
	v_lshl_add_u32 v137, v90, 1, v0
	;; [unrolled: 1-line block ×3, first 2 shown]
	v_add_u32_e32 v10, s30, v12
	v_and_b32_e32 v0, 8, v244
	v_mul_u32_u24_e32 v21, 0x108, v20
	s_movk_i32 s30, 0x420
	v_or_b32_e32 v21, v21, v1
	v_mul_u32_u24_e32 v22, 0x210, v20
	v_or_b32_e32 v19, 3, v19
	v_mul_u32_u24_e32 v23, 0x420, v0
	v_mad_u32_u24 v24, v0, s30, 0
	v_lshlrev_b32_e32 v25, 1, v1
	v_mul_u32_u24_e32 v19, 0x210, v19
	v_lshlrev_b32_e32 v21, 1, v21
	v_add3_u32 v141, v24, v22, v25
	v_add3_u32 v22, 0, 32, v23
	v_add_u32_e32 v140, v24, v21
	v_add3_u32 v142, v24, v19, v25
	v_add_u32_e32 v145, v22, v21
	v_mad_u32_u24 v24, v20, s8, v22
	v_add3_u32 v148, v22, v19, v25
	v_add3_u32 v22, 0, 64, v23
	s_add_i32 s31, 0, 0x60
	v_add_u32_e32 v150, v22, v21
	v_mad_u32_u24 v23, v20, s8, v22
	v_add3_u32 v153, v22, v19, v25
	v_mov_b32_e32 v22, s31
	s_movk_i32 s9, 0x4200
	v_mad_u32_u24 v22, v0, s30, v22
	s_add_i32 s31, 0, 0x80
	v_add3_u32 v151, v23, v25, s9
	v_add_u32_e32 v155, v22, v21
	v_mad_u32_u24 v23, v20, s8, v22
	v_add3_u32 v158, v22, v19, v25
	v_mov_b32_e32 v22, s31
	v_mad_u32_u24 v22, v0, s30, v22
	s_add_i32 s31, 0, 0xa0
	v_add3_u32 v156, v23, v25, s9
	v_add_u32_e32 v160, v22, v21
	v_mad_u32_u24 v23, v20, s8, v22
	v_add3_u32 v163, v22, v19, v25
	v_mov_b32_e32 v22, s31
	;; [unrolled: 7-line block ×12, first 2 shown]
	v_mad_u32_u24 v0, v0, s30, v22
	v_writelane_b32 v254, s4, 54
	v_mad_u32_u24 v20, v20, s8, v0
	v_writelane_b32 v254, s5, 55
	v_add3_u32 v146, v24, v25, s9
	v_add3_u32 v211, v23, v25, s9
	;; [unrolled: 1-line block ×3, first 2 shown]
	v_cmp_eq_u32_e64 s[8:9], 0, v245
	v_writelane_b32 v254, s8, 56
	v_writelane_b32 v254, s9, 57
	v_cmp_eq_u32_e64 s[8:9], 1, v245
	v_writelane_b32 v254, s8, 58
	v_add_u32_e32 v215, v0, v21
	v_add3_u32 v218, v0, v19, v25
	v_writelane_b32 v254, s9, 59
	v_cmp_gt_u32_e64 s[8:9], 16, v42
	v_add_u32_e32 v0, v108, v42
	v_writelane_b32 v254, s8, 60
	v_mul_u32_u24_e32 v0, 0x110, v0
	v_writelane_b32 v254, s9, 61
	buffer_store_dword v0, off, s[0:3], 0 offset:68 ; 4-byte Folded Spill
	v_and_b32_e32 v0, 31, v42
	v_cmp_gt_u32_e64 s[8:9], 32, v42
                                        ; implicit-def: $vgpr255 : SGPR spill to VGPR lane
	v_add_u32_e32 v19, v108, v0
	v_writelane_b32 v254, s8, 62
	v_writelane_b32 v255, s34, 0
	s_lshl_b32 s34, s34, 6
	s_ashr_i32 s89, s88, 31
	s_ashr_i32 s67, s66, 31
	s_ashr_i32 s87, s86, 31
	s_lshl_b32 s15, s66, 4
	v_mul_u32_u24_e32 v19, 0x110, v19
	v_writelane_b32 v254, s9, 63
	s_lshl_b64 s[8:9], s[34:35], 3
	buffer_store_dword v19, off, s[0:3], 0 offset:72 ; 4-byte Folded Spill
	s_add_u32 s8, s82, s8
	v_or_b32_e32 v19, v244, v42
	s_addc_u32 s9, s83, s9
	v_lshlrev_b32_e32 v19, 3, v19
	v_add_co_u32_e32 v20, vcc, s8, v19
	v_mov_b32_e32 v19, s9
	v_or_b32_e32 v1, v108, v1
	s_movk_i32 s8, 0x44
	s_lshl_b32 s9, s85, 7
	v_mad_u32_u24 v1, v1, s8, v18
	v_writelane_b32 v255, s9, 1
	s_movk_i32 s9, 0x84
	v_lshl_add_u32 v226, v1, 2, 0
	v_mad_u32_u24 v1, v246, s9, v42
	s_movk_i32 s31, 0x1e0
	v_lshl_add_u32 v247, v1, 2, 0
	v_bfe_u32 v1, v246, 1, 4
	v_and_or_b32 v18, v246, s31, v1
	v_addc_co_u32_e32 v21, vcc, 0, v19, vcc
	v_mul_u32_u24_e32 v19, 0x110, v18
	v_mad_u32_u24 v18, v18, s8, v42
	buffer_store_dword v245, off, s[0:3], 0 offset:228 ; 4-byte Folded Spill
	buffer_store_dword v244, off, s[0:3], 0 offset:224 ; 4-byte Folded Spill
	;; [unrolled: 1-line block ×3, first 2 shown]
	s_nop 0
	buffer_store_dword v21, off, s[0:3], 0 offset:180 ; 4-byte Folded Spill
	buffer_store_dword v108, off, s[0:3], 0 offset:220 ; 4-byte Folded Spill
	;; [unrolled: 1-line block ×3, first 2 shown]
	v_lshl_add_u32 v18, v18, 2, 0
	v_add_u32_e32 v19, 4, v243
	buffer_store_dword v18, off, s[0:3], 0 offset:80 ; 4-byte Folded Spill
	v_lshlrev_b32_e32 v18, 1, v19
	buffer_store_dword v19, off, s[0:3], 0 offset:84 ; 4-byte Folded Spill
	v_and_b32_e32 v19, 15, v19
	s_movk_i32 s9, 0x3e0
	v_and_or_b32 v18, v18, s9, v19
	v_mul_u32_u24_e32 v19, 0x110, v18
	v_mad_u32_u24 v18, v18, s8, v42
	buffer_store_dword v19, off, s[0:3], 0 offset:100 ; 4-byte Folded Spill
	v_lshl_add_u32 v18, v18, 2, 0
	v_add_u32_e32 v19, 8, v243
	buffer_store_dword v18, off, s[0:3], 0 offset:104 ; 4-byte Folded Spill
	v_lshlrev_b32_e32 v18, 1, v19
	buffer_store_dword v19, off, s[0:3], 0 offset:108 ; 4-byte Folded Spill
	v_and_b32_e32 v19, 15, v19
	v_and_or_b32 v18, v18, s9, v19
	v_mul_u32_u24_e32 v19, 0x110, v18
	v_mad_u32_u24 v18, v18, s8, v42
	buffer_store_dword v19, off, s[0:3], 0 offset:184 ; 4-byte Folded Spill
	v_lshl_add_u32 v18, v18, 2, 0
	v_add_u32_e32 v19, 12, v243
	buffer_store_dword v18, off, s[0:3], 0 offset:188 ; 4-byte Folded Spill
	v_lshlrev_b32_e32 v18, 1, v19
	buffer_store_dword v19, off, s[0:3], 0 offset:192 ; 4-byte Folded Spill
	v_and_b32_e32 v19, 15, v19
	v_and_or_b32 v18, v18, s9, v19
	v_mul_u32_u24_e32 v19, 0x110, v18
	v_mad_u32_u24 v18, v18, s8, v42
	v_lshl_add_u32 v18, v18, 2, 0
	buffer_store_dword v18, off, s[0:3], 0 offset:200 ; 4-byte Folded Spill
	v_add_u32_e32 v18, 16, v243
	buffer_store_dword v18, off, s[0:3], 0 offset:204 ; 4-byte Folded Spill
	v_lshlrev_b32_e32 v18, 1, v18
	v_and_or_b32 v18, v18, s9, v1
	buffer_store_dword v19, off, s[0:3], 0 offset:196 ; 4-byte Folded Spill
	v_mul_u32_u24_e32 v19, 0x110, v18
	v_mad_u32_u24 v18, v18, s8, v42
	buffer_store_dword v19, off, s[0:3], 0 offset:208 ; 4-byte Folded Spill
	v_lshl_add_u32 v18, v18, 2, 0
	v_add_u32_e32 v19, 20, v243
	buffer_store_dword v18, off, s[0:3], 0 offset:212 ; 4-byte Folded Spill
	v_lshlrev_b32_e32 v18, 1, v19
	buffer_store_dword v19, off, s[0:3], 0 offset:216 ; 4-byte Folded Spill
	v_and_b32_e32 v19, 15, v19
	v_and_or_b32 v18, v18, s9, v19
	v_mul_u32_u24_e32 v19, 0x110, v18
	v_mad_u32_u24 v18, v18, s8, v42
	buffer_store_dword v19, off, s[0:3], 0 offset:236 ; 4-byte Folded Spill
	v_lshl_add_u32 v18, v18, 2, 0
	v_add_u32_e32 v19, 24, v243
	buffer_store_dword v18, off, s[0:3], 0 offset:240 ; 4-byte Folded Spill
	v_lshlrev_b32_e32 v18, 1, v19
	buffer_store_dword v19, off, s[0:3], 0 offset:244 ; 4-byte Folded Spill
	v_and_b32_e32 v19, 15, v19
	v_and_or_b32 v18, v18, s9, v19
	;; [unrolled: 10-line block ×3, first 2 shown]
	v_mul_u32_u24_e32 v19, 0x110, v18
	v_mad_u32_u24 v18, v18, s8, v42
	v_lshl_add_u32 v18, v18, 2, 0
	buffer_store_dword v18, off, s[0:3], 0 offset:264 ; 4-byte Folded Spill
	v_add_u32_e32 v18, 32, v243
	buffer_store_dword v18, off, s[0:3], 0 offset:268 ; 4-byte Folded Spill
	v_lshlrev_b32_e32 v18, 1, v18
	v_and_or_b32 v18, v18, s9, v1
	buffer_store_dword v19, off, s[0:3], 0 offset:260 ; 4-byte Folded Spill
	v_mul_u32_u24_e32 v19, 0x110, v18
	v_mad_u32_u24 v18, v18, s8, v42
	buffer_store_dword v19, off, s[0:3], 0 offset:272 ; 4-byte Folded Spill
	v_lshl_add_u32 v18, v18, 2, 0
	v_add_u32_e32 v19, 36, v243
	buffer_store_dword v18, off, s[0:3], 0 offset:276 ; 4-byte Folded Spill
	v_lshlrev_b32_e32 v18, 1, v19
	buffer_store_dword v19, off, s[0:3], 0 offset:280 ; 4-byte Folded Spill
	v_and_b32_e32 v19, 15, v19
	v_and_or_b32 v18, v18, s9, v19
	v_mul_u32_u24_e32 v19, 0x110, v18
	v_mad_u32_u24 v18, v18, s8, v42
	buffer_store_dword v19, off, s[0:3], 0 offset:284 ; 4-byte Folded Spill
	v_lshl_add_u32 v18, v18, 2, 0
	v_add_u32_e32 v19, 40, v243
	buffer_store_dword v18, off, s[0:3], 0 offset:288 ; 4-byte Folded Spill
	v_lshlrev_b32_e32 v18, 1, v19
	buffer_store_dword v19, off, s[0:3], 0 offset:292 ; 4-byte Folded Spill
	v_and_b32_e32 v19, 15, v19
	v_and_or_b32 v18, v18, s9, v19
	;; [unrolled: 10-line block ×3, first 2 shown]
	v_mul_u32_u24_e32 v19, 0x110, v18
	v_mad_u32_u24 v18, v18, s8, v42
	v_lshl_add_u32 v18, v18, 2, 0
	buffer_store_dword v18, off, s[0:3], 0 offset:312 ; 4-byte Folded Spill
	v_add_u32_e32 v18, 48, v243
	buffer_store_dword v18, off, s[0:3], 0 offset:316 ; 4-byte Folded Spill
	v_lshlrev_b32_e32 v18, 1, v18
	v_and_or_b32 v1, v18, s9, v1
	v_mul_u32_u24_e32 v18, 0x110, v1
	v_mad_u32_u24 v1, v1, s8, v42
	buffer_store_dword v18, off, s[0:3], 0 offset:320 ; 4-byte Folded Spill
	v_lshl_add_u32 v1, v1, 2, 0
	v_add_u32_e32 v18, 52, v243
	buffer_store_dword v1, off, s[0:3], 0 offset:324 ; 4-byte Folded Spill
	v_lshlrev_b32_e32 v1, 1, v18
	buffer_store_dword v18, off, s[0:3], 0 offset:328 ; 4-byte Folded Spill
	v_and_b32_e32 v18, 15, v18
	v_and_or_b32 v1, v1, s9, v18
	v_mul_u32_u24_e32 v18, 0x110, v1
	v_mad_u32_u24 v1, v1, s8, v42
	buffer_store_dword v18, off, s[0:3], 0 offset:332 ; 4-byte Folded Spill
	v_lshl_add_u32 v1, v1, 2, 0
	v_add_u32_e32 v18, 56, v243
	buffer_store_dword v1, off, s[0:3], 0 offset:336 ; 4-byte Folded Spill
	v_lshlrev_b32_e32 v1, 1, v18
	buffer_store_dword v18, off, s[0:3], 0 offset:340 ; 4-byte Folded Spill
	v_and_b32_e32 v18, 15, v18
	;; [unrolled: 10-line block ×3, first 2 shown]
	v_and_or_b32 v1, v1, s9, v18
	v_mul_u32_u24_e32 v18, 0x110, v1
	v_mad_u32_u24 v1, v1, s8, v42
	v_readlane_b32 s8, v254, 7
	v_lshl_add_u32 v1, v1, 2, 0
	s_ashr_i32 s9, s8, 31
	s_abs_i32 s8, s8
	buffer_store_dword v1, off, s[0:3], 0 offset:360 ; 4-byte Folded Spill
	v_cvt_f32_u32_e32 v1, s8
	v_writelane_b32 v255, s9, 2
	v_writelane_b32 v255, s8, 3
	s_sub_i32 s8, 0, s8
	v_rcp_iflag_f32_e32 v1, v1
	v_ashrrev_i32_e32 v17, 31, v16
	v_lshlrev_b64 v[54:55], 2, v[16:17]
	v_lshlrev_b32_e32 v52, 4, v0
	v_mul_f32_e32 v1, 0x4f7ffffe, v1
	v_cvt_u32_f32_e32 v1, v1
	v_add_co_u32_e32 v0, vcc, s72, v54
	v_ashrrev_i32_e32 v15, 31, v14
	v_readfirstlane_b32 s9, v1
	s_mul_i32 s8, s8, s9
	s_mul_hi_u32 s8, s9, s8
	s_add_i32 s8, s9, s8
	v_writelane_b32 v255, s8, 4
	v_readlane_b32 s8, v254, 6
	s_ashr_i32 s9, s8, 31
	s_abs_i32 s8, s8
	v_cvt_f32_u32_e32 v1, s8
	v_writelane_b32 v255, s9, 5
	v_writelane_b32 v255, s8, 6
	s_sub_i32 s8, 0, s8
	v_rcp_iflag_f32_e32 v1, v1
	buffer_store_dword v0, off, s[0:3], 0 offset:112 ; 4-byte Folded Spill
	v_mov_b32_e32 v0, s73
	v_addc_co_u32_e32 v0, vcc, v0, v55, vcc
	v_mul_f32_e32 v1, 0x4f7ffffe, v1
	v_cvt_u32_f32_e32 v1, v1
	v_lshlrev_b64 v[56:57], 2, v[14:15]
	buffer_store_dword v0, off, s[0:3], 0 offset:116 ; 4-byte Folded Spill
	v_add_co_u32_e32 v0, vcc, s72, v56
	v_readfirstlane_b32 s9, v1
	s_mul_i32 s8, s8, s9
	s_mul_hi_u32 s8, s9, s8
	s_add_i32 s8, s9, s8
	v_writelane_b32 v255, s8, 7
	v_readlane_b32 s8, v254, 3
	s_ashr_i32 s9, s8, 31
	s_abs_i32 s8, s8
	v_cvt_f32_u32_e32 v1, s8
	v_writelane_b32 v255, s9, 8
	v_writelane_b32 v255, s8, 9
	s_sub_i32 s8, 0, s8
	v_rcp_iflag_f32_e32 v1, v1
	v_ashrrev_i32_e32 v13, 31, v12
	buffer_store_dword v0, off, s[0:3], 0 offset:120 ; 4-byte Folded Spill
	v_mov_b32_e32 v0, s73
	v_mul_f32_e32 v1, 0x4f7ffffe, v1
	v_cvt_u32_f32_e32 v1, v1
	v_addc_co_u32_e32 v0, vcc, v0, v57, vcc
	v_lshlrev_b64 v[58:59], 2, v[12:13]
	v_readfirstlane_b32 s9, v1
	s_mul_i32 s8, s8, s9
	s_mul_hi_u32 s8, s9, s8
	s_add_i32 s8, s9, s8
	buffer_store_dword v0, off, s[0:3], 0 offset:124 ; 4-byte Folded Spill
	v_add_co_u32_e32 v0, vcc, s72, v58
	v_ashrrev_i32_e32 v11, 31, v10
	v_writelane_b32 v255, s8, 10
	s_mov_b32 s8, s42
	buffer_store_dword v0, off, s[0:3], 0 offset:128 ; 4-byte Folded Spill
	v_mov_b32_e32 v0, s73
	v_writelane_b32 v255, s8, 11
	v_addc_co_u32_e32 v0, vcc, v0, v59, vcc
	v_lshlrev_b64 v[60:61], 2, v[10:11]
	v_lshlrev_b32_e32 v3, 2, v42
	v_mul_lo_u32 v4, s66, v80
	v_writelane_b32 v255, s9, 12
	s_abs_i32 s8, s42
	buffer_store_dword v0, off, s[0:3], 0 offset:132 ; 4-byte Folded Spill
	v_add_co_u32_e32 v0, vcc, s72, v60
	v_and_b32_e32 v48, 0x7c, v3
	v_ashrrev_i32_e32 v5, 31, v4
	v_cvt_f32_u32_e32 v1, s8
	buffer_store_dword v0, off, s[0:3], 0 offset:136 ; 4-byte Folded Spill
	v_mov_b32_e32 v0, s73
	v_mul_u32_u24_e32 v2, 0x210, v80
	v_lshlrev_b32_e32 v3, 2, v48
	v_addc_co_u32_e32 v0, vcc, v0, v61, vcc
	v_lshlrev_b64 v[62:63], 2, v[4:5]
	v_add3_u32 v126, 0, v2, v3
	v_add_u32_e32 v2, s15, v4
	buffer_store_dword v0, off, s[0:3], 0 offset:140 ; 4-byte Folded Spill
	v_add_co_u32_e32 v0, vcc, s70, v62
	v_ashrrev_i32_e32 v3, 31, v2
	buffer_store_dword v0, off, s[0:3], 0 offset:144 ; 4-byte Folded Spill
	v_mov_b32_e32 v0, s71
	v_rcp_iflag_f32_e32 v1, v1
	v_addc_co_u32_e32 v0, vcc, v0, v63, vcc
	v_lshlrev_b64 v[64:65], 2, v[2:3]
	v_add_u32_e32 v8, s15, v2
	buffer_store_dword v0, off, s[0:3], 0 offset:148 ; 4-byte Folded Spill
	v_add_co_u32_e32 v0, vcc, s70, v64
	v_ashrrev_i32_e32 v9, 31, v8
	buffer_store_dword v0, off, s[0:3], 0 offset:152 ; 4-byte Folded Spill
	v_mov_b32_e32 v0, s71
	v_addc_co_u32_e32 v0, vcc, v0, v65, vcc
	v_lshlrev_b64 v[66:67], 2, v[8:9]
	v_add_u32_e32 v6, s15, v8
	v_mul_f32_e32 v1, 0x4f7ffffe, v1
	buffer_store_dword v0, off, s[0:3], 0 offset:156 ; 4-byte Folded Spill
	v_add_co_u32_e32 v0, vcc, s70, v66
	v_ashrrev_i32_e32 v7, 31, v6
	v_cvt_u32_f32_e32 v1, v1
	buffer_store_dword v0, off, s[0:3], 0 offset:160 ; 4-byte Folded Spill
	v_mov_b32_e32 v0, s71
	v_addc_co_u32_e32 v0, vcc, v0, v67, vcc
	v_lshlrev_b64 v[68:69], 2, v[6:7]
	v_writelane_b32 v255, s8, 13
	buffer_store_dword v0, off, s[0:3], 0 offset:164 ; 4-byte Folded Spill
	v_add_co_u32_e32 v0, vcc, s70, v68
	s_lshl_b64 s[30:31], s[88:89], 1
	s_sub_i32 s8, 0, s8
	buffer_store_dword v0, off, s[0:3], 0 offset:168 ; 4-byte Folded Spill
	v_mov_b32_e32 v0, s71
	v_writelane_b32 v255, s30, 14
	buffer_store_dword v18, off, s[0:3], 0 offset:356 ; 4-byte Folded Spill
	v_mul_lo_u32 v18, s8, v1
	v_addc_co_u32_e32 v0, vcc, v0, v69, vcc
	v_writelane_b32 v255, s31, 15
	v_lshlrev_b32_e32 v46, 1, v42
	s_mov_b64 s[96:97], src_private_base
	v_mul_hi_u32 v18, v1, v18
	buffer_store_dword v0, off, s[0:3], 0 offset:172 ; 4-byte Folded Spill
	v_mbcnt_lo_u32_b32 v0, -1, 0
	v_writelane_b32 v255, s56, 16
	v_mov_b32_e32 v121, 0
	v_cmp_lt_u32_e64 s[4:5], 63, v42
	v_add_u32_e32 v123, 0, v46
	v_mul_u32_u24_e32 v124, 0x90, v246
	s_mov_b32 s96, 0
	v_cmp_gt_u32_e64 s[6:7], 64, v80
	v_add_u32_e32 v82, 16, v80
	v_add_u32_e32 v128, 0x2100, v126
	v_cmp_gt_u32_e64 s[58:59], 48, v80
	v_add_u32_e32 v84, 32, v80
	v_add_u32_e32 v130, 0x4200, v126
	;; [unrolled: 3-line block ×3, first 2 shown]
	v_cmp_gt_u32_e64 s[12:13], 16, v80
	v_cmp_gt_u32_e64 s[14:15], 64, v88
	;; [unrolled: 1-line block ×9, first 2 shown]
	v_add_u32_e32 v143, 0x4200, v141
	v_add_u32_e32 v144, 32, v141
	;; [unrolled: 1-line block ×7, first 2 shown]
	s_movk_i32 s90, 0x80
	v_add_u32_e32 v159, 0x80, v141
	v_add_u32_e32 v162, 0x4200, v160
	;; [unrolled: 1-line block ×24, first 2 shown]
	v_or_b32_e32 v96, 1, v88
	v_or_b32_e32 v109, 2, v88
	;; [unrolled: 1-line block ×3, first 2 shown]
	v_add_u32_e32 v115, 33, v88
	v_add_u32_e32 v116, 35, v88
	;; [unrolled: 1-line block ×4, first 2 shown]
	s_lshl_b64 s[36:37], s[86:87], 8
	s_lshl_b64 s[8:9], s[66:67], 8
	s_mov_b32 s39, 0x42b17218
	s_mov_b32 s31, 0x3fb8aa3b
	;; [unrolled: 1-line block ×5, first 2 shown]
	s_movk_i32 s89, 0x47
	v_mov_b32_e32 v110, 0x7f800000
	v_mbcnt_hi_u32_b32 v232, -1, v0
	v_writelane_b32 v255, s47, 17
	buffer_store_dword v19, off, s[0:3], 0 offset:308 ; 4-byte Folded Spill
	buffer_store_dword v1, off, s[0:3], 0 offset:16 ; 4-byte Folded Spill
	;; [unrolled: 1-line block ×17, first 2 shown]
	s_branch .LBB29_14
.LBB29_12:                              ;   in Loop: Header=BB29_14 Depth=1
	s_or_b64 exec, exec, s[40:41]
	s_barrier
.LBB29_13:                              ;   in Loop: Header=BB29_14 Depth=1
	v_readlane_b32 s42, v254, 1
	s_add_i32 s34, s94, s42
	s_abs_i32 s40, s34
	v_readlane_b32 s47, v255, 17
	s_mul_hi_u32 s41, s40, s47
	s_mul_i32 s41, s41, s95
	s_sub_i32 s40, s40, s41
	s_ashr_i32 s38, s34, 31
	s_sub_i32 s41, s40, s95
	s_cmp_ge_u32 s40, s95
	s_cselect_b32 s40, s41, s40
	s_sub_i32 s41, s40, s95
	s_cmp_ge_u32 s40, s95
	s_cselect_b32 s40, s41, s40
	s_xor_b32 s40, s40, s38
	s_sub_i32 s38, s38, s40
	s_add_i32 s94, s34, s38
	v_readlane_b32 s40, v254, 10
	s_sub_i32 s34, s40, s94
	s_min_i32 s92, s42, s34
	v_readlane_b32 s41, v254, 11
	s_cmp_gt_i32 s40, s94
	s_cselect_b64 s[40:41], -1, 0
	s_cmp_le_i32 s42, s34
	s_cselect_b64 s[42:43], -1, 0
	s_and_b64 s[42:43], s[42:43], s[40:41]
	s_mov_b32 s48, 0
	s_and_b64 vcc, exec, s[42:43]
	s_waitcnt vmcnt(63) expcnt(7) lgkmcnt(15)
	s_cbranch_vccz .LBB29_474
.LBB29_14:                              ; =>This Loop Header: Depth=1
                                        ;     Child Loop BB29_290 Depth 2
                                        ;     Child Loop BB29_57 Depth 2
	s_ashr_i32 s34, s94, 31
	v_readlane_b32 s38, v255, 2
	s_xor_b32 s34, s34, s38
	s_abs_i32 s38, s94
	v_readlane_b32 s40, v255, 4
	s_mul_hi_u32 s40, s38, s40
	v_readlane_b32 s43, v255, 3
	s_mul_i32 s41, s40, s43
	s_sub_i32 s38, s38, s41
	s_add_i32 s41, s40, 1
	s_sub_i32 s42, s38, s43
	s_cmp_ge_u32 s38, s43
	s_cselect_b32 s40, s41, s40
	s_cselect_b32 s38, s42, s38
	s_add_i32 s41, s40, 1
	s_cmp_ge_u32 s38, s43
	s_cselect_b32 s38, s41, s40
	s_xor_b32 s38, s38, s34
	v_readlane_b32 s40, v254, 43
	s_sub_i32 s49, s38, s34
	v_readlane_b32 s41, v254, 44
	s_andn2_b64 vcc, exec, s[40:41]
	s_ashr_i32 s50, s49, 31
	s_cbranch_vccnz .LBB29_16
; %bb.15:                               ;   in Loop: Header=BB29_14 Depth=1
	buffer_load_dword v0, off, s[0:3], 0 offset:16 ; 4-byte Folded Reload
	s_abs_i32 s34, s49
	v_readlane_b32 s38, v255, 13
	v_readlane_b32 s40, v254, 15
	;; [unrolled: 1-line block ×19, first 2 shown]
	s_waitcnt vmcnt(0)
	v_mul_hi_u32 v0, s34, v0
	v_mul_lo_u32 v0, v0, s38
	v_sub_u32_e32 v0, s34, v0
	v_subrev_u32_e32 v1, s38, v0
	v_cmp_le_u32_e32 vcc, s38, v0
	v_cndmask_b32_e32 v0, v0, v1, vcc
	v_subrev_u32_e32 v1, s38, v0
	v_cmp_le_u32_e32 vcc, s38, v0
	v_cndmask_b32_e32 v0, v0, v1, vcc
	v_xor_b32_e32 v0, s50, v0
	v_subrev_u32_e32 v0, s50, v0
	v_ashrrev_i32_e32 v1, 31, v0
	v_mul_lo_u32 v2, v0, s41
	v_mul_hi_u32 v3, v0, s40
	v_add_u32_e32 v2, v3, v2
	v_mul_lo_u32 v1, v1, s40
	v_mul_lo_u32 v0, v0, s40
	v_add_u32_e32 v1, v2, v1
	v_mov_b32_e32 v2, s75
	v_add_co_u32_e32 v72, vcc, s74, v0
	v_addc_co_u32_e32 v73, vcc, v2, v1, vcc
	s_branch .LBB29_17
.LBB29_16:                              ;   in Loop: Header=BB29_14 Depth=1
	v_pk_mov_b32 v[72:73], 0, 0
.LBB29_17:                              ;   in Loop: Header=BB29_14 Depth=1
	v_readlane_b32 s34, v254, 7
	s_mul_i32 s34, s49, s34
	s_sub_i32 s34, s94, s34
	s_ashr_i32 s38, s34, 31
	v_readlane_b32 s40, v255, 5
	s_xor_b32 s38, s38, s40
	s_abs_i32 s40, s34
	v_readlane_b32 s41, v255, 7
	s_mul_hi_u32 s41, s40, s41
	v_readlane_b32 s44, v255, 6
	s_mul_i32 s42, s41, s44
	s_sub_i32 s40, s40, s42
	s_add_i32 s42, s41, 1
	s_sub_i32 s43, s40, s44
	s_cmp_ge_u32 s40, s44
	s_cselect_b32 s41, s42, s41
	s_cselect_b32 s40, s43, s40
	s_add_i32 s42, s41, 1
	s_cmp_ge_u32 s40, s44
	s_cselect_b32 s40, s42, s41
	s_xor_b32 s40, s40, s38
	s_sub_i32 s51, s40, s38
	v_readlane_b32 s38, v254, 6
	s_mul_i32 s38, s51, s38
	s_sub_i32 s34, s34, s38
	s_ashr_i32 s38, s34, 31
	v_readlane_b32 s40, v255, 8
	s_xor_b32 s38, s38, s40
	s_abs_i32 s40, s34
	v_readlane_b32 s41, v255, 10
	s_mul_hi_u32 s41, s40, s41
	v_readlane_b32 s44, v255, 9
	s_mul_i32 s42, s41, s44
	s_sub_i32 s40, s40, s42
	s_add_i32 s42, s41, 1
	s_sub_i32 s43, s40, s44
	s_cmp_ge_u32 s40, s44
	s_cselect_b32 s41, s42, s41
	s_cselect_b32 s40, s43, s40
	s_add_i32 s42, s41, 1
	s_cmp_ge_u32 s40, s44
	s_cselect_b32 s40, s42, s41
	s_xor_b32 s40, s40, s38
	s_sub_i32 s38, s40, s38
	v_readlane_b32 s40, v254, 2
	s_mul_i32 s40, s51, s40
	s_add_i32 s46, s40, s38
	v_readlane_b32 s40, v254, 52
	v_readlane_b32 s41, v254, 53
	s_andn2_b64 vcc, exec, s[40:41]
	v_mov_b32_e32 v70, 1.0
	s_cbranch_vccnz .LBB29_19
; %bb.18:                               ;   in Loop: Header=BB29_14 Depth=1
	v_readlane_b32 s41, v254, 12
	s_sub_i32 s40, s46, s41
	s_lshl_b32 s40, s40, 1
	s_add_i32 s42, s46, 1
	s_or_b32 s43, s40, 1
	s_cmp_lt_u32 s46, s41
	v_readlane_b32 s52, v254, 48
	s_cselect_b64 vcc, -1, 0
	v_readlane_b32 s54, v254, 50
	v_readlane_b32 s55, v254, 51
	s_and_b64 s[40:41], vcc, exec
	v_mov_b32_e32 v0, s55
	v_mov_b32_e32 v1, s54
	s_cselect_b32 s40, s42, s43
	v_cndmask_b32_e32 v16, v0, v1, vcc
	v_cvt_f32_i32_e32 v0, s40
	v_cmp_neq_f32_e32 vcc, 1.0, v16
	s_mov_b32 s40, 0x3f2aaaab
	s_movk_i32 s42, 0x204
	v_cndmask_b32_e32 v17, 1.0, v0, vcc
	v_cmp_eq_f32_e32 vcc, 0, v17
	v_cndmask_b32_e64 v18, |v16|, 1.0, vcc
	v_frexp_mant_f32_e32 v0, v18
	v_cmp_gt_f32_e64 s[40:41], s40, v0
	v_cndmask_b32_e64 v1, 1.0, 2.0, s[40:41]
	v_mul_f32_e32 v0, v0, v1
	v_add_f32_e32 v3, 1.0, v0
	v_rcp_f32_e32 v8, v3
	v_add_f32_e32 v1, -1.0, v3
	v_sub_f32_e32 v5, v0, v1
	v_add_f32_e32 v1, -1.0, v0
	v_mul_f32_e32 v9, v1, v8
	v_mul_f32_e32 v2, v3, v9
	v_fma_f32 v4, v9, v3, -v2
	v_fmac_f32_e32 v4, v9, v5
	v_add_f32_e32 v0, v2, v4
	v_sub_f32_e32 v3, v1, v0
	v_pk_add_f32 v[6:7], v[0:1], v[2:3] neg_lo:[0,1] neg_hi:[0,1]
	v_mov_b32_e32 v5, v0
	v_pk_add_f32 v[0:1], v[6:7], v[4:5] neg_lo:[0,1] neg_hi:[0,1]
	v_add_f32_e32 v0, v0, v1
	v_add_f32_e32 v0, v3, v0
	v_mul_f32_e32 v1, v8, v0
	v_add_f32_e32 v0, v9, v1
	v_sub_f32_e32 v2, v0, v9
	v_sub_f32_e32 v10, v1, v2
	v_mul_f32_e32 v1, v0, v0
	v_fma_f32 v3, v0, v0, -v1
	v_add_f32_e32 v2, v10, v10
	v_fmac_f32_e32 v3, v0, v2
	v_add_f32_e32 v2, v1, v3
	v_mov_b32_e32 v4, 0x3e91f4c4
	v_fmac_f32_e32 v4, 0x3e76c4e1, v2
	v_mov_b32_e32 v5, 0x3ecccdef
	v_fma_f32 v4, v2, v4, v5
	v_sub_f32_e32 v1, v2, v1
	v_sub_f32_e32 v11, v3, v1
	v_mul_f32_e32 v1, v2, v4
	v_fma_f32 v3, v2, v4, -v1
	v_fmac_f32_e32 v3, v11, v4
	v_add_f32_e32 v4, v1, v3
	v_add_f32_e32 v5, 0x3f2aaaaa, v4
	v_sub_f32_e32 v1, v4, v1
	v_sub_f32_e32 v1, v3, v1
	v_add_f32_e32 v3, 0xbf2aaaaa, v5
	v_add_f32_e32 v1, 0x31739010, v1
	v_sub_f32_e32 v3, v4, v3
	v_pk_mul_f32 v[6:7], v[0:1], v[2:3]
	v_fma_f32 v4, v2, v0, -v6
	v_pk_add_f32 v[8:9], v[0:1], v[2:3]
	v_fmac_f32_e32 v4, v2, v10
	v_mov_b32_e32 v7, v9
	v_fmac_f32_e32 v4, v11, v0
	v_pk_add_f32 v[2:3], v[6:7], v[4:5]
	v_sub_f32_e32 v1, v2, v6
	v_sub_f32_e32 v1, v4, v1
	;; [unrolled: 1-line block ×3, first 2 shown]
	v_add_f32_e32 v8, v9, v4
	v_mov_b32_e32 v4, v3
	v_pk_mul_f32 v[4:5], v[2:3], v[4:5]
	v_cvt_f64_f32_e32 v[6:7], v18
	v_frexp_exp_i32_f64_e32 v5, v[6:7]
	v_subbrev_co_u32_e64 v5, s[40:41], 0, v5, s[40:41]
	v_cvt_f32_i32_e32 v5, v5
	v_fma_f32 v6, v2, v3, -v4
	v_fmac_f32_e32 v6, v2, v8
	s_mov_b32 s40, 0x3f317218
	v_mul_f32_e32 v2, 0x3f317218, v5
	v_fmac_f32_e32 v6, v1, v3
	v_fma_f32 v8, v5, s40, -v2
	v_fmac_f32_e32 v8, 0xb102e308, v5
	v_ldexp_f32 v9, v0, 1
	v_add_f32_e32 v3, v4, v6
	v_pk_add_f32 v[0:1], v[2:3], v[8:9]
	v_ldexp_f32 v12, v10, 1
	v_mov_b32_e32 v10, v3
	v_mov_b32_e32 v11, v1
	;; [unrolled: 1-line block ×3, first 2 shown]
	v_pk_add_f32 v[4:5], v[10:11], v[4:5] neg_lo:[0,1] neg_hi:[0,1]
	v_mov_b32_e32 v7, v3
	v_pk_add_f32 v[4:5], v[6:7], v[4:5] neg_lo:[0,1] neg_hi:[0,1]
	v_add_f32_e32 v3, v12, v4
	v_add_f32_e32 v3, v3, v5
	v_pk_add_f32 v[4:5], v[0:1], v[2:3] neg_lo:[0,1] neg_hi:[0,1]
	v_pk_add_f32 v[6:7], v[0:1], v[2:3]
	v_mov_b32_e32 v10, v4
	v_mov_b32_e32 v11, v7
	;; [unrolled: 1-line block ×3, first 2 shown]
	v_pk_add_f32 v[10:11], v[8:9], v[10:11]
	v_mov_b32_e32 v2, v11
	v_pk_add_f32 v[12:13], v[2:3], v[0:1] neg_lo:[0,1] neg_hi:[0,1]
	v_mov_b32_e32 v13, v12
	v_mov_b32_e32 v10, v7
	;; [unrolled: 1-line block ×4, first 2 shown]
	v_pk_add_f32 v[4:5], v[8:9], v[4:5] neg_lo:[0,1] neg_hi:[0,1]
	v_pk_add_f32 v[14:15], v[6:7], v[12:13] neg_lo:[0,1] neg_hi:[0,1]
	;; [unrolled: 1-line block ×3, first 2 shown]
	v_mov_b32_e32 v8, v3
	v_pk_add_f32 v[0:1], v[8:9], v[0:1] neg_lo:[0,1] neg_hi:[0,1]
	v_mov_b32_e32 v14, v4
	v_pk_add_f32 v[6:7], v[14:15], v[0:1]
	v_mov_b32_e32 v8, v7
	v_pk_add_f32 v[8:9], v[6:7], v[8:9]
	v_pk_add_f32 v[2:3], v[2:3], v[8:9]
	v_mov_b32_e32 v5, v11
	v_mov_b32_e32 v7, v2
	v_pk_add_f32 v[10:11], v[6:7], v[4:5] neg_lo:[0,1] neg_hi:[0,1]
	v_mov_b32_e32 v1, v8
	v_sub_f32_e32 v3, v6, v10
	v_pk_add_f32 v[0:1], v[0:1], v[10:11] neg_lo:[0,1] neg_hi:[0,1]
	v_sub_f32_e32 v3, v4, v3
	v_add_f32_e32 v0, v0, v3
	v_add_f32_e32 v0, v0, v1
	;; [unrolled: 1-line block ×3, first 2 shown]
	v_sub_f32_e32 v2, v1, v2
	v_sub_f32_e32 v0, v0, v2
	v_mul_f32_e32 v2, v17, v1
	v_fma_f32 v1, v17, v1, -v2
	v_fmac_f32_e32 v1, v17, v0
	v_add_f32_e32 v0, v2, v1
	v_cmp_class_f32_e64 s[40:41], v2, s42
	v_sub_f32_e32 v3, v0, v2
	v_cndmask_b32_e64 v0, v0, v2, s[40:41]
	v_cmp_eq_f32_e64 s[40:41], s39, v0
	v_mov_b32_e32 v2, 0x37000000
	v_cndmask_b32_e64 v2, 0, v2, s[40:41]
	v_sub_f32_e32 v1, v1, v3
	v_sub_f32_e32 v3, v0, v2
	v_mul_f32_e32 v4, 0x3fb8aa3b, v3
	v_fma_f32 v5, v3, s31, -v4
	v_rndne_f32_e32 v6, v4
	v_fmac_f32_e32 v5, 0x32a5705f, v3
	v_sub_f32_e32 v4, v4, v6
	v_add_f32_e32 v4, v4, v5
	v_exp_f32_e32 v4, v4
	v_cvt_i32_f32_e32 v5, v6
	s_mov_b32 s43, 0x7f800000
	v_cmp_neq_f32_e64 s[40:41], |v0|, s43
	v_cndmask_b32_e64 v0, 0, v1, s[40:41]
	v_ldexp_f32 v1, v4, v5
	v_cmp_ngt_f32_e64 s[40:41], s85, v3
	v_cndmask_b32_e64 v1, 0, v1, s[40:41]
	v_cmp_nlt_f32_e64 s[40:41], s39, v3
	v_add_f32_e32 v0, v2, v0
	v_cndmask_b32_e64 v1, v110, v1, s[40:41]
	v_fma_f32 v0, v1, v0, v1
	v_cmp_class_f32_e64 s[40:41], v1, s42
	v_trunc_f32_e32 v2, v17
	v_cndmask_b32_e64 v0, v0, v1, s[40:41]
	v_cndmask_b32_e64 v1, v16, 1.0, vcc
	v_cmp_eq_f32_e32 vcc, v2, v17
	v_mul_f32_e32 v2, 0.5, v17
	v_trunc_f32_e32 v3, v2
	v_cmp_neq_f32_e64 s[40:41], v3, v2
	s_and_b64 s[40:41], vcc, s[40:41]
	v_cndmask_b32_e64 v2, 1.0, v1, s[40:41]
	s_brev_b32 s52, -2
	v_bfi_b32 v0, s52, v0, v2
	v_mov_b32_e32 v4, 0x7fc00000
	v_cndmask_b32_e32 v2, v4, v0, vcc
	v_cmp_gt_f32_e32 vcc, 0, v1
	v_cndmask_b32_e32 v0, v0, v2, vcc
	v_cmp_eq_f32_e32 vcc, s43, v18
	v_cmp_eq_f32_e64 s[42:43], 0, v1
	v_cmp_gt_f32_e64 s[44:45], 0, v17
	s_xor_b64 s[44:45], s[44:45], s[42:43]
	v_cndmask_b32_e64 v2, v110, 0, s[44:45]
	v_cndmask_b32_e64 v3, 0, v1, s[40:41]
	v_bfi_b32 v2, s52, v2, v3
	s_or_b64 vcc, vcc, s[42:43]
	v_cndmask_b32_e32 v0, v0, v2, vcc
	v_cmp_o_f32_e32 vcc, v1, v1
	v_cndmask_b32_e32 v70, v4, v0, vcc
	v_readlane_b32 s53, v254, 49
.LBB29_19:                              ;   in Loop: Header=BB29_14 Depth=1
	v_readlane_b32 s40, v254, 3
	s_mul_i32 s38, s38, s40
	s_sub_i32 s34, s34, s38
	s_ashr_i32 s38, s34, 31
	v_readlane_b32 s40, v254, 23
	s_abs_i32 s34, s34
	s_xor_b32 s38, s38, s40
	s_mul_hi_u32 s40, s34, s47
	s_mul_i32 s41, s40, s95
	s_sub_i32 s34, s34, s41
	s_add_i32 s41, s40, 1
	s_sub_i32 s42, s34, s95
	s_cmp_ge_u32 s34, s95
	s_cselect_b32 s40, s41, s40
	s_cselect_b32 s34, s42, s34
	s_add_i32 s41, s40, 1
	s_cmp_ge_u32 s34, s95
	s_cselect_b32 s34, s41, s40
	v_readlane_b32 s40, v254, 54
	s_xor_b32 s34, s34, s38
	v_readlane_b32 s41, v254, 55
	s_andn2_b64 vcc, exec, s[40:41]
	s_sub_i32 s93, s34, s38
	s_cbranch_vccnz .LBB29_21
; %bb.20:                               ;   in Loop: Header=BB29_14 Depth=1
	v_readlane_b32 s34, v254, 0
	s_mul_i32 s34, s49, s34
	s_add_i32 s40, s93, s34
	s_ashr_i32 s41, s40, 31
	v_readlane_b32 s68, v254, 24
	s_lshl_b64 s[40:41], s[40:41], 2
	v_readlane_b32 s78, v254, 34
	v_readlane_b32 s79, v254, 35
	s_add_u32 s40, s78, s40
	s_addc_u32 s41, s79, s41
	global_load_dword v0, v121, s[40:41]
	v_readlane_b32 s69, v254, 25
	v_readlane_b32 s70, v254, 26
	;; [unrolled: 1-line block ×13, first 2 shown]
	s_waitcnt vmcnt(0)
	v_readfirstlane_b32 s34, v0
	s_ashr_i32 s38, s34, 31
	s_lshr_b32 s38, s38, 26
	s_add_i32 s34, s34, s38
	s_ashr_i32 s34, s34, 6
	s_min_i32 s92, s92, s34
	s_branch .LBB29_22
.LBB29_21:                              ;   in Loop: Header=BB29_14 Depth=1
	v_readlane_b32 s68, v254, 24
	v_readlane_b32 s69, v254, 25
	;; [unrolled: 1-line block ×16, first 2 shown]
.LBB29_22:                              ;   in Loop: Header=BB29_14 Depth=1
	v_readlane_b32 s34, v254, 45
	s_mul_i32 s34, s34, s49
	s_add_i32 s34, s46, s34
	s_lshl_b32 s34, s34, 7
	s_lshl_b64 s[40:41], s[34:35], 3
	s_add_u32 s34, s80, s40
	v_writelane_b32 v255, s34, 18
	s_addc_u32 s34, s81, s41
	v_readlane_b32 s40, v254, 13
	v_readlane_b32 s41, v254, 14
	v_writelane_b32 v255, s34, 19
	s_mul_i32 s34, s49, s41
	s_mul_hi_u32 s38, s49, s40
	s_add_i32 s34, s38, s34
	s_mul_i32 s38, s50, s40
	v_readlane_b32 s52, v254, 19
	s_add_i32 s34, s34, s38
	s_mul_i32 s74, s49, s40
	v_readlane_b32 s55, v254, 22
	s_add_u32 s38, s72, s74
	s_mul_i32 s75, s51, s55
	s_addc_u32 s40, s73, s34
	s_ashr_i32 s79, s75, 31
	s_add_u32 s91, s38, s75
	s_addc_u32 s38, s40, s79
	s_ashr_i32 s47, s46, 31
	s_lshl_b64 s[40:41], s[46:47], 2
	s_add_u32 s42, s76, s40
	s_addc_u32 s43, s77, s41
	v_readlane_b32 s40, v254, 46
	v_readlane_b32 s41, v254, 47
	s_and_b64 s[40:41], s[40:41], exec
	s_cselect_b32 s73, 0, s43
	s_cselect_b32 s72, 0, s42
	v_readlane_b32 s42, v254, 8
	v_readlane_b32 s43, v254, 9
	s_mul_i32 s40, s49, s43
	s_ashr_i32 s41, s40, 31
	s_add_u32 s40, s68, s40
	s_mul_i32 s42, s46, s42
	v_readlane_b32 s53, v254, 20
	s_addc_u32 s41, s69, s41
	s_ashr_i32 s43, s42, 31
	s_mov_b64 s[44:45], s[52:53]
	s_add_u32 s83, s40, s42
	s_addc_u32 s82, s41, s43
	s_mul_i32 s40, s49, s45
	s_mul_hi_u32 s41, s49, s44
	s_add_i32 s40, s41, s40
	s_mul_i32 s50, s50, s44
	v_readlane_b32 s42, v254, 17
	s_add_i32 s76, s40, s50
	s_mul_i32 s80, s49, s44
	v_readlane_b32 s43, v254, 18
	s_add_u32 s40, s70, s80
	s_mul_i32 s77, s51, s43
	s_addc_u32 s41, s71, s76
	s_ashr_i32 s78, s77, 31
	s_add_u32 s68, s40, s77
	s_addc_u32 s69, s41, s78
	s_cmp_lg_u32 s48, 0
	v_readlane_b32 s54, v254, 21
	s_cbranch_scc0 .LBB29_67
; %bb.23:                               ;   in Loop: Header=BB29_14 Depth=1
	s_lshl_b32 s81, s93, 6
	v_add_u32_e32 v1, s81, v246
	v_cmp_le_i32_e32 vcc, s84, v1
	s_and_saveexec_b64 s[40:41], vcc
	s_xor_b64 s[40:41], exec, s[40:41]
	s_cbranch_execz .LBB29_25
; %bb.24:                               ;   in Loop: Header=BB29_14 Depth=1
	s_waitcnt vmcnt(0)
	ds_write2st64_b32 v247, v121, v121 offset1:1
.LBB29_25:                              ;   in Loop: Header=BB29_14 Depth=1
	s_andn2_saveexec_b64 s[40:41], s[40:41]
	s_cbranch_execz .LBB29_27
; %bb.26:                               ;   in Loop: Header=BB29_14 Depth=1
	v_mad_u64_u32 v[2:3], s[42:43], v1, s56, v[42:43]
	v_ashrrev_i32_e32 v3, 31, v2
	v_lshlrev_b64 v[2:3], 3, v[2:3]
	v_add_co_u32_e32 v2, vcc, s83, v2
	v_mov_b32_e32 v0, s82
	v_addc_co_u32_e32 v3, vcc, v0, v3, vcc
	global_load_dwordx2 v[4:5], v[2:3], off
	s_waitcnt vmcnt(0)
	v_cvt_f16_f32_e32 v0, v4
	global_load_dwordx2 v[2:3], v[2:3], off offset:512
	v_cvt_f16_f32_e32 v4, v5
	v_pack_b32_f16 v0, v0, v4
	v_pk_mul_f16 v0, v113, v0
	s_waitcnt vmcnt(0)
	v_cvt_f16_f32_e32 v2, v2
	v_cvt_f16_f32_e32 v3, v3
	v_pack_b32_f16 v2, v2, v3
	v_pk_mul_f16 v2, v113, v2
	ds_write2st64_b32 v247, v0, v2 offset1:1
.LBB29_27:                              ;   in Loop: Header=BB29_14 Depth=1
	s_or_b64 exec, exec, s[40:41]
	s_waitcnt vmcnt(1)
	v_add_u32_e32 v43, s81, v227
	v_cmp_le_i32_e32 vcc, s84, v43
	s_and_saveexec_b64 s[40:41], vcc
	s_xor_b64 s[40:41], exec, s[40:41]
	s_cbranch_execz .LBB29_29
; %bb.28:                               ;   in Loop: Header=BB29_14 Depth=1
	ds_write2st64_b32 v228, v121, v121 offset1:1
.LBB29_29:                              ;   in Loop: Header=BB29_14 Depth=1
	s_andn2_saveexec_b64 s[40:41], s[40:41]
	s_cbranch_execz .LBB29_31
; %bb.30:                               ;   in Loop: Header=BB29_14 Depth=1
	v_mad_u64_u32 v[2:3], s[42:43], v43, s56, v[42:43]
	v_ashrrev_i32_e32 v3, 31, v2
	v_lshlrev_b64 v[2:3], 3, v[2:3]
	v_add_co_u32_e32 v2, vcc, s83, v2
	v_mov_b32_e32 v0, s82
	v_addc_co_u32_e32 v3, vcc, v0, v3, vcc
	global_load_dwordx2 v[4:5], v[2:3], off
	s_waitcnt vmcnt(0)
	v_cvt_f16_f32_e32 v0, v4
	global_load_dwordx2 v[2:3], v[2:3], off offset:512
	v_cvt_f16_f32_e32 v4, v5
	v_pack_b32_f16 v0, v0, v4
	v_pk_mul_f16 v0, v113, v0
	s_waitcnt vmcnt(0)
	v_cvt_f16_f32_e32 v2, v2
	v_cvt_f16_f32_e32 v3, v3
	v_pack_b32_f16 v2, v2, v3
	v_pk_mul_f16 v2, v113, v2
	ds_write2st64_b32 v228, v0, v2 offset1:1
.LBB29_31:                              ;   in Loop: Header=BB29_14 Depth=1
	s_or_b64 exec, exec, s[40:41]
	v_add_u32_e32 v47, s81, v120
	v_cmp_le_i32_e32 vcc, s84, v47
	s_and_saveexec_b64 s[40:41], vcc
	s_xor_b64 s[40:41], exec, s[40:41]
	s_cbranch_execz .LBB29_33
; %bb.32:                               ;   in Loop: Header=BB29_14 Depth=1
	v_add_u32_e32 v0, 0x80, v228
	ds_write2st64_b32 v0, v121, v121 offset0:16 offset1:17
.LBB29_33:                              ;   in Loop: Header=BB29_14 Depth=1
	s_andn2_saveexec_b64 s[40:41], s[40:41]
	s_cbranch_execz .LBB29_35
; %bb.34:                               ;   in Loop: Header=BB29_14 Depth=1
	v_mad_u64_u32 v[2:3], s[42:43], v47, s56, v[42:43]
	v_ashrrev_i32_e32 v3, 31, v2
	v_lshlrev_b64 v[2:3], 3, v[2:3]
	v_add_co_u32_e32 v2, vcc, s83, v2
	v_mov_b32_e32 v0, s82
	v_addc_co_u32_e32 v3, vcc, v0, v3, vcc
	global_load_dwordx2 v[4:5], v[2:3], off
	s_waitcnt vmcnt(0)
	v_cvt_f16_f32_e32 v0, v4
	global_load_dwordx2 v[2:3], v[2:3], off offset:512
	v_cvt_f16_f32_e32 v4, v5
	v_pack_b32_f16 v0, v0, v4
	v_pk_mul_f16 v0, v113, v0
	s_waitcnt vmcnt(0)
	v_cvt_f16_f32_e32 v2, v2
	v_cvt_f16_f32_e32 v3, v3
	v_pack_b32_f16 v2, v2, v3
	v_pk_mul_f16 v2, v113, v2
	v_add_u32_e32 v3, 0x80, v228
	ds_write2st64_b32 v3, v0, v2 offset0:16 offset1:17
.LBB29_35:                              ;   in Loop: Header=BB29_14 Depth=1
	s_or_b64 exec, exec, s[40:41]
	v_add_u32_e32 v49, s81, v119
	v_cmp_le_i32_e32 vcc, s84, v49
	s_and_saveexec_b64 s[40:41], vcc
	s_xor_b64 s[40:41], exec, s[40:41]
	s_cbranch_execz .LBB29_37
; %bb.36:                               ;   in Loop: Header=BB29_14 Depth=1
	ds_write2st64_b32 v228, v121, v121 offset0:33 offset1:34
.LBB29_37:                              ;   in Loop: Header=BB29_14 Depth=1
	s_andn2_saveexec_b64 s[40:41], s[40:41]
	s_cbranch_execz .LBB29_39
; %bb.38:                               ;   in Loop: Header=BB29_14 Depth=1
	v_mad_u64_u32 v[2:3], s[42:43], v49, s56, v[42:43]
	v_ashrrev_i32_e32 v3, 31, v2
	v_lshlrev_b64 v[2:3], 3, v[2:3]
	v_add_co_u32_e32 v2, vcc, s83, v2
	v_mov_b32_e32 v0, s82
	v_addc_co_u32_e32 v3, vcc, v0, v3, vcc
	global_load_dwordx2 v[4:5], v[2:3], off
	s_waitcnt vmcnt(0)
	v_cvt_f16_f32_e32 v0, v4
	global_load_dwordx2 v[2:3], v[2:3], off offset:512
	v_cvt_f16_f32_e32 v4, v5
	v_pack_b32_f16 v0, v0, v4
	v_pk_mul_f16 v0, v113, v0
	s_waitcnt vmcnt(0)
	v_cvt_f16_f32_e32 v2, v2
	v_cvt_f16_f32_e32 v3, v3
	v_pack_b32_f16 v2, v2, v3
	v_pk_mul_f16 v2, v113, v2
	ds_write2st64_b32 v228, v0, v2 offset0:33 offset1:34
.LBB29_39:                              ;   in Loop: Header=BB29_14 Depth=1
	s_or_b64 exec, exec, s[40:41]
	v_add_u32_e32 v45, s81, v118
	v_cmp_le_i32_e32 vcc, s84, v45
	s_and_saveexec_b64 s[40:41], vcc
	s_xor_b64 s[40:41], exec, s[40:41]
	s_cbranch_execz .LBB29_41
; %bb.40:                               ;   in Loop: Header=BB29_14 Depth=1
	v_add_u32_e32 v0, 0x80, v228
	ds_write2st64_b32 v0, v121, v121 offset0:49 offset1:50
.LBB29_41:                              ;   in Loop: Header=BB29_14 Depth=1
	s_andn2_saveexec_b64 s[40:41], s[40:41]
	s_cbranch_execz .LBB29_43
; %bb.42:                               ;   in Loop: Header=BB29_14 Depth=1
	v_mad_u64_u32 v[2:3], s[42:43], v45, s56, v[42:43]
	v_ashrrev_i32_e32 v3, 31, v2
	v_lshlrev_b64 v[2:3], 3, v[2:3]
	v_add_co_u32_e32 v2, vcc, s83, v2
	v_mov_b32_e32 v0, s82
	v_addc_co_u32_e32 v3, vcc, v0, v3, vcc
	global_load_dwordx2 v[4:5], v[2:3], off
	s_waitcnt vmcnt(0)
	v_cvt_f16_f32_e32 v0, v4
	global_load_dwordx2 v[2:3], v[2:3], off offset:512
	v_cvt_f16_f32_e32 v4, v5
	v_pack_b32_f16 v0, v0, v4
	v_pk_mul_f16 v0, v113, v0
	s_waitcnt vmcnt(0)
	v_cvt_f16_f32_e32 v2, v2
	v_cvt_f16_f32_e32 v3, v3
	v_pack_b32_f16 v2, v2, v3
	v_pk_mul_f16 v2, v113, v2
	v_add_u32_e32 v3, 0x80, v228
	ds_write2st64_b32 v3, v0, v2 offset0:49 offset1:50
.LBB29_43:                              ;   in Loop: Header=BB29_14 Depth=1
	s_or_b64 exec, exec, s[40:41]
	v_add_u32_e32 v53, s81, v134
	v_cmp_le_i32_e32 vcc, s84, v53
	s_and_saveexec_b64 s[40:41], vcc
	s_xor_b64 s[40:41], exec, s[40:41]
	s_cbranch_execz .LBB29_45
; %bb.44:                               ;   in Loop: Header=BB29_14 Depth=1
	ds_write2st64_b32 v228, v121, v121 offset0:66 offset1:67
.LBB29_45:                              ;   in Loop: Header=BB29_14 Depth=1
	s_andn2_saveexec_b64 s[40:41], s[40:41]
	s_cbranch_execz .LBB29_47
; %bb.46:                               ;   in Loop: Header=BB29_14 Depth=1
	v_mad_u64_u32 v[2:3], s[42:43], v53, s56, v[42:43]
	v_ashrrev_i32_e32 v3, 31, v2
	v_lshlrev_b64 v[2:3], 3, v[2:3]
	v_add_co_u32_e32 v2, vcc, s83, v2
	v_mov_b32_e32 v0, s82
	v_addc_co_u32_e32 v3, vcc, v0, v3, vcc
	global_load_dwordx2 v[4:5], v[2:3], off
	s_waitcnt vmcnt(0)
	v_cvt_f16_f32_e32 v0, v4
	global_load_dwordx2 v[2:3], v[2:3], off offset:512
	v_cvt_f16_f32_e32 v4, v5
	v_pack_b32_f16 v0, v0, v4
	v_pk_mul_f16 v0, v113, v0
	s_waitcnt vmcnt(0)
	v_cvt_f16_f32_e32 v2, v2
	v_cvt_f16_f32_e32 v3, v3
	v_pack_b32_f16 v2, v2, v3
	v_pk_mul_f16 v2, v113, v2
	ds_write2st64_b32 v228, v0, v2 offset0:66 offset1:67
.LBB29_47:                              ;   in Loop: Header=BB29_14 Depth=1
	s_or_b64 exec, exec, s[40:41]
	v_add_u32_e32 v92, s81, v125
	v_cmp_le_i32_e32 vcc, s84, v92
	s_and_saveexec_b64 s[40:41], vcc
	s_xor_b64 s[40:41], exec, s[40:41]
	s_cbranch_execz .LBB29_49
; %bb.48:                               ;   in Loop: Header=BB29_14 Depth=1
	v_add_u32_e32 v0, 0x80, v228
	ds_write2st64_b32 v0, v121, v121 offset0:82 offset1:83
.LBB29_49:                              ;   in Loop: Header=BB29_14 Depth=1
	s_andn2_saveexec_b64 s[40:41], s[40:41]
	s_cbranch_execz .LBB29_51
; %bb.50:                               ;   in Loop: Header=BB29_14 Depth=1
	v_mad_u64_u32 v[2:3], s[42:43], v92, s56, v[42:43]
	v_ashrrev_i32_e32 v3, 31, v2
	v_lshlrev_b64 v[2:3], 3, v[2:3]
	v_add_co_u32_e32 v2, vcc, s83, v2
	v_mov_b32_e32 v0, s82
	v_addc_co_u32_e32 v3, vcc, v0, v3, vcc
	global_load_dwordx2 v[4:5], v[2:3], off
	s_waitcnt vmcnt(0)
	v_cvt_f16_f32_e32 v0, v4
	global_load_dwordx2 v[2:3], v[2:3], off offset:512
	v_cvt_f16_f32_e32 v4, v5
	v_pack_b32_f16 v0, v0, v4
	v_pk_mul_f16 v0, v113, v0
	s_waitcnt vmcnt(0)
	v_cvt_f16_f32_e32 v2, v2
	v_cvt_f16_f32_e32 v3, v3
	v_pack_b32_f16 v2, v2, v3
	v_pk_mul_f16 v2, v113, v2
	v_add_u32_e32 v3, 0x80, v228
	ds_write2st64_b32 v3, v0, v2 offset0:82 offset1:83
.LBB29_51:                              ;   in Loop: Header=BB29_14 Depth=1
	s_or_b64 exec, exec, s[40:41]
	v_add_u32_e32 v93, s81, v138
	v_cmp_le_i32_e32 vcc, s84, v93
	s_and_saveexec_b64 s[40:41], vcc
	s_xor_b64 s[40:41], exec, s[40:41]
	s_cbranch_execz .LBB29_53
; %bb.52:                               ;   in Loop: Header=BB29_14 Depth=1
	ds_write2st64_b32 v228, v121, v121 offset0:99 offset1:100
.LBB29_53:                              ;   in Loop: Header=BB29_14 Depth=1
	s_andn2_saveexec_b64 s[40:41], s[40:41]
	s_cbranch_execz .LBB29_55
; %bb.54:                               ;   in Loop: Header=BB29_14 Depth=1
	v_mad_u64_u32 v[2:3], s[42:43], v93, s56, v[42:43]
	v_ashrrev_i32_e32 v3, 31, v2
	v_lshlrev_b64 v[2:3], 3, v[2:3]
	v_add_co_u32_e32 v2, vcc, s83, v2
	v_mov_b32_e32 v0, s82
	v_addc_co_u32_e32 v3, vcc, v0, v3, vcc
	global_load_dwordx2 v[4:5], v[2:3], off
	s_waitcnt vmcnt(0)
	v_cvt_f16_f32_e32 v0, v4
	global_load_dwordx2 v[2:3], v[2:3], off offset:512
	v_cvt_f16_f32_e32 v4, v5
	v_pack_b32_f16 v0, v0, v4
	v_pk_mul_f16 v0, v113, v0
	s_waitcnt vmcnt(0)
	v_cvt_f16_f32_e32 v2, v2
	v_cvt_f16_f32_e32 v3, v3
	v_pack_b32_f16 v2, v2, v3
	v_pk_mul_f16 v2, v113, v2
	ds_write2st64_b32 v228, v0, v2 offset0:99 offset1:100
.LBB29_55:                              ;   in Loop: Header=BB29_14 Depth=1
	s_or_b64 exec, exec, s[40:41]
	s_waitcnt lgkmcnt(0)
	s_barrier
	ds_read2_b64 v[30:33], v122 offset1:4
	ds_read2_b64 v[26:29], v122 offset0:8 offset1:12
	ds_read2_b64 v[22:25], v122 offset0:16 offset1:20
	;; [unrolled: 1-line block ×7, first 2 shown]
	s_add_i32 s49, s92, -1
	s_cmp_le_i32 s49, s48
	v_mov_b32_e32 v51, 0
	s_waitcnt lgkmcnt(0)
	s_barrier
	s_cbranch_scc1 .LBB29_68
; %bb.56:                               ;   in Loop: Header=BB29_14 Depth=1
	v_lshlrev_b32_e32 v0, 1, v42
	v_add_co_u32_e32 v95, vcc, v72, v0
	v_mul_hi_u32 v0, s98, v1
	v_add_u32_e32 v0, v1, v0
	v_lshrrev_b32_e32 v0, s99, v0
	v_mul_lo_u32 v0, v0, s84
	v_sub_u32_e32 v0, v1, v0
	v_mad_i64_i32 v[34:35], s[42:43], v0, s88, 0
	v_mul_hi_u32 v0, s98, v43
	v_add_u32_e32 v0, v43, v0
	v_lshrrev_b32_e32 v0, s99, v0
	v_mul_lo_u32 v0, v0, s84
	v_sub_u32_e32 v0, v43, v0
	v_mad_i64_i32 v[36:37], s[42:43], v0, s88, 0
	;; [unrolled: 6-line block ×8, first 2 shown]
	v_and_b32_e32 v0, 64, v232
	v_addc_co_u32_e32 v96, vcc, 0, v73, vcc
	v_add_u32_e32 v44, 64, v0
	v_xor_b32_e32 v0, 32, v232
	v_cmp_lt_i32_e32 vcc, v0, v44
	v_xor_b32_e32 v50, 16, v232
	v_cndmask_b32_e32 v0, v232, v0, vcc
	v_cmp_lt_i32_e32 vcc, v50, v44
	v_cndmask_b32_e32 v44, v232, v50, vcc
	v_cmp_ne_u64_e64 s[40:41], 0, v[72:73]
	v_mov_b32_e32 v223, 0
	v_lshlrev_b32_e32 v0, 2, v0
	v_lshlrev_b32_e32 v50, 2, v44
	v_mov_b32_e32 v74, v70
	v_mov_b32_e32 v75, v70
	s_lshl_b32 s44, s48, 6
	v_mov_b32_e32 v220, 0
	v_mov_b32_e32 v221, 0xfeffffff
	v_lshlrev_b64 v[76:77], 1, v[34:35]
	v_lshlrev_b64 v[78:79], 1, v[36:37]
	;; [unrolled: 1-line block ×8, first 2 shown]
	v_mov_b32_e32 v136, 0
	v_mov_b32_e32 v219, 0
	;; [unrolled: 1-line block ×31, first 2 shown]
.LBB29_57:                              ;   Parent Loop BB29_14 Depth=1
                                        ; =>  This Inner Loop Header: Depth=2
	s_nop 0
	v_cndmask_b32_e64 v34, 0, 1, s[40:41]
	v_cmp_ne_u32_e64 s[42:43], 1, v34
	s_andn2_b64 vcc, exec, s[40:41]
	s_ashr_i32 s45, s44, 31
	s_cbranch_vccnz .LBB29_63
; %bb.58:                               ;   in Loop: Header=BB29_57 Depth=2
                                        ; implicit-def: $sgpr50
	s_and_saveexec_b64 s[46:47], s[4:5]
	s_xor_b64 s[46:47], exec, s[46:47]
	s_cbranch_execz .LBB29_60
; %bb.59:                               ;   in Loop: Header=BB29_57 Depth=2
	v_add_u32_e32 v34, v123, v124
	ds_write_b16 v34, v121 offset:33792
	ds_write_b16 v34, v121 offset:34944
	;; [unrolled: 1-line block ×4, first 2 shown]
	s_mov_b32 s50, 0
.LBB29_60:                              ;   in Loop: Header=BB29_57 Depth=2
	s_or_saveexec_b64 s[46:47], s[46:47]
	v_mov_b32_e32 v34, s50
	v_mov_b32_e32 v35, s50
	;; [unrolled: 1-line block ×4, first 2 shown]
	s_xor_b64 exec, exec, s[46:47]
	s_cbranch_execz .LBB29_62
; %bb.61:                               ;   in Loop: Header=BB29_57 Depth=2
	s_lshl_b64 s[50:51], s[44:45], 1
	v_add_co_u32_e32 v38, vcc, s50, v95
	v_mov_b32_e32 v34, s51
	v_addc_co_u32_e32 v39, vcc, v96, v34, vcc
	v_add_co_u32_e32 v34, vcc, v38, v76
	v_addc_co_u32_e32 v35, vcc, v39, v77, vcc
	flat_load_ushort v36, v[34:35]
	v_add_co_u32_e32 v34, vcc, v38, v78
	v_addc_co_u32_e32 v35, vcc, v39, v79, vcc
	flat_load_ushort v37, v[34:35]
	;; [unrolled: 3-line block ×4, first 2 shown]
	v_add_u32_e32 v35, v123, v124
	s_waitcnt vmcnt(0) lgkmcnt(0)
	ds_write_b16 v35, v36 offset:33792
	ds_write_b16 v35, v37 offset:34944
	ds_write_b16 v35, v40 offset:36096
	ds_write_b16 v35, v34 offset:37248
	v_add_co_u32_e32 v34, vcc, v38, v84
	v_addc_co_u32_e32 v35, vcc, v39, v85, vcc
	v_add_co_u32_e32 v36, vcc, v38, v86
	v_addc_co_u32_e32 v37, vcc, v39, v87, vcc
	flat_load_ushort v34, v[34:35]
	s_nop 0
	flat_load_ushort v35, v[36:37]
	v_add_co_u32_e32 v36, vcc, v38, v88
	v_addc_co_u32_e32 v37, vcc, v39, v89, vcc
	v_add_co_u32_e32 v38, vcc, v38, v90
	v_addc_co_u32_e32 v39, vcc, v39, v91, vcc
	flat_load_ushort v36, v[36:37]
	s_nop 0
	flat_load_ushort v37, v[38:39]
.LBB29_62:                              ;   in Loop: Header=BB29_57 Depth=2
	s_or_b64 exec, exec, s[46:47]
	v_add_u32_e32 v38, v123, v124
	s_waitcnt vmcnt(0) lgkmcnt(0)
	ds_write_b16 v38, v34 offset:38400
	ds_write_b16 v38, v35 offset:39552
	;; [unrolled: 1-line block ×4, first 2 shown]
.LBB29_63:                              ;   in Loop: Header=BB29_57 Depth=2
	s_mul_hi_i32 s47, s44, s66
	s_mul_i32 s46, s44, s66
	s_lshl_b64 s[46:47], s[46:47], 2
	s_add_u32 s45, s68, s46
	s_addc_u32 s46, s69, s47
	v_add_co_u32_e32 v34, vcc, s45, v62
	v_mov_b32_e32 v35, s46
	v_addc_co_u32_e32 v35, vcc, v35, v63, vcc
	v_lshlrev_b32_e32 v242, 2, v48
	v_add_co_u32_e32 v34, vcc, v34, v242
	v_addc_co_u32_e32 v35, vcc, 0, v35, vcc
	v_mov_b32_e32 v38, s97
	v_mov_b32_e32 v39, s96
	buffer_store_dword v121, off, s[0:3], 0
	buffer_store_dword v121, off, s[0:3], 0 offset:4
	buffer_store_dword v121, off, s[0:3], 0 offset:8
	;; [unrolled: 1-line block ×3, first 2 shown]
	v_cndmask_b32_e64 v35, v38, v35, s[6:7]
	v_cndmask_b32_e64 v34, v39, v34, s[6:7]
	flat_load_dwordx4 v[34:37], v[34:35]
	v_add_u32_e32 v71, 0x4000, v133
	s_waitcnt vmcnt(0) lgkmcnt(0)
	ds_write_b128 v126, v[34:37]
	v_add_co_u32_e32 v34, vcc, s45, v64
	v_mov_b32_e32 v35, s46
	v_addc_co_u32_e32 v35, vcc, v35, v65, vcc
	v_add_co_u32_e32 v34, vcc, v34, v242
	v_addc_co_u32_e32 v35, vcc, 0, v35, vcc
	v_cndmask_b32_e64 v35, v38, v35, s[58:59]
	v_cndmask_b32_e64 v34, v39, v34, s[58:59]
	flat_load_dwordx4 v[34:37], v[34:35]
	s_waitcnt vmcnt(0) lgkmcnt(0)
	ds_write_b128 v128, v[34:37]
	v_add_co_u32_e32 v34, vcc, s45, v66
	v_mov_b32_e32 v35, s46
	v_addc_co_u32_e32 v35, vcc, v35, v67, vcc
	v_add_co_u32_e32 v34, vcc, v34, v242
	v_addc_co_u32_e32 v35, vcc, 0, v35, vcc
	v_cndmask_b32_e64 v35, v38, v35, s[10:11]
	v_cndmask_b32_e64 v34, v39, v34, s[10:11]
	flat_load_dwordx4 v[34:37], v[34:35]
	;; [unrolled: 10-line block ×3, first 2 shown]
	s_and_b64 vcc, exec, s[42:43]
	s_waitcnt vmcnt(0) lgkmcnt(0)
	ds_write_b128 v132, v[34:37]
	s_waitcnt lgkmcnt(0)
	s_barrier
	ds_read2_b64 v[34:37], v133 offset1:4
	s_waitcnt lgkmcnt(0)
	v_mfma_f32_16x16x16f16 v[38:41], v[34:35], v[30:31], 0
	v_mfma_f32_16x16x16f16 v[34:37], v[36:37], v[32:33], v[38:41]
	s_nop 7
	s_nop 1
	ds_read2_b64 v[38:41], v133 offset0:8 offset1:12
	s_waitcnt lgkmcnt(0)
	v_mfma_f32_16x16x16f16 v[34:37], v[38:39], v[26:27], v[34:37]
	v_mfma_f32_16x16x16f16 v[34:37], v[40:41], v[28:29], v[34:37]
	ds_read2_b64 v[38:41], v133 offset0:16 offset1:20
	s_waitcnt lgkmcnt(0)
	v_mfma_f32_16x16x16f16 v[34:37], v[38:39], v[22:23], v[34:37]
	v_mfma_f32_16x16x16f16 v[34:37], v[40:41], v[24:25], v[34:37]
	;; [unrolled: 4-line block ×8, first 2 shown]
	s_nop 7
	s_nop 1
	ds_read2_b64 v[114:117], v71 offset0:72 offset1:76
	s_waitcnt lgkmcnt(0)
	v_mfma_f32_16x16x16f16 v[38:41], v[114:115], v[26:27], v[38:41]
	v_mfma_f32_16x16x16f16 v[38:41], v[116:117], v[28:29], v[38:41]
	ds_read2_b64 v[114:117], v71 offset0:80 offset1:84
	s_waitcnt lgkmcnt(0)
	v_mfma_f32_16x16x16f16 v[38:41], v[114:115], v[22:23], v[38:41]
	v_mfma_f32_16x16x16f16 v[38:41], v[116:117], v[24:25], v[38:41]
	;; [unrolled: 4-line block ×6, first 2 shown]
	ds_read2_b64 v[114:117], v71 offset0:120 offset1:124
	s_waitcnt lgkmcnt(0)
	s_barrier
	v_mfma_f32_16x16x16f16 v[38:41], v[114:115], v[2:3], v[38:41]
	v_mfma_f32_16x16x16f16 v[38:41], v[116:117], v[4:5], v[38:41]
	s_cbranch_vccnz .LBB29_65
; %bb.64:                               ;   in Loop: Header=BB29_57 Depth=2
	v_add_u32_e32 v71, 0x8400, v135
	ds_read2_b32 v[108:109], v71 offset1:1
	ds_read_b32 v94, v137 offset:33792
	v_mov_b32_e32 v71, v70
	s_waitcnt lgkmcnt(1)
	v_cvt_f32_f16_e32 v114, v108
	v_cvt_f32_f16_sdwa v115, v108 dst_sel:DWORD dst_unused:UNUSED_PAD src0_sel:WORD_1
	v_cvt_f32_f16_e32 v108, v109
	v_cvt_f32_f16_sdwa v109, v109 dst_sel:DWORD dst_unused:UNUSED_PAD src0_sel:WORD_1
	v_pk_fma_f32 v[34:35], v[74:75], v[114:115], v[34:35]
	v_pk_fma_f32 v[36:37], v[70:71], v[108:109], v[36:37]
	s_waitcnt lgkmcnt(0)
	v_cvt_f32_f16_sdwa v109, v94 dst_sel:DWORD dst_unused:UNUSED_PAD src0_sel:WORD_1
	v_cvt_f32_f16_e32 v108, v94
	ds_read_b32 v94, v139 offset:33792
	v_pk_fma_f32 v[38:39], v[74:75], v[108:109], v[38:39]
	s_waitcnt lgkmcnt(0)
	v_cvt_f32_f16_sdwa v115, v94 dst_sel:DWORD dst_unused:UNUSED_PAD src0_sel:WORD_1
	v_cvt_f32_f16_e32 v114, v94
	v_pk_fma_f32 v[40:41], v[70:71], v[114:115], v[40:41]
.LBB29_65:                              ;   in Loop: Header=BB29_57 Depth=2
	v_add_f32_e32 v71, 0x40051340, v34
	v_max_f32_e32 v94, v221, v221
	v_max_f32_e32 v71, v94, v71
	v_cndmask_b32_e64 v71, v221, v71, s[14:15]
	v_add_f32_e32 v94, 0x40051340, v35
	v_max_f32_e32 v108, v71, v71
	v_max_f32_e32 v94, v108, v94
	v_cndmask_b32_e64 v71, v71, v94, s[16:17]
	;; [unrolled: 4-line block ×8, first 2 shown]
	ds_bpermute_b32 v94, v0, v71
	v_max_f32_e32 v71, v71, v71
	v_cndmask_b32_e64 v36, v36, v36, s[16:17]
	v_cndmask_b32_e64 v37, v37, v37, s[16:17]
	;; [unrolled: 1-line block ×3, first 2 shown]
	s_waitcnt lgkmcnt(0)
	v_max_f32_e32 v94, v94, v94
	v_max_f32_e32 v71, v71, v94
	ds_bpermute_b32 v94, v50, v71
	v_cndmask_b32_e64 v40, v40, v40, s[22:23]
	v_cndmask_b32_e64 v41, v41, v41, s[22:23]
	s_mul_hi_i32 s43, s44, s86
	s_mul_i32 s42, s44, s86
	s_waitcnt lgkmcnt(0)
	v_max_f32_e32 v94, v94, v94
	v_max_f32_e32 v71, v71, v94
	v_sub_f32_e32 v34, v34, v71
	v_mul_f32_e32 v94, 0x3fb8aa3b, v34
	v_fma_f32 v108, v34, s31, -v94
	v_rndne_f32_e32 v109, v94
	v_fmac_f32_e32 v108, 0x32a5705f, v34
	v_sub_f32_e32 v94, v94, v109
	v_add_f32_e32 v94, v94, v108
	v_exp_f32_e32 v94, v94
	v_cvt_i32_f32_e32 v108, v109
	v_cmp_ngt_f32_e32 vcc, s85, v34
	v_sub_f32_e32 v35, v35, v71
	v_sub_f32_e32 v36, v36, v71
	v_ldexp_f32 v94, v94, v108
	v_cndmask_b32_e32 v94, 0, v94, vcc
	v_cmp_nlt_f32_e32 vcc, s39, v34
	v_cndmask_b32_e32 v34, v110, v94, vcc
	v_mul_f32_e32 v94, 0x3fb8aa3b, v35
	v_fma_f32 v108, v35, s31, -v94
	v_rndne_f32_e32 v109, v94
	v_fmac_f32_e32 v108, 0x32a5705f, v35
	v_sub_f32_e32 v94, v94, v109
	v_add_f32_e32 v94, v94, v108
	v_exp_f32_e32 v94, v94
	v_cvt_i32_f32_e32 v108, v109
	v_cmp_ngt_f32_e32 vcc, s85, v35
	v_cndmask_b32_e64 v34, 0, v34, s[14:15]
	s_lshl_b64 s[42:43], s[42:43], 2
	v_ldexp_f32 v94, v94, v108
	v_cndmask_b32_e32 v94, 0, v94, vcc
	v_cmp_nlt_f32_e32 vcc, s39, v35
	v_cndmask_b32_e32 v94, v110, v94, vcc
	v_mov_b32_e32 v35, s35
	v_add_f32_e32 v108, v94, v34
	v_cndmask_b32_e64 v109, v35, v94, s[16:17]
	v_mul_f32_e32 v94, 0x3fb8aa3b, v36
	v_cndmask_b32_e64 v35, v34, v108, s[16:17]
	v_fma_f32 v108, v36, s31, -v94
	v_rndne_f32_e32 v114, v94
	v_fmac_f32_e32 v108, 0x32a5705f, v36
	v_sub_f32_e32 v94, v94, v114
	v_add_f32_e32 v94, v94, v108
	v_exp_f32_e32 v94, v94
	v_cvt_i32_f32_e32 v108, v114
	v_cmp_ngt_f32_e32 vcc, s85, v36
	v_cvt_f16_f32_e32 v34, v34
	s_add_u32 s42, s91, s42
	v_ldexp_f32 v94, v94, v108
	v_cndmask_b32_e32 v94, 0, v94, vcc
	v_cmp_nlt_f32_e32 vcc, s39, v36
	v_cndmask_b32_e32 v94, v110, v94, vcc
	v_add_f32_e32 v108, v35, v94
	v_mov_b32_e32 v36, s35
	v_cndmask_b32_e64 v114, v36, v94, s[18:19]
	v_cndmask_b32_e64 v36, v35, v108, s[18:19]
	v_sub_f32_e32 v35, v37, v71
	v_mul_f32_e32 v37, 0x3fb8aa3b, v35
	v_fma_f32 v94, v35, s31, -v37
	v_rndne_f32_e32 v108, v37
	v_fmac_f32_e32 v94, 0x32a5705f, v35
	v_sub_f32_e32 v37, v37, v108
	v_add_f32_e32 v37, v37, v94
	v_exp_f32_e32 v37, v37
	v_cvt_i32_f32_e32 v94, v108
	v_cmp_ngt_f32_e32 vcc, s85, v35
	s_addc_u32 s43, s38, s43
	buffer_store_dword v121, off, s[0:3], 0
	buffer_store_dword v121, off, s[0:3], 0 offset:4
	buffer_store_dword v121, off, s[0:3], 0 offset:8
	;; [unrolled: 1-line block ×3, first 2 shown]
	v_ldexp_f32 v37, v37, v94
	v_cndmask_b32_e32 v37, 0, v37, vcc
	v_cmp_nlt_f32_e32 vcc, s39, v35
	v_cndmask_b32_e32 v37, v110, v37, vcc
	v_add_f32_e32 v94, v36, v37
	v_mov_b32_e32 v35, s35
	v_cndmask_b32_e64 v37, v35, v37, s[20:21]
	v_cndmask_b32_e64 v35, v36, v94, s[20:21]
	v_sub_f32_e32 v36, v38, v71
	v_mul_f32_e32 v38, 0x3fb8aa3b, v36
	v_fma_f32 v94, v36, s31, -v38
	v_rndne_f32_e32 v108, v38
	v_fmac_f32_e32 v94, 0x32a5705f, v36
	v_sub_f32_e32 v38, v38, v108
	v_add_f32_e32 v38, v38, v94
	v_exp_f32_e32 v38, v38
	v_cvt_i32_f32_e32 v94, v108
	v_cmp_ngt_f32_e32 vcc, s85, v36
	v_cvt_f16_f32_e32 v37, v37
	s_add_i32 s48, s48, 1
	v_ldexp_f32 v38, v38, v94
	v_cndmask_b32_e32 v38, 0, v38, vcc
	v_cmp_nlt_f32_e32 vcc, s39, v36
	v_cndmask_b32_e32 v38, v110, v38, vcc
	v_add_f32_e32 v94, v38, v35
	v_mov_b32_e32 v36, s35
	v_cndmask_b32_e64 v38, v36, v38, s[22:23]
	v_cndmask_b32_e64 v36, v35, v94, s[22:23]
	v_sub_f32_e32 v35, v39, v71
	v_mul_f32_e32 v39, 0x3fb8aa3b, v35
	v_fma_f32 v94, v35, s31, -v39
	v_rndne_f32_e32 v108, v39
	v_fmac_f32_e32 v94, 0x32a5705f, v35
	v_sub_f32_e32 v39, v39, v108
	v_add_f32_e32 v39, v39, v94
	v_exp_f32_e32 v39, v39
	v_cvt_i32_f32_e32 v94, v108
	v_cmp_ngt_f32_e32 vcc, s85, v35
	s_add_i32 s44, s44, 64
	s_cmp_lt_i32 s48, s49
	v_ldexp_f32 v39, v39, v94
	v_cndmask_b32_e32 v39, 0, v39, vcc
	v_cmp_nlt_f32_e32 vcc, s39, v35
	v_cndmask_b32_e32 v39, v110, v39, vcc
	v_add_f32_e32 v94, v39, v36
	v_mov_b32_e32 v35, s35
	v_cndmask_b32_e64 v39, v35, v39, s[24:25]
	v_cndmask_b32_e64 v35, v36, v94, s[24:25]
	v_sub_f32_e32 v36, v40, v71
	v_mul_f32_e32 v40, 0x3fb8aa3b, v36
	v_fma_f32 v94, v36, s31, -v40
	v_rndne_f32_e32 v108, v40
	v_fmac_f32_e32 v94, 0x32a5705f, v36
	v_sub_f32_e32 v40, v40, v108
	v_add_f32_e32 v40, v40, v94
	v_exp_f32_e32 v40, v40
	v_cvt_i32_f32_e32 v94, v108
	v_cmp_ngt_f32_e32 vcc, s85, v36
	v_ldexp_f32 v40, v40, v94
	v_cndmask_b32_e32 v40, 0, v40, vcc
	v_cmp_nlt_f32_e32 vcc, s39, v36
	v_cndmask_b32_e32 v40, v110, v40, vcc
	v_add_f32_e32 v94, v40, v35
	v_mov_b32_e32 v36, s35
	v_cndmask_b32_e64 v40, v36, v40, s[26:27]
	v_cndmask_b32_e64 v36, v35, v94, s[26:27]
	v_sub_f32_e32 v35, v41, v71
	v_mul_f32_e32 v41, 0x3fb8aa3b, v35
	v_fma_f32 v94, v35, s31, -v41
	v_rndne_f32_e32 v108, v41
	v_fmac_f32_e32 v94, 0x32a5705f, v35
	v_sub_f32_e32 v41, v41, v108
	v_add_f32_e32 v41, v41, v94
	v_exp_f32_e32 v41, v41
	v_cvt_i32_f32_e32 v94, v108
	v_cmp_ngt_f32_e32 vcc, s85, v35
	v_ldexp_f32 v41, v41, v94
	v_cndmask_b32_e32 v41, 0, v41, vcc
	v_cmp_nlt_f32_e32 vcc, s39, v35
	v_cndmask_b32_e32 v41, v110, v41, vcc
	v_add_f32_e32 v94, v41, v36
	v_mov_b32_e32 v35, s35
	v_cndmask_b32_e64 v94, v36, v94, s[28:29]
	v_sub_f32_e32 v36, v221, v71
	v_cndmask_b32_e64 v35, v35, v41, s[28:29]
	v_mul_f32_e32 v41, 0x3fb8aa3b, v36
	v_fma_f32 v108, v36, s31, -v41
	v_rndne_f32_e32 v115, v41
	v_fmac_f32_e32 v108, 0x32a5705f, v36
	v_sub_f32_e32 v41, v41, v115
	v_add_f32_e32 v41, v41, v108
	v_exp_f32_e32 v41, v41
	v_cvt_i32_f32_e32 v108, v115
	v_cmp_ngt_f32_e32 vcc, s85, v36
	v_cvt_f16_f32_e32 v35, v35
	v_mov_b32_e32 v115, s96
	v_ldexp_f32 v41, v41, v108
	v_cndmask_b32_e32 v41, 0, v41, vcc
	v_cmp_nlt_f32_e32 vcc, s39, v36
	v_cndmask_b32_e32 v41, v110, v41, vcc
	v_cmp_le_f32_e32 vcc, s33, v36
	v_cndmask_b32_e32 v36, 0, v41, vcc
	v_fmac_f32_e32 v94, v220, v36
	v_cvt_f16_f32_e32 v36, v36
	v_pk_mul_f16 v97, v36, v97 op_sel_hi:[0,1]
	v_pk_mul_f16 v51, v36, v51 op_sel_hi:[0,1]
	v_pk_mul_f16 v99, v36, v99 op_sel_hi:[0,1]
	v_pk_mul_f16 v98, v36, v98 op_sel_hi:[0,1]
	v_pk_mul_f16 v101, v36, v101 op_sel_hi:[0,1]
	v_pk_mul_f16 v100, v36, v100 op_sel_hi:[0,1]
	v_pk_mul_f16 v103, v36, v103 op_sel_hi:[0,1]
	v_pk_mul_f16 v102, v36, v102 op_sel_hi:[0,1]
	v_pk_mul_f16 v105, v36, v105 op_sel_hi:[0,1]
	v_pk_mul_f16 v104, v36, v104 op_sel_hi:[0,1]
	v_pk_mul_f16 v107, v36, v107 op_sel_hi:[0,1]
	v_pk_mul_f16 v106, v36, v106 op_sel_hi:[0,1]
	v_pk_mul_f16 v222, v36, v233 op_sel_hi:[0,1]
	v_pk_mul_f16 v111, v36, v111 op_sel_hi:[0,1]
	v_pk_mul_f16 v235, v36, v235 op_sel_hi:[0,1]
	v_pk_mul_f16 v221, v36, v234 op_sel_hi:[0,1]
	v_pk_mul_f16 v112, v36, v112 op_sel_hi:[0,1]
	v_pk_mul_f16 v44, v36, v44 op_sel_hi:[0,1]
	v_pk_mul_f16 v225, v36, v225 op_sel_hi:[0,1]
	v_pk_mul_f16 v224, v36, v224 op_sel_hi:[0,1]
	v_pk_mul_f16 v230, v36, v230 op_sel_hi:[0,1]
	v_pk_mul_f16 v229, v36, v229 op_sel_hi:[0,1]
	v_pk_mul_f16 v236, v36, v236 op_sel_hi:[0,1]
	v_pk_mul_f16 v231, v36, v231 op_sel_hi:[0,1]
	v_pk_mul_f16 v239, v36, v239 op_sel_hi:[0,1]
	v_pk_mul_f16 v220, v36, v238 op_sel_hi:[0,1]
	v_pk_mul_f16 v131, v36, v131 op_sel_hi:[0,1]
	v_pk_mul_f16 v129, v36, v129 op_sel_hi:[0,1]
	v_pk_mul_f16 v237, v36, v219 op_sel_hi:[0,1]
	v_pk_mul_f16 v127, v36, v127 op_sel_hi:[0,1]
	v_pk_mul_f16 v241, v36, v223 op_sel_hi:[0,1]
	v_pk_mul_f16 v240, v36, v136 op_sel_hi:[0,1]
	v_cvt_f16_f32_e32 v36, v109
	v_pack_b32_f16 v36, v34, v36
	v_cvt_f16_f32_e32 v34, v114
	v_mov_b32_e32 v114, s97
	v_pack_b32_f16 v37, v34, v37
	v_cvt_f16_f32_e32 v34, v38
	v_cvt_f16_f32_e32 v38, v39
	v_mov_b32_e32 v39, s43
	v_pack_b32_f16 v34, v34, v38
	v_cvt_f16_f32_e32 v38, v40
	v_pack_b32_f16 v35, v38, v35
	v_add_co_u32_e32 v38, vcc, s42, v54
	v_addc_co_u32_e32 v39, vcc, v39, v55, vcc
	v_add_co_u32_e32 v38, vcc, v38, v242
	v_addc_co_u32_e32 v39, vcc, 0, v39, vcc
	v_cndmask_b32_e64 v109, v114, v39, s[6:7]
	v_cndmask_b32_e64 v108, v115, v38, s[6:7]
	v_add_co_u32_e32 v38, vcc, s42, v56
	v_mov_b32_e32 v39, s43
	v_addc_co_u32_e32 v39, vcc, v39, v57, vcc
	v_add_co_u32_e32 v38, vcc, v38, v242
	v_addc_co_u32_e32 v39, vcc, 0, v39, vcc
	v_cndmask_b32_e64 v245, v114, v39, s[58:59]
	v_cndmask_b32_e64 v244, v115, v38, s[58:59]
	v_add_co_u32_e32 v38, vcc, s42, v58
	v_mov_b32_e32 v39, s43
	;; [unrolled: 7-line block ×3, first 2 shown]
	v_addc_co_u32_e32 v39, vcc, v39, v61, vcc
	v_add_co_u32_e32 v38, vcc, v38, v242
	v_addc_co_u32_e32 v39, vcc, 0, v39, vcc
	v_cndmask_b32_e64 v39, v114, v39, s[12:13]
	v_cndmask_b32_e64 v38, v115, v38, s[12:13]
	flat_load_dwordx4 v[114:117], v[108:109]
	s_waitcnt vmcnt(0) lgkmcnt(0)
	ds_write_b128 v126, v[114:117]
	flat_load_dwordx4 v[114:117], v[244:245]
	s_waitcnt vmcnt(0) lgkmcnt(0)
	ds_write_b128 v128, v[114:117]
	;; [unrolled: 3-line block ×3, first 2 shown]
	flat_load_dwordx4 v[38:41], v[38:39]
	v_cvt_f32_f16_e32 v116, v129
	v_cvt_f32_f16_sdwa v117, v129 dst_sel:DWORD dst_unused:UNUSED_PAD src0_sel:WORD_1
	s_waitcnt vmcnt(0) lgkmcnt(0)
	ds_write_b128 v132, v[38:41]
	s_waitcnt lgkmcnt(0)
	s_barrier
	ds_read_u16 v108, v141 offset:528
	ds_read_u16 v109, v141 offset:1056
	v_cvt_f32_f16_e32 v40, v51
	v_cvt_f32_f16_sdwa v41, v51 dst_sel:DWORD dst_unused:UNUSED_PAD src0_sel:WORD_1
	ds_read_u16 v51, v142
	ds_read_u16 v114, v142 offset:32
	v_cvt_f32_f16_e32 v38, v97
	v_cvt_f32_f16_sdwa v39, v97 dst_sel:DWORD dst_unused:UNUSED_PAD src0_sel:WORD_1
	s_waitcnt lgkmcnt(1)
	v_perm_b32 v109, v51, v109, s30
	ds_read_u16 v51, v140
	ds_read_u16 v115, v140 offset:32
	s_waitcnt lgkmcnt(1)
	v_perm_b32 v108, v108, v51, s30
	s_nop 1
	v_mfma_f32_16x16x16f16 v[38:41], v[108:109], v[36:37], v[38:41]
	ds_read_u16 v51, v140 offset:16896
	ds_read_u16 v97, v143 offset:528
	;; [unrolled: 1-line block ×4, first 2 shown]
	s_waitcnt lgkmcnt(0)
	v_perm_b32 v109, v109, v108, s30
	v_perm_b32 v108, v97, v51, s30
	s_nop 3
	v_cvt_f16_f32_e32 v38, v38
	v_cvt_f16_f32_e32 v39, v39
	;; [unrolled: 1-line block ×4, first 2 shown]
	v_cvt_f32_f16_e32 v38, v38
	v_cvt_f32_f16_e32 v39, v39
	;; [unrolled: 1-line block ×4, first 2 shown]
	s_nop 1
	v_mfma_f32_16x16x16f16 v[38:41], v[108:109], v[34:35], v[38:41]
	ds_read_u16 v108, v144 offset:528
	ds_read_u16 v109, v144 offset:1056
	s_nop 7
	s_nop 0
	v_cvt_f16_f32_e32 v38, v38
	v_cvt_f16_f32_e32 v39, v39
	v_cvt_f16_f32_e32 v40, v40
	v_cvt_f16_f32_e32 v41, v41
	v_pack_b32_f16 v97, v38, v39
	v_cvt_f32_f16_e32 v38, v99
	v_pack_b32_f16 v51, v40, v41
	v_cvt_f32_f16_sdwa v39, v99 dst_sel:DWORD dst_unused:UNUSED_PAD src0_sel:WORD_1
	v_cvt_f32_f16_e32 v40, v98
	v_cvt_f32_f16_sdwa v41, v98 dst_sel:DWORD dst_unused:UNUSED_PAD src0_sel:WORD_1
	s_waitcnt lgkmcnt(0)
	v_perm_b32 v99, v114, v109, s30
	v_perm_b32 v98, v108, v115, s30
	s_nop 1
	v_mfma_f32_16x16x16f16 v[38:41], v[98:99], v[36:37], v[38:41]
	ds_read_u16 v98, v145 offset:16896
	ds_read_u16 v108, v146 offset:528
	ds_read_u16 v99, v147 offset:1056
	ds_read_u16 v109, v148 offset:16896
	s_waitcnt lgkmcnt(2)
	v_perm_b32 v98, v108, v98, s30
	s_waitcnt lgkmcnt(0)
	v_perm_b32 v99, v109, v99, s30
	ds_read_u16 v108, v140 offset:64
	ds_read_u16 v109, v149 offset:528
	ds_read_u16 v114, v149 offset:1056
	ds_read_u16 v115, v142 offset:64
	v_cvt_f16_f32_e32 v38, v38
	v_cvt_f16_f32_e32 v39, v39
	v_cvt_f16_f32_e32 v40, v40
	v_cvt_f16_f32_e32 v41, v41
	v_cvt_f32_f16_e32 v38, v38
	v_cvt_f32_f16_e32 v39, v39
	v_cvt_f32_f16_e32 v40, v40
	v_cvt_f32_f16_e32 v41, v41
	s_nop 1
	v_mfma_f32_16x16x16f16 v[38:41], v[98:99], v[34:35], v[38:41]
	s_nop 7
	s_nop 2
	v_cvt_f16_f32_e32 v38, v38
	v_cvt_f16_f32_e32 v39, v39
	v_cvt_f16_f32_e32 v40, v40
	v_cvt_f16_f32_e32 v41, v41
	v_pack_b32_f16 v99, v38, v39
	v_cvt_f32_f16_e32 v38, v101
	v_pack_b32_f16 v98, v40, v41
	v_cvt_f32_f16_sdwa v39, v101 dst_sel:DWORD dst_unused:UNUSED_PAD src0_sel:WORD_1
	v_cvt_f32_f16_e32 v40, v100
	v_cvt_f32_f16_sdwa v41, v100 dst_sel:DWORD dst_unused:UNUSED_PAD src0_sel:WORD_1
	s_waitcnt lgkmcnt(0)
	v_perm_b32 v101, v115, v114, s30
	v_perm_b32 v100, v109, v108, s30
	s_nop 1
	v_mfma_f32_16x16x16f16 v[38:41], v[100:101], v[36:37], v[38:41]
	ds_read_u16 v100, v150 offset:16896
	ds_read_u16 v108, v151 offset:528
	ds_read_u16 v101, v152 offset:1056
	ds_read_u16 v109, v153 offset:16896
	s_waitcnt lgkmcnt(2)
	v_perm_b32 v100, v108, v100, s30
	s_waitcnt lgkmcnt(0)
	v_perm_b32 v101, v109, v101, s30
	ds_read_u16 v108, v140 offset:96
	ds_read_u16 v109, v154 offset:528
	ds_read_u16 v114, v154 offset:1056
	ds_read_u16 v115, v142 offset:96
	v_cvt_f16_f32_e32 v38, v38
	v_cvt_f16_f32_e32 v39, v39
	v_cvt_f16_f32_e32 v40, v40
	v_cvt_f16_f32_e32 v41, v41
	v_cvt_f32_f16_e32 v38, v38
	v_cvt_f32_f16_e32 v39, v39
	v_cvt_f32_f16_e32 v40, v40
	v_cvt_f32_f16_e32 v41, v41
	s_nop 1
	v_mfma_f32_16x16x16f16 v[38:41], v[100:101], v[34:35], v[38:41]
	;; [unrolled: 39-line block ×4, first 2 shown]
	s_nop 7
	s_nop 2
	v_cvt_f16_f32_e32 v38, v38
	v_cvt_f16_f32_e32 v39, v39
	;; [unrolled: 1-line block ×4, first 2 shown]
	v_pack_b32_f16 v105, v38, v39
	v_cvt_f32_f16_e32 v38, v107
	v_pack_b32_f16 v104, v40, v41
	v_cvt_f32_f16_sdwa v39, v107 dst_sel:DWORD dst_unused:UNUSED_PAD src0_sel:WORD_1
	v_cvt_f32_f16_e32 v40, v106
	v_cvt_f32_f16_sdwa v41, v106 dst_sel:DWORD dst_unused:UNUSED_PAD src0_sel:WORD_1
	s_waitcnt lgkmcnt(0)
	v_perm_b32 v107, v115, v114, s30
	v_perm_b32 v106, v109, v108, s30
	s_nop 1
	v_mfma_f32_16x16x16f16 v[38:41], v[106:107], v[36:37], v[38:41]
	ds_read_u16 v106, v165 offset:16896
	ds_read_u16 v108, v166 offset:528
	;; [unrolled: 1-line block ×4, first 2 shown]
	s_waitcnt lgkmcnt(2)
	v_perm_b32 v106, v108, v106, s30
	s_waitcnt lgkmcnt(0)
	v_perm_b32 v107, v109, v107, s30
	ds_read_u16 v108, v140 offset:192
	ds_read_u16 v114, v169 offset:528
	;; [unrolled: 1-line block ×4, first 2 shown]
	v_cvt_f16_f32_e32 v38, v38
	v_cvt_f16_f32_e32 v39, v39
	;; [unrolled: 1-line block ×4, first 2 shown]
	v_cvt_f32_f16_e32 v38, v38
	v_cvt_f32_f16_e32 v39, v39
	v_cvt_f32_f16_e32 v40, v40
	v_cvt_f32_f16_e32 v41, v41
	s_waitcnt lgkmcnt(0)
	v_perm_b32 v109, v115, v109, s30
	v_perm_b32 v108, v114, v108, s30
	v_mfma_f32_16x16x16f16 v[38:41], v[106:107], v[34:35], v[38:41]
	s_nop 7
	s_nop 2
	v_cvt_f16_f32_e32 v38, v38
	v_cvt_f16_f32_e32 v39, v39
	v_cvt_f16_f32_e32 v40, v40
	v_cvt_f16_f32_e32 v41, v41
	v_pack_b32_f16 v107, v38, v39
	v_cvt_f32_f16_e32 v38, v222
	v_pack_b32_f16 v106, v40, v41
	v_cvt_f32_f16_sdwa v39, v222 dst_sel:DWORD dst_unused:UNUSED_PAD src0_sel:WORD_1
	v_cvt_f32_f16_e32 v40, v111
	v_cvt_f32_f16_sdwa v41, v111 dst_sel:DWORD dst_unused:UNUSED_PAD src0_sel:WORD_1
	s_nop 1
	v_mfma_f32_16x16x16f16 v[38:41], v[108:109], v[36:37], v[38:41]
	ds_read_u16 v108, v170 offset:16896
	ds_read_u16 v111, v171 offset:528
	ds_read_u16 v109, v172 offset:1056
	ds_read_u16 v114, v173 offset:16896
	s_waitcnt lgkmcnt(2)
	v_perm_b32 v108, v111, v108, s30
	s_waitcnt lgkmcnt(0)
	v_perm_b32 v109, v114, v109, s30
	s_nop 2
	v_cvt_f16_f32_e32 v38, v38
	v_cvt_f16_f32_e32 v39, v39
	v_cvt_f16_f32_e32 v40, v40
	v_cvt_f16_f32_e32 v41, v41
	v_cvt_f32_f16_e32 v38, v38
	v_cvt_f32_f16_e32 v39, v39
	v_cvt_f32_f16_e32 v40, v40
	v_cvt_f32_f16_e32 v41, v41
	s_nop 1
	v_mfma_f32_16x16x16f16 v[38:41], v[108:109], v[34:35], v[38:41]
	ds_read_u16 v108, v140 offset:224
	ds_read_u16 v114, v174 offset:528
	ds_read_u16 v109, v174 offset:1056
	ds_read_u16 v115, v142 offset:224
	s_waitcnt lgkmcnt(2)
	v_perm_b32 v108, v114, v108, s30
	s_waitcnt lgkmcnt(0)
	v_perm_b32 v109, v115, v109, s30
	s_nop 2
	v_cvt_f16_f32_e32 v38, v38
	v_cvt_f16_f32_e32 v39, v39
	v_cvt_f16_f32_e32 v40, v40
	v_cvt_f16_f32_e32 v41, v41
	v_pack_b32_f16 v233, v38, v39
	v_cvt_f32_f16_e32 v38, v235
	v_pack_b32_f16 v111, v40, v41
	v_cvt_f32_f16_sdwa v39, v235 dst_sel:DWORD dst_unused:UNUSED_PAD src0_sel:WORD_1
	v_cvt_f32_f16_e32 v40, v221
	v_cvt_f32_f16_sdwa v41, v221 dst_sel:DWORD dst_unused:UNUSED_PAD src0_sel:WORD_1
	s_nop 1
	v_mfma_f32_16x16x16f16 v[38:41], v[108:109], v[36:37], v[38:41]
	ds_read_u16 v108, v175 offset:16896
	ds_read_u16 v114, v176 offset:528
	ds_read_u16 v109, v177 offset:1056
	ds_read_u16 v115, v178 offset:16896
	s_waitcnt lgkmcnt(2)
	v_perm_b32 v108, v114, v108, s30
	s_waitcnt lgkmcnt(0)
	v_perm_b32 v109, v115, v109, s30
	s_nop 2
	v_cvt_f16_f32_e32 v38, v38
	v_cvt_f16_f32_e32 v39, v39
	v_cvt_f16_f32_e32 v40, v40
	v_cvt_f16_f32_e32 v41, v41
	v_cvt_f32_f16_e32 v38, v38
	v_cvt_f32_f16_e32 v39, v39
	v_cvt_f32_f16_e32 v40, v40
	v_cvt_f32_f16_e32 v41, v41
	s_nop 1
	v_mfma_f32_16x16x16f16 v[38:41], v[108:109], v[34:35], v[38:41]
	ds_read_u16 v108, v140 offset:256
	ds_read_u16 v114, v179 offset:528
	ds_read_u16 v109, v179 offset:1056
	ds_read_u16 v115, v142 offset:256
	s_waitcnt lgkmcnt(2)
	v_perm_b32 v108, v114, v108, s30
	s_waitcnt lgkmcnt(0)
	v_perm_b32 v109, v115, v109, s30
	;; [unrolled: 40-line block ×6, first 2 shown]
	s_nop 2
	v_cvt_f16_f32_e32 v38, v38
	v_cvt_f16_f32_e32 v39, v39
	;; [unrolled: 1-line block ×4, first 2 shown]
	v_pack_b32_f16 v236, v38, v39
	v_cvt_f32_f16_e32 v38, v239
	v_pack_b32_f16 v231, v40, v41
	v_cvt_f32_f16_sdwa v39, v239 dst_sel:DWORD dst_unused:UNUSED_PAD src0_sel:WORD_1
	v_cvt_f32_f16_e32 v40, v220
	v_cvt_f32_f16_sdwa v41, v220 dst_sel:DWORD dst_unused:UNUSED_PAD src0_sel:WORD_1
	s_nop 1
	v_mfma_f32_16x16x16f16 v[38:41], v[108:109], v[36:37], v[38:41]
	ds_read_u16 v108, v200 offset:16896
	ds_read_u16 v114, v201 offset:528
	;; [unrolled: 1-line block ×4, first 2 shown]
	s_waitcnt lgkmcnt(2)
	v_perm_b32 v108, v114, v108, s30
	v_cvt_f32_f16_e32 v114, v131
	s_waitcnt lgkmcnt(0)
	v_perm_b32 v109, v115, v109, s30
	v_cvt_f32_f16_sdwa v115, v131 dst_sel:DWORD dst_unused:UNUSED_PAD src0_sel:WORD_1
	s_nop 0
	v_cvt_f16_f32_e32 v38, v38
	v_cvt_f16_f32_e32 v39, v39
	;; [unrolled: 1-line block ×4, first 2 shown]
	v_cvt_f32_f16_e32 v38, v38
	v_cvt_f32_f16_e32 v39, v39
	;; [unrolled: 1-line block ×4, first 2 shown]
	s_nop 1
	v_mfma_f32_16x16x16f16 v[38:41], v[108:109], v[34:35], v[38:41]
	s_nop 7
	s_nop 2
	v_cvt_f16_f32_e32 v38, v38
	v_cvt_f16_f32_e32 v39, v39
	;; [unrolled: 1-line block ×4, first 2 shown]
	v_pack_b32_f16 v239, v38, v39
	v_pack_b32_f16 v238, v40, v41
	ds_read_u16 v38, v140 offset:416
	ds_read_u16 v39, v204 offset:528
	;; [unrolled: 1-line block ×4, first 2 shown]
	s_waitcnt lgkmcnt(0)
	v_perm_b32 v41, v41, v40, s30
	v_perm_b32 v40, v39, v38, s30
	s_nop 1
	v_mfma_f32_16x16x16f16 v[38:41], v[40:41], v[36:37], v[114:117]
	ds_read_u16 v108, v205 offset:16896
	s_nop 5
	ds_read_u16 v114, v206 offset:528
	ds_read_u16 v109, v207 offset:1056
	;; [unrolled: 1-line block ×3, first 2 shown]
	s_waitcnt lgkmcnt(2)
	v_perm_b32 v108, v114, v108, s30
	s_waitcnt lgkmcnt(0)
	v_perm_b32 v109, v115, v109, s30
	v_cvt_f16_f32_e32 v38, v38
	v_cvt_f16_f32_e32 v39, v39
	;; [unrolled: 1-line block ×4, first 2 shown]
	v_cvt_f32_f16_e32 v38, v38
	v_cvt_f32_f16_e32 v39, v39
	;; [unrolled: 1-line block ×4, first 2 shown]
	s_nop 1
	v_mfma_f32_16x16x16f16 v[38:41], v[108:109], v[34:35], v[38:41]
	ds_read_u16 v108, v140 offset:448
	ds_read_u16 v114, v209 offset:528
	;; [unrolled: 1-line block ×4, first 2 shown]
	s_waitcnt lgkmcnt(2)
	v_perm_b32 v108, v114, v108, s30
	s_waitcnt lgkmcnt(0)
	v_perm_b32 v109, v115, v109, s30
	s_nop 2
	v_cvt_f16_f32_e32 v38, v38
	v_cvt_f16_f32_e32 v39, v39
	v_cvt_f16_f32_e32 v40, v40
	v_cvt_f16_f32_e32 v41, v41
	v_pack_b32_f16 v131, v38, v39
	v_cvt_f32_f16_e32 v38, v237
	v_pack_b32_f16 v129, v40, v41
	v_cvt_f32_f16_sdwa v39, v237 dst_sel:DWORD dst_unused:UNUSED_PAD src0_sel:WORD_1
	v_cvt_f32_f16_e32 v40, v127
	v_cvt_f32_f16_sdwa v41, v127 dst_sel:DWORD dst_unused:UNUSED_PAD src0_sel:WORD_1
	s_nop 1
	v_mfma_f32_16x16x16f16 v[38:41], v[108:109], v[36:37], v[38:41]
	ds_read_u16 v108, v210 offset:16896
	ds_read_u16 v114, v211 offset:528
	;; [unrolled: 1-line block ×4, first 2 shown]
	s_waitcnt lgkmcnt(2)
	v_perm_b32 v108, v114, v108, s30
	s_waitcnt lgkmcnt(0)
	v_perm_b32 v109, v115, v109, s30
	s_nop 2
	v_cvt_f16_f32_e32 v38, v38
	v_cvt_f16_f32_e32 v39, v39
	;; [unrolled: 1-line block ×4, first 2 shown]
	v_cvt_f32_f16_e32 v38, v38
	v_cvt_f32_f16_e32 v39, v39
	;; [unrolled: 1-line block ×4, first 2 shown]
	s_nop 1
	v_mfma_f32_16x16x16f16 v[38:41], v[108:109], v[34:35], v[38:41]
	ds_read_u16 v108, v140 offset:480
	ds_read_u16 v114, v214 offset:528
	;; [unrolled: 1-line block ×4, first 2 shown]
	s_waitcnt lgkmcnt(2)
	v_perm_b32 v108, v114, v108, s30
	s_waitcnt lgkmcnt(0)
	v_perm_b32 v109, v115, v109, s30
	s_nop 2
	v_cvt_f16_f32_e32 v38, v38
	v_cvt_f16_f32_e32 v39, v39
	;; [unrolled: 1-line block ×4, first 2 shown]
	v_pack_b32_f16 v219, v38, v39
	v_cvt_f32_f16_e32 v38, v241
	v_pack_b32_f16 v127, v40, v41
	v_cvt_f32_f16_sdwa v39, v241 dst_sel:DWORD dst_unused:UNUSED_PAD src0_sel:WORD_1
	v_cvt_f32_f16_e32 v40, v240
	v_cvt_f32_f16_sdwa v41, v240 dst_sel:DWORD dst_unused:UNUSED_PAD src0_sel:WORD_1
	s_nop 1
	v_mfma_f32_16x16x16f16 v[36:39], v[108:109], v[36:37], v[38:41]
	s_nop 6
	ds_read_u16 v40, v215 offset:16896
	ds_read_u16 v108, v216 offset:528
	;; [unrolled: 1-line block ×4, first 2 shown]
	s_waitcnt lgkmcnt(0)
	s_barrier
	v_perm_b32 v40, v108, v40, s30
	v_perm_b32 v41, v109, v41, s30
	v_cvt_f16_f32_e32 v36, v36
	v_cvt_f16_f32_e32 v37, v37
	;; [unrolled: 1-line block ×4, first 2 shown]
	v_cvt_f32_f16_e32 v36, v36
	v_cvt_f32_f16_e32 v37, v37
	;; [unrolled: 1-line block ×4, first 2 shown]
	s_nop 1
	v_mfma_f32_16x16x16f16 v[34:37], v[40:41], v[34:35], v[36:39]
	s_nop 7
	s_nop 2
	v_cvt_f16_f32_e32 v34, v34
	v_cvt_f16_f32_e32 v35, v35
	;; [unrolled: 1-line block ×4, first 2 shown]
	v_pack_b32_f16 v223, v34, v35
	v_pack_b32_f16 v136, v36, v37
	s_cbranch_scc0 .LBB29_69
; %bb.66:                               ;   in Loop: Header=BB29_57 Depth=2
	v_mov_b32_e32 v220, v94
	v_mov_b32_e32 v221, v71
	s_branch .LBB29_57
.LBB29_67:                              ;   in Loop: Header=BB29_14 Depth=1
	s_cbranch_execz .LBB29_13
	s_branch .LBB29_251
.LBB29_68:                              ;   in Loop: Header=BB29_14 Depth=1
	v_mov_b32_e32 v94, 0
	v_mov_b32_e32 v71, 0xfeffffff
	;; [unrolled: 1-line block ×33, first 2 shown]
	s_branch .LBB29_70
.LBB29_69:                              ;   in Loop: Header=BB29_14 Depth=1
	buffer_load_dword v80, off, s[0:3], 0 offset:20 ; 4-byte Folded Reload
	buffer_load_dword v82, off, s[0:3], 0 offset:24 ; 4-byte Folded Reload
	;; [unrolled: 1-line block ×12, first 2 shown]
.LBB29_70:                              ;   in Loop: Header=BB29_14 Depth=1
	s_mov_b32 s70, s88
	s_lshl_b32 s88, s48, 6
	v_readlane_b32 s40, v254, 4
	v_cmp_eq_u64_e32 vcc, 0, v[72:73]
	s_sub_i32 s64, s40, s88
	v_cmp_ne_u64_e64 s[48:49], 0, v[72:73]
	s_ashr_i32 s89, s88, 31
	v_readlane_b32 s41, v254, 5
	s_cbranch_vccnz .LBB29_80
; %bb.71:                               ;   in Loop: Header=BB29_14 Depth=1
	v_cmp_le_i32_e32 vcc, s64, v42
                                        ; implicit-def: $sgpr44
	s_and_saveexec_b64 s[40:41], vcc
	s_xor_b64 s[40:41], exec, s[40:41]
	s_cbranch_execz .LBB29_73
; %bb.72:                               ;   in Loop: Header=BB29_14 Depth=1
	v_add_u32_e32 v0, v123, v124
	ds_write_b16 v0, v121 offset:33792
	ds_write_b16 v0, v121 offset:34944
	s_mov_b32 s44, 0
                                        ; implicit-def: $vgpr1
                                        ; implicit-def: $vgpr43
                                        ; implicit-def: $vgpr47
                                        ; implicit-def: $vgpr49
.LBB29_73:                              ;   in Loop: Header=BB29_14 Depth=1
	s_or_saveexec_b64 s[42:43], s[40:41]
	s_lshl_b64 s[40:41], s[88:89], 1
	v_mov_b32_e32 v0, s41
	v_add_co_u32_e64 v34, s[40:41], s40, v72
	v_addc_co_u32_e64 v35, s[40:41], v73, v0, s[40:41]
	v_lshlrev_b32_e32 v0, 1, v42
	v_add_co_u32_e64 v0, s[40:41], v34, v0
	v_addc_co_u32_e64 v34, s[40:41], 0, v35, s[40:41]
	v_mov_b32_e32 v35, s44
	v_mov_b32_e32 v36, s44
	s_xor_b64 exec, exec, s[42:43]
	s_cbranch_execz .LBB29_75
; %bb.74:                               ;   in Loop: Header=BB29_14 Depth=1
	v_mul_hi_u32 v35, s98, v1
	v_add_u32_e32 v35, v1, v35
	v_lshrrev_b32_e32 v35, s99, v35
	v_mul_lo_u32 v35, v35, s84
	v_sub_u32_e32 v1, v1, v35
	s_mov_b32 s44, s70
	v_mul_hi_u32 v35, s98, v43
	v_mad_i64_i32 v[36:37], s[40:41], v1, s44, 0
	v_add_u32_e32 v35, v43, v35
	v_lshlrev_b64 v[36:37], 1, v[36:37]
	v_lshrrev_b32_e32 v35, s99, v35
	v_add_co_u32_e64 v36, s[40:41], v0, v36
	v_mul_lo_u32 v35, v35, s84
	v_addc_co_u32_e64 v37, s[40:41], v34, v37, s[40:41]
	v_sub_u32_e32 v35, v43, v35
	flat_load_ushort v1, v[36:37]
	v_mad_i64_i32 v[36:37], s[40:41], v35, s44, 0
	v_lshlrev_b64 v[36:37], 1, v[36:37]
	v_add_co_u32_e64 v36, s[40:41], v0, v36
	v_addc_co_u32_e64 v37, s[40:41], v34, v37, s[40:41]
	flat_load_ushort v35, v[36:37]
	v_add_u32_e32 v36, v123, v124
	s_waitcnt vmcnt(0) lgkmcnt(0)
	ds_write_b16 v36, v1 offset:33792
	ds_write_b16 v36, v35 offset:34944
	v_mul_hi_u32 v1, s98, v47
	v_add_u32_e32 v1, v47, v1
	v_lshrrev_b32_e32 v1, s99, v1
	v_mul_lo_u32 v1, v1, s84
	v_sub_u32_e32 v1, v47, v1
	v_mad_i64_i32 v[36:37], s[40:41], v1, s44, 0
	v_mul_hi_u32 v1, s98, v49
	v_add_u32_e32 v1, v49, v1
	v_lshlrev_b64 v[36:37], 1, v[36:37]
	v_lshrrev_b32_e32 v1, s99, v1
	v_add_co_u32_e64 v36, s[40:41], v0, v36
	v_mul_lo_u32 v1, v1, s84
	v_addc_co_u32_e64 v37, s[40:41], v34, v37, s[40:41]
	v_sub_u32_e32 v1, v49, v1
	flat_load_ushort v35, v[36:37]
	v_mad_i64_i32 v[36:37], s[40:41], v1, s44, 0
	v_lshlrev_b64 v[36:37], 1, v[36:37]
	v_add_co_u32_e64 v36, s[40:41], v0, v36
	v_addc_co_u32_e64 v37, s[40:41], v34, v37, s[40:41]
	flat_load_ushort v36, v[36:37]
.LBB29_75:                              ;   in Loop: Header=BB29_14 Depth=1
	s_or_b64 exec, exec, s[42:43]
	v_add_u32_e32 v1, v123, v124
	s_waitcnt vmcnt(0) lgkmcnt(0)
	ds_write_b16 v1, v35 offset:36096
	ds_write_b16 v1, v36 offset:37248
                                        ; implicit-def: $sgpr42
	s_and_saveexec_b64 s[40:41], vcc
	s_xor_b64 s[40:41], exec, s[40:41]
	s_cbranch_execz .LBB29_77
; %bb.76:                               ;   in Loop: Header=BB29_14 Depth=1
	ds_write_b16 v1, v121 offset:38400
	ds_write_b16 v1, v121 offset:39552
	s_mov_b32 s42, 0
                                        ; implicit-def: $vgpr45
                                        ; implicit-def: $vgpr0
                                        ; implicit-def: $vgpr34
                                        ; implicit-def: $vgpr53
                                        ; implicit-def: $vgpr92
                                        ; implicit-def: $vgpr93
.LBB29_77:                              ;   in Loop: Header=BB29_14 Depth=1
	s_or_saveexec_b64 s[40:41], s[40:41]
	v_mov_b32_e32 v35, s42
	v_mov_b32_e32 v36, s42
	s_xor_b64 exec, exec, s[40:41]
	s_cbranch_execz .LBB29_79
; %bb.78:                               ;   in Loop: Header=BB29_14 Depth=1
	v_mul_hi_u32 v35, s98, v45
	v_add_u32_e32 v35, v45, v35
	v_lshrrev_b32_e32 v35, s99, v35
	v_mul_lo_u32 v35, v35, s84
	v_sub_u32_e32 v35, v45, v35
	s_mov_b32 s44, s70
	v_mad_i64_i32 v[36:37], s[42:43], v35, s44, 0
	v_lshlrev_b64 v[36:37], 1, v[36:37]
	v_add_co_u32_e32 v36, vcc, v0, v36
	v_addc_co_u32_e32 v37, vcc, v34, v37, vcc
	flat_load_ushort v35, v[36:37]
	v_mul_hi_u32 v36, s98, v53
	v_add_u32_e32 v36, v53, v36
	v_lshrrev_b32_e32 v36, s99, v36
	v_mul_lo_u32 v36, v36, s84
	v_sub_u32_e32 v36, v53, v36
	v_mad_i64_i32 v[36:37], s[42:43], v36, s44, 0
	v_lshlrev_b64 v[36:37], 1, v[36:37]
	v_add_co_u32_e32 v36, vcc, v0, v36
	v_addc_co_u32_e32 v37, vcc, v34, v37, vcc
	flat_load_ushort v36, v[36:37]
	s_waitcnt vmcnt(0) lgkmcnt(0)
	ds_write_b16 v1, v35 offset:38400
	ds_write_b16 v1, v36 offset:39552
	v_mul_hi_u32 v35, s98, v92
	v_add_u32_e32 v35, v92, v35
	v_lshrrev_b32_e32 v35, s99, v35
	v_mul_lo_u32 v35, v35, s84
	v_sub_u32_e32 v35, v92, v35
	v_mad_i64_i32 v[36:37], s[42:43], v35, s44, 0
	v_lshlrev_b64 v[36:37], 1, v[36:37]
	v_add_co_u32_e32 v36, vcc, v0, v36
	v_addc_co_u32_e32 v37, vcc, v34, v37, vcc
	flat_load_ushort v35, v[36:37]
	v_mul_hi_u32 v36, s98, v93
	v_add_u32_e32 v36, v93, v36
	v_lshrrev_b32_e32 v36, s99, v36
	v_mul_lo_u32 v36, v36, s84
	v_sub_u32_e32 v36, v93, v36
	v_mad_i64_i32 v[36:37], s[42:43], v36, s44, 0
	v_lshlrev_b64 v[36:37], 1, v[36:37]
	v_add_co_u32_e32 v36, vcc, v0, v36
	v_addc_co_u32_e32 v37, vcc, v34, v37, vcc
	flat_load_ushort v36, v[36:37]
.LBB29_79:                              ;   in Loop: Header=BB29_14 Depth=1
	s_or_b64 exec, exec, s[40:41]
	s_waitcnt vmcnt(0) lgkmcnt(0)
	ds_write_b16 v1, v35 offset:40704
	ds_write_b16 v1, v36 offset:41856
.LBB29_80:                              ;   in Loop: Header=BB29_14 Depth=1
	s_mul_hi_i32 s41, s88, s66
	s_mul_i32 s40, s88, s66
	s_lshl_b64 s[40:41], s[40:41], 2
	s_add_u32 s50, s68, s40
	s_addc_u32 s51, s69, s41
	v_add_co_u32_e32 v0, vcc, s50, v62
	v_mov_b32_e32 v1, s51
	v_addc_co_u32_e32 v1, vcc, v1, v63, vcc
	v_lshlrev_b32_e32 v47, 2, v48
	v_add_co_u32_e32 v0, vcc, v0, v47
	s_waitcnt vmcnt(11)
	v_cmp_gt_i32_e64 s[40:41], s64, v80
	v_addc_co_u32_e32 v1, vcc, 0, v1, vcc
	v_mov_b32_e32 v38, s97
	v_mov_b32_e32 v39, s96
	buffer_store_dword v121, off, s[0:3], 0
	buffer_store_dword v121, off, s[0:3], 0 offset:4
	buffer_store_dword v121, off, s[0:3], 0 offset:8
	;; [unrolled: 1-line block ×3, first 2 shown]
	v_cndmask_b32_e64 v1, v38, v1, s[40:41]
	v_cndmask_b32_e64 v0, v39, v0, s[40:41]
	flat_load_dwordx4 v[34:37], v[0:1]
	v_add_co_u32_e32 v0, vcc, s50, v64
	v_mov_b32_e32 v1, s51
	v_addc_co_u32_e32 v1, vcc, v1, v65, vcc
	v_add_co_u32_e32 v0, vcc, v0, v47
	s_waitcnt vmcnt(0)
	v_cmp_gt_i32_e64 s[42:43], s64, v82
	v_addc_co_u32_e32 v1, vcc, 0, v1, vcc
	v_cndmask_b32_e64 v1, v38, v1, s[42:43]
	v_cndmask_b32_e64 v0, v39, v0, s[42:43]
	v_cmp_gt_i32_e64 s[44:45], s64, v84
	v_cmp_gt_i32_e64 s[46:47], s64, v86
	s_waitcnt lgkmcnt(0)
	ds_write_b128 v126, v[34:37]
	flat_load_dwordx4 v[34:37], v[0:1]
	v_add_co_u32_e32 v0, vcc, s50, v66
	v_mov_b32_e32 v1, s51
	v_addc_co_u32_e32 v1, vcc, v1, v67, vcc
	v_add_co_u32_e32 v0, vcc, v0, v47
	v_addc_co_u32_e32 v1, vcc, 0, v1, vcc
	v_cndmask_b32_e64 v1, v38, v1, s[44:45]
	v_cndmask_b32_e64 v0, v39, v0, s[44:45]
	s_waitcnt vmcnt(0) lgkmcnt(0)
	ds_write_b128 v128, v[34:37]
	flat_load_dwordx4 v[34:37], v[0:1]
	v_add_co_u32_e32 v0, vcc, s50, v68
	v_mov_b32_e32 v1, s51
	v_addc_co_u32_e32 v1, vcc, v1, v69, vcc
	v_add_co_u32_e32 v0, vcc, v0, v47
	v_addc_co_u32_e32 v1, vcc, 0, v1, vcc
	v_cndmask_b32_e64 v1, v38, v1, s[46:47]
	v_cndmask_b32_e64 v0, v39, v0, s[46:47]
	s_andn2_b64 vcc, exec, s[48:49]
	s_waitcnt vmcnt(0) lgkmcnt(0)
	ds_write_b128 v130, v[34:37]
	flat_load_dwordx4 v[34:37], v[0:1]
	v_add_u32_e32 v0, 0x4000, v133
	s_waitcnt vmcnt(0) lgkmcnt(0)
	ds_write_b128 v132, v[34:37]
	s_waitcnt lgkmcnt(0)
	s_barrier
	ds_read2_b64 v[34:37], v133 offset1:4
	s_waitcnt lgkmcnt(0)
	v_mfma_f32_16x16x16f16 v[38:41], v[34:35], v[30:31], 0
	v_mfma_f32_16x16x16f16 v[34:37], v[36:37], v[32:33], v[38:41]
	s_nop 7
	s_nop 1
	ds_read2_b64 v[38:41], v133 offset0:8 offset1:12
	s_waitcnt lgkmcnt(0)
	v_mfma_f32_16x16x16f16 v[34:37], v[38:39], v[26:27], v[34:37]
	v_mfma_f32_16x16x16f16 v[34:37], v[40:41], v[28:29], v[34:37]
	ds_read2_b64 v[38:41], v133 offset0:16 offset1:20
	s_waitcnt lgkmcnt(0)
	v_mfma_f32_16x16x16f16 v[34:37], v[38:39], v[22:23], v[34:37]
	v_mfma_f32_16x16x16f16 v[34:37], v[40:41], v[24:25], v[34:37]
	;; [unrolled: 4-line block ×9, first 2 shown]
	s_nop 7
	s_nop 1
	ds_read2_b64 v[30:33], v0 offset0:80 offset1:84
	s_waitcnt lgkmcnt(0)
	v_mfma_f32_16x16x16f16 v[26:29], v[30:31], v[22:23], v[26:29]
	v_mfma_f32_16x16x16f16 v[22:25], v[32:33], v[24:25], v[26:29]
	s_nop 7
	s_nop 1
	ds_read2_b64 v[26:29], v0 offset0:88 offset1:92
	s_waitcnt lgkmcnt(0)
	v_mfma_f32_16x16x16f16 v[22:25], v[26:27], v[18:19], v[22:25]
	v_mfma_f32_16x16x16f16 v[18:21], v[28:29], v[20:21], v[22:25]
	;; [unrolled: 6-line block ×5, first 2 shown]
	s_nop 7
	s_nop 1
	ds_read2_b64 v[10:13], v0 offset0:120 offset1:124
	s_waitcnt lgkmcnt(0)
	v_mfma_f32_16x16x16f16 v[0:3], v[10:11], v[2:3], v[6:9]
	s_barrier
	v_mfma_f32_16x16x16f16 v[2:5], v[12:13], v[4:5], v[0:3]
	s_cbranch_vccnz .LBB29_82
; %bb.81:                               ;   in Loop: Header=BB29_14 Depth=1
	s_nop 7
	v_add_u32_e32 v0, 0x8400, v135
	ds_read2_b32 v[0:1], v0 offset1:1
	s_waitcnt lgkmcnt(0)
	v_cvt_f32_f16_e32 v6, v0
	v_cvt_f32_f16_sdwa v7, v0 dst_sel:DWORD dst_unused:UNUSED_PAD src0_sel:WORD_1
	v_cvt_f32_f16_e32 v0, v1
	v_cvt_f32_f16_sdwa v1, v1 dst_sel:DWORD dst_unused:UNUSED_PAD src0_sel:WORD_1
	v_pk_fma_f32 v[34:35], v[70:71], v[6:7], v[34:35] op_sel_hi:[0,1,1]
	ds_read_b32 v6, v139 offset:33792
	v_pk_fma_f32 v[36:37], v[70:71], v[0:1], v[36:37] op_sel_hi:[0,1,1]
	ds_read_b32 v0, v137 offset:33792
	s_waitcnt lgkmcnt(1)
	v_cvt_f32_f16_sdwa v7, v6 dst_sel:DWORD dst_unused:UNUSED_PAD src0_sel:WORD_1
	v_cvt_f32_f16_e32 v6, v6
	s_waitcnt lgkmcnt(0)
	v_cvt_f32_f16_sdwa v1, v0 dst_sel:DWORD dst_unused:UNUSED_PAD src0_sel:WORD_1
	v_cvt_f32_f16_e32 v0, v0
	v_pk_fma_f32 v[4:5], v[70:71], v[6:7], v[4:5] op_sel_hi:[0,1,1]
	v_pk_fma_f32 v[2:3], v[70:71], v[0:1], v[2:3] op_sel_hi:[0,1,1]
.LBB29_82:                              ;   in Loop: Header=BB29_14 Depth=1
	s_nop 7
	v_add_f32_e32 v0, 0x40051340, v34
	v_max_f32_e32 v1, v71, v71
	v_cmp_gt_u32_e64 s[60:61], s64, v88
	v_max_f32_e32 v0, v1, v0
	v_cndmask_b32_e64 v0, v71, v0, s[60:61]
	v_add_f32_e32 v1, 0x40051340, v35
	v_max_f32_e32 v6, v0, v0
	v_cmp_gt_u32_e64 s[62:63], s64, v96
	v_max_f32_e32 v1, v6, v1
	v_cndmask_b32_e64 v0, v0, v1, s[62:63]
	;; [unrolled: 5-line block ×7, first 2 shown]
	v_add_f32_e32 v1, 0x40051340, v5
	v_max_f32_e32 v6, v0, v0
	v_cmp_gt_u32_e32 vcc, s64, v116
	v_max_f32_e32 v1, v6, v1
	v_cndmask_b32_e32 v1, v0, v1, vcc
	v_and_b32_e32 v0, 64, v232
	v_add_u32_e32 v6, 64, v0
	v_xor_b32_e32 v0, 32, v232
	v_cmp_lt_i32_e64 s[64:65], v0, v6
	v_cndmask_b32_e64 v0, v232, v0, s[64:65]
	v_lshlrev_b32_e32 v0, 2, v0
	ds_bpermute_b32 v7, v0, v1
	v_max_f32_e32 v1, v1, v1
	v_cndmask_b32_e64 v11, v37, v37, s[62:63]
	v_cndmask_b32_e64 v3, v3, v3, s[52:53]
	;; [unrolled: 1-line block ×3, first 2 shown]
	s_waitcnt lgkmcnt(0)
	v_max_f32_e32 v7, v7, v7
	v_max_f32_e32 v1, v1, v7
	v_xor_b32_e32 v7, 16, v232
	v_cmp_lt_i32_e64 s[64:65], v7, v6
	v_cndmask_b32_e64 v6, v232, v7, s[64:65]
	v_lshlrev_b32_e32 v38, 2, v6
	ds_bpermute_b32 v6, v38, v1
	v_cndmask_b32_e64 v4, v4, v4, s[52:53]
	buffer_store_dword v121, off, s[0:3], 0
	buffer_store_dword v121, off, s[0:3], 0 offset:4
	buffer_store_dword v121, off, s[0:3], 0 offset:8
	;; [unrolled: 1-line block ×3, first 2 shown]
	s_movk_i32 s89, 0x47
	s_waitcnt lgkmcnt(0)
	v_max_f32_e32 v6, v6, v6
	v_max_f32_e32 v6, v1, v6
	v_sub_f32_e32 v1, v34, v6
	v_mul_f32_e32 v7, 0x3fb8aa3b, v1
	v_fma_f32 v8, v1, s31, -v7
	v_rndne_f32_e32 v9, v7
	v_fmac_f32_e32 v8, 0x32a5705f, v1
	v_sub_f32_e32 v7, v7, v9
	v_add_f32_e32 v7, v7, v8
	v_exp_f32_e32 v7, v7
	v_cvt_i32_f32_e32 v8, v9
	v_cmp_ngt_f32_e64 s[64:65], s85, v1
	v_sub_f32_e32 v2, v2, v6
	v_ldexp_f32 v7, v7, v8
	v_cndmask_b32_e64 v7, 0, v7, s[64:65]
	v_cmp_nlt_f32_e64 s[64:65], s39, v1
	v_cndmask_b32_e64 v1, v110, v7, s[64:65]
	v_cndmask_b32_e64 v8, 0, v1, s[60:61]
	v_sub_f32_e32 v1, v35, v6
	v_mul_f32_e32 v7, 0x3fb8aa3b, v1
	v_fma_f32 v9, v1, s31, -v7
	v_rndne_f32_e32 v10, v7
	v_fmac_f32_e32 v9, 0x32a5705f, v1
	v_sub_f32_e32 v7, v7, v10
	v_add_f32_e32 v7, v7, v9
	v_exp_f32_e32 v7, v7
	v_cvt_i32_f32_e32 v9, v10
	v_cmp_ngt_f32_e64 s[60:61], s85, v1
	v_cndmask_b32_e64 v10, v36, v36, s[62:63]
	v_ldexp_f32 v7, v7, v9
	v_cndmask_b32_e64 v7, 0, v7, s[60:61]
	v_cmp_nlt_f32_e64 s[60:61], s39, v1
	v_cndmask_b32_e64 v7, v110, v7, s[60:61]
	v_mov_b32_e32 v1, s35
	v_add_f32_e32 v9, v7, v8
	v_cndmask_b32_e64 v16, v1, v7, s[62:63]
	v_sub_f32_e32 v7, v10, v6
	v_cndmask_b32_e64 v1, v8, v9, s[62:63]
	v_mul_f32_e32 v9, 0x3fb8aa3b, v7
	v_fma_f32 v10, v7, s31, -v9
	v_rndne_f32_e32 v12, v9
	v_fmac_f32_e32 v10, 0x32a5705f, v7
	v_sub_f32_e32 v9, v9, v12
	v_add_f32_e32 v9, v9, v10
	v_exp_f32_e32 v9, v9
	v_cvt_i32_f32_e32 v10, v12
	v_cmp_ngt_f32_e64 s[60:61], s85, v7
	v_ldexp_f32 v9, v9, v10
	v_cndmask_b32_e64 v9, 0, v9, s[60:61]
	v_cmp_nlt_f32_e64 s[60:61], s39, v7
	v_cndmask_b32_e64 v7, v110, v9, s[60:61]
	v_mov_b32_e32 v10, s35
	v_add_f32_e32 v9, v1, v7
	v_cndmask_b32_e64 v17, v10, v7, s[56:57]
	v_sub_f32_e32 v7, v11, v6
	v_cndmask_b32_e64 v1, v1, v9, s[56:57]
	v_mul_f32_e32 v9, 0x3fb8aa3b, v7
	v_fma_f32 v10, v7, s31, -v9
	v_rndne_f32_e32 v11, v9
	v_fmac_f32_e32 v10, 0x32a5705f, v7
	v_sub_f32_e32 v9, v9, v11
	v_add_f32_e32 v9, v9, v10
	v_exp_f32_e32 v9, v9
	v_cvt_i32_f32_e32 v10, v11
	v_cmp_ngt_f32_e64 s[56:57], s85, v7
	v_ldexp_f32 v9, v9, v10
	v_cndmask_b32_e64 v9, 0, v9, s[56:57]
	v_cmp_nlt_f32_e64 s[56:57], s39, v7
	v_cndmask_b32_e64 v9, v110, v9, s[56:57]
	v_mov_b32_e32 v7, s35
	v_add_f32_e32 v10, v1, v9
	v_cndmask_b32_e64 v9, v7, v9, s[54:55]
	v_mul_f32_e32 v7, 0x3fb8aa3b, v2
	v_cndmask_b32_e64 v1, v1, v10, s[54:55]
	v_fma_f32 v10, v2, s31, -v7
	v_rndne_f32_e32 v11, v7
	v_fmac_f32_e32 v10, 0x32a5705f, v2
	v_sub_f32_e32 v7, v7, v11
	v_add_f32_e32 v7, v7, v10
	v_exp_f32_e32 v7, v7
	v_cvt_i32_f32_e32 v10, v11
	v_cmp_ngt_f32_e64 s[54:55], s85, v2
	v_ldexp_f32 v7, v7, v10
	v_cndmask_b32_e64 v7, 0, v7, s[54:55]
	v_cmp_nlt_f32_e64 s[54:55], s39, v2
	v_cndmask_b32_e64 v7, v110, v7, s[54:55]
	v_add_f32_e32 v10, v7, v1
	v_mov_b32_e32 v2, s35
	v_cndmask_b32_e64 v49, v2, v7, s[52:53]
	v_cndmask_b32_e64 v2, v1, v10, s[52:53]
	v_sub_f32_e32 v1, v3, v6
	v_mul_f32_e32 v3, 0x3fb8aa3b, v1
	v_fma_f32 v7, v1, s31, -v3
	v_rndne_f32_e32 v10, v3
	v_fmac_f32_e32 v7, 0x32a5705f, v1
	v_sub_f32_e32 v3, v3, v10
	v_add_f32_e32 v3, v3, v7
	v_exp_f32_e32 v3, v3
	v_cvt_i32_f32_e32 v7, v10
	v_cmp_ngt_f32_e64 s[52:53], s85, v1
	v_ldexp_f32 v3, v3, v7
	v_cndmask_b32_e64 v3, 0, v3, s[52:53]
	v_cmp_nlt_f32_e64 s[52:53], s39, v1
	v_cndmask_b32_e64 v3, v110, v3, s[52:53]
	v_add_f32_e32 v7, v3, v2
	v_mov_b32_e32 v1, s35
	v_cndmask_b32_e64 v50, v1, v3, s[50:51]
	v_cndmask_b32_e64 v1, v2, v7, s[50:51]
	v_sub_f32_e32 v2, v4, v6
	v_mul_f32_e32 v3, 0x3fb8aa3b, v2
	v_fma_f32 v4, v2, s31, -v3
	v_rndne_f32_e32 v7, v3
	v_fmac_f32_e32 v4, 0x32a5705f, v2
	v_sub_f32_e32 v3, v3, v7
	v_add_f32_e32 v3, v3, v4
	v_exp_f32_e32 v3, v3
	v_cvt_i32_f32_e32 v4, v7
	v_cmp_ngt_f32_e64 s[50:51], s85, v2
	v_ldexp_f32 v3, v3, v4
	v_cndmask_b32_e64 v3, 0, v3, s[50:51]
	v_cmp_nlt_f32_e64 s[50:51], s39, v2
	v_cndmask_b32_e64 v3, v110, v3, s[50:51]
	v_mov_b32_e32 v2, s35
	v_cndmask_b32_e64 v53, v2, v3, s[48:49]
	v_sub_f32_e32 v2, v5, v6
	v_add_f32_e32 v4, v3, v1
	v_mul_f32_e32 v3, 0x3fb8aa3b, v2
	v_cndmask_b32_e64 v1, v1, v4, s[48:49]
	v_fma_f32 v4, v2, s31, -v3
	v_rndne_f32_e32 v5, v3
	v_fmac_f32_e32 v4, 0x32a5705f, v2
	v_sub_f32_e32 v3, v3, v5
	v_add_f32_e32 v3, v3, v4
	v_exp_f32_e32 v3, v3
	v_cvt_i32_f32_e32 v4, v5
	v_cmp_ngt_f32_e64 s[48:49], s85, v2
	v_ldexp_f32 v3, v3, v4
	v_cndmask_b32_e64 v3, 0, v3, s[48:49]
	v_cmp_nlt_f32_e64 s[48:49], s39, v2
	v_cndmask_b32_e64 v2, v110, v3, s[48:49]
	v_add_f32_e32 v4, v2, v1
	v_mov_b32_e32 v3, s35
	v_cndmask_b32_e32 v7, v1, v4, vcc
	v_sub_f32_e32 v1, v71, v6
	v_cndmask_b32_e32 v3, v3, v2, vcc
	v_mul_f32_e32 v2, 0x3fb8aa3b, v1
	v_fma_f32 v4, v1, s31, -v2
	v_rndne_f32_e32 v5, v2
	v_fmac_f32_e32 v4, 0x32a5705f, v1
	v_sub_f32_e32 v2, v2, v5
	v_add_f32_e32 v2, v2, v4
	v_exp_f32_e32 v2, v2
	v_cvt_i32_f32_e32 v4, v5
	v_cmp_ngt_f32_e32 vcc, s85, v1
	v_cvt_f16_f32_e32 v3, v3
	s_mul_hi_i32 s49, s88, s86
	v_ldexp_f32 v2, v2, v4
	v_cndmask_b32_e32 v2, 0, v2, vcc
	v_cmp_nlt_f32_e32 vcc, s39, v1
	v_cndmask_b32_e32 v2, v110, v2, vcc
	v_cmp_le_f32_e32 vcc, s33, v1
	v_cndmask_b32_e32 v1, 0, v2, vcc
	v_cvt_f16_f32_e32 v2, v1
	v_fmac_f32_e32 v7, v94, v1
	v_cvt_f16_f32_e32 v4, v16
	s_mul_i32 s48, s88, s86
	v_pk_mul_f16 v18, v2, v97 op_sel_hi:[0,1]
	v_pk_mul_f16 v15, v2, v51 op_sel_hi:[0,1]
	;; [unrolled: 1-line block ×32, first 2 shown]
	v_cvt_f16_f32_e32 v2, v8
	s_lshl_b64 s[48:49], s[48:49], 2
	s_add_u32 s48, s91, s48
	s_addc_u32 s49, s38, s49
	v_pack_b32_f16 v16, v2, v4
	v_cvt_f16_f32_e32 v2, v17
	v_cvt_f16_f32_e32 v4, v9
	v_mov_b32_e32 v5, s49
	v_mov_b32_e32 v44, s97
	ds_bpermute_b32 v0, v0, v7
	v_pack_b32_f16 v17, v2, v4
	v_cvt_f16_f32_e32 v2, v49
	v_cvt_f16_f32_e32 v4, v50
	v_mov_b32_e32 v49, s96
	s_waitcnt lgkmcnt(0)
	v_add_f32_e32 v0, v7, v0
	ds_bpermute_b32 v7, v38, v0
	v_pack_b32_f16 v2, v2, v4
	v_cvt_f16_f32_e32 v4, v53
	s_cmp_eq_u64 s[72:73], 0
	s_waitcnt lgkmcnt(0)
	v_add_f32_e32 v7, v0, v7
	v_pack_b32_f16 v3, v4, v3
	v_add_co_u32_e32 v4, vcc, s48, v54
	v_addc_co_u32_e32 v5, vcc, v5, v55, vcc
	v_add_co_u32_e32 v4, vcc, v4, v47
	v_addc_co_u32_e32 v5, vcc, 0, v5, vcc
	v_cndmask_b32_e64 v51, v44, v5, s[40:41]
	v_cndmask_b32_e64 v50, v49, v4, s[40:41]
	flat_load_dwordx4 v[74:77], v[50:51]
	v_add_co_u32_e32 v4, vcc, s48, v56
	v_mov_b32_e32 v5, s49
	v_addc_co_u32_e32 v5, vcc, v5, v57, vcc
	v_add_co_u32_e32 v4, vcc, v4, v47
	v_addc_co_u32_e32 v5, vcc, 0, v5, vcc
	v_cndmask_b32_e64 v79, v44, v5, s[42:43]
	v_cndmask_b32_e64 v78, v49, v4, s[42:43]
	v_add_co_u32_e32 v4, vcc, s48, v58
	v_mov_b32_e32 v5, s49
	v_addc_co_u32_e32 v5, vcc, v5, v59, vcc
	v_add_co_u32_e32 v4, vcc, v4, v47
	v_addc_co_u32_e32 v5, vcc, 0, v5, vcc
	v_cndmask_b32_e64 v9, v44, v5, s[44:45]
	v_cndmask_b32_e64 v8, v49, v4, s[44:45]
	;; [unrolled: 7-line block ×3, first 2 shown]
	v_readlane_b32 s48, v254, 56
	v_readlane_b32 s49, v254, 57
	s_cselect_b64 s[40:41], -1, 0
	s_xor_b64 s[42:43], s[48:49], -1
	s_or_b64 s[40:41], s[42:43], s[40:41]
	s_waitcnt vmcnt(0) lgkmcnt(0)
	ds_write_b128 v126, v[74:77]
	flat_load_dwordx4 v[74:77], v[78:79]
	s_waitcnt vmcnt(0) lgkmcnt(0)
	ds_write_b128 v128, v[74:77]
	flat_load_dwordx4 v[74:77], v[8:9]
	;; [unrolled: 3-line block ×3, first 2 shown]
	s_waitcnt vmcnt(0) lgkmcnt(0)
	ds_write_b128 v132, v[74:77]
	s_waitcnt lgkmcnt(0)
	s_barrier
	ds_read_u16 v4, v141 offset:528
	ds_read_u16 v5, v141 offset:1056
	ds_read_u16 v8, v142
	ds_read_u16 v9, v142 offset:32
	v_cvt_f32_f16_e32 v74, v18
	v_cvt_f32_f16_sdwa v75, v18 dst_sel:DWORD dst_unused:UNUSED_PAD src0_sel:WORD_1
	v_cvt_f32_f16_e32 v76, v15
	s_waitcnt lgkmcnt(1)
	v_perm_b32 v5, v8, v5, s30
	ds_read_u16 v8, v140
	ds_read_u16 v44, v140 offset:32
	v_cvt_f32_f16_sdwa v77, v15 dst_sel:DWORD dst_unused:UNUSED_PAD src0_sel:WORD_1
	ds_read_u16 v18, v140 offset:16896
	ds_read_u16 v47, v143 offset:528
	;; [unrolled: 1-line block ×4, first 2 shown]
	s_waitcnt lgkmcnt(5)
	v_perm_b32 v4, v4, v8, s30
	s_nop 1
	v_mfma_f32_16x16x16f16 v[74:77], v[4:5], v[16:17], v[74:77]
	s_nop 7
	s_nop 2
	v_cvt_f16_f32_e32 v4, v74
	v_cvt_f16_f32_e32 v5, v75
	;; [unrolled: 1-line block ×4, first 2 shown]
	v_cvt_f32_f16_e32 v74, v4
	v_cvt_f32_f16_e32 v75, v5
	s_waitcnt lgkmcnt(0)
	v_perm_b32 v5, v50, v49, s30
	v_perm_b32 v4, v47, v18, s30
	v_cvt_f32_f16_e32 v76, v8
	v_cvt_f32_f16_e32 v77, v15
	s_nop 1
	v_mfma_f32_16x16x16f16 v[74:77], v[4:5], v[2:3], v[74:77]
	s_nop 7
	s_nop 2
	v_cvt_f16_f32_e32 v4, v74
	v_cvt_f16_f32_e32 v5, v75
	;; [unrolled: 1-line block ×4, first 2 shown]
	v_cvt_f32_f16_e32 v74, v20
	v_pack_b32_f16 v18, v4, v5
	ds_read_u16 v4, v144 offset:528
	ds_read_u16 v5, v144 offset:1056
	v_cvt_f32_f16_sdwa v75, v20 dst_sel:DWORD dst_unused:UNUSED_PAD src0_sel:WORD_1
	v_cvt_f32_f16_e32 v76, v19
	v_cvt_f32_f16_sdwa v77, v19 dst_sel:DWORD dst_unused:UNUSED_PAD src0_sel:WORD_1
	s_waitcnt lgkmcnt(1)
	v_perm_b32 v4, v4, v44, s30
	s_waitcnt lgkmcnt(0)
	v_perm_b32 v5, v9, v5, s30
	ds_read_u16 v19, v145 offset:16896
	ds_read_u16 v20, v146 offset:528
	;; [unrolled: 1-line block ×4, first 2 shown]
	v_mfma_f32_16x16x16f16 v[74:77], v[4:5], v[16:17], v[74:77]
	v_pack_b32_f16 v15, v8, v15
	s_nop 7
	s_nop 1
	v_cvt_f16_f32_e32 v4, v74
	v_cvt_f16_f32_e32 v5, v75
	v_cvt_f16_f32_e32 v8, v76
	v_cvt_f16_f32_e32 v9, v77
	v_cvt_f32_f16_e32 v74, v4
	v_cvt_f32_f16_e32 v75, v5
	s_waitcnt lgkmcnt(0)
	v_perm_b32 v5, v47, v44, s30
	v_perm_b32 v4, v20, v19, s30
	v_cvt_f32_f16_e32 v76, v8
	v_cvt_f32_f16_e32 v77, v9
	s_nop 1
	v_mfma_f32_16x16x16f16 v[74:77], v[4:5], v[2:3], v[74:77]
	s_nop 7
	s_nop 2
	v_cvt_f16_f32_e32 v4, v74
	v_cvt_f16_f32_e32 v5, v75
	v_cvt_f16_f32_e32 v8, v76
	v_cvt_f16_f32_e32 v9, v77
	v_cvt_f32_f16_e32 v74, v22
	v_pack_b32_f16 v20, v4, v5
	v_cvt_f32_f16_sdwa v75, v22 dst_sel:DWORD dst_unused:UNUSED_PAD src0_sel:WORD_1
	v_pack_b32_f16 v19, v8, v9
	ds_read_u16 v4, v140 offset:64
	ds_read_u16 v8, v149 offset:528
	ds_read_u16 v5, v149 offset:1056
	ds_read_u16 v9, v142 offset:64
	v_cvt_f32_f16_e32 v76, v21
	v_cvt_f32_f16_sdwa v77, v21 dst_sel:DWORD dst_unused:UNUSED_PAD src0_sel:WORD_1
	s_waitcnt lgkmcnt(2)
	v_perm_b32 v4, v8, v4, s30
	ds_read_u16 v21, v150 offset:16896
	ds_read_u16 v22, v151 offset:528
	ds_read_u16 v44, v152 offset:1056
	ds_read_u16 v47, v153 offset:16896
	s_waitcnt lgkmcnt(4)
	v_perm_b32 v5, v9, v5, s30
	s_nop 1
	v_mfma_f32_16x16x16f16 v[74:77], v[4:5], v[16:17], v[74:77]
	s_nop 7
	s_nop 2
	v_cvt_f16_f32_e32 v4, v74
	v_cvt_f16_f32_e32 v5, v75
	v_cvt_f16_f32_e32 v8, v76
	v_cvt_f16_f32_e32 v9, v77
	v_cvt_f32_f16_e32 v74, v4
	v_cvt_f32_f16_e32 v75, v5
	s_waitcnt lgkmcnt(0)
	v_perm_b32 v5, v47, v44, s30
	v_perm_b32 v4, v22, v21, s30
	v_cvt_f32_f16_e32 v76, v8
	v_cvt_f32_f16_e32 v77, v9
	s_nop 1
	v_mfma_f32_16x16x16f16 v[74:77], v[4:5], v[2:3], v[74:77]
	s_nop 7
	s_nop 2
	v_cvt_f16_f32_e32 v4, v74
	v_cvt_f16_f32_e32 v5, v75
	v_cvt_f16_f32_e32 v8, v76
	v_cvt_f16_f32_e32 v9, v77
	v_cvt_f32_f16_e32 v74, v26
	v_pack_b32_f16 v22, v4, v5
	v_cvt_f32_f16_sdwa v75, v26 dst_sel:DWORD dst_unused:UNUSED_PAD src0_sel:WORD_1
	v_pack_b32_f16 v21, v8, v9
	ds_read_u16 v4, v140 offset:96
	ds_read_u16 v8, v154 offset:528
	ds_read_u16 v5, v154 offset:1056
	ds_read_u16 v9, v142 offset:96
	v_cvt_f32_f16_e32 v76, v25
	v_cvt_f32_f16_sdwa v77, v25 dst_sel:DWORD dst_unused:UNUSED_PAD src0_sel:WORD_1
	s_waitcnt lgkmcnt(2)
	v_perm_b32 v4, v8, v4, s30
	ds_read_u16 v25, v155 offset:16896
	ds_read_u16 v26, v156 offset:528
	ds_read_u16 v44, v157 offset:1056
	ds_read_u16 v47, v158 offset:16896
	s_waitcnt lgkmcnt(4)
	v_perm_b32 v5, v9, v5, s30
	s_nop 1
	v_mfma_f32_16x16x16f16 v[74:77], v[4:5], v[16:17], v[74:77]
	;; [unrolled: 41-line block ×6, first 2 shown]
	s_nop 7
	s_nop 2
	v_cvt_f16_f32_e32 v4, v74
	v_cvt_f16_f32_e32 v5, v75
	v_cvt_f16_f32_e32 v8, v76
	v_cvt_f16_f32_e32 v9, v77
	v_cvt_f32_f16_e32 v74, v4
	v_cvt_f32_f16_e32 v75, v5
	s_waitcnt lgkmcnt(0)
	v_perm_b32 v5, v47, v44, s30
	v_perm_b32 v4, v36, v35, s30
	v_cvt_f32_f16_e32 v76, v8
	v_cvt_f32_f16_e32 v77, v9
	s_nop 1
	v_mfma_f32_16x16x16f16 v[74:77], v[4:5], v[2:3], v[74:77]
	s_nop 7
	s_nop 2
	v_cvt_f16_f32_e32 v4, v74
	v_cvt_f16_f32_e32 v5, v75
	v_cvt_f16_f32_e32 v8, v76
	v_cvt_f16_f32_e32 v9, v77
	v_cvt_f32_f16_e32 v74, v45
	v_pack_b32_f16 v36, v4, v5
	v_cvt_f32_f16_sdwa v75, v45 dst_sel:DWORD dst_unused:UNUSED_PAD src0_sel:WORD_1
	v_pack_b32_f16 v35, v8, v9
	ds_read_u16 v4, v140 offset:256
	ds_read_u16 v8, v179 offset:528
	ds_read_u16 v5, v179 offset:1056
	ds_read_u16 v9, v142 offset:256
	v_cvt_f32_f16_e32 v76, v1
	v_cvt_f32_f16_sdwa v77, v1 dst_sel:DWORD dst_unused:UNUSED_PAD src0_sel:WORD_1
	s_waitcnt lgkmcnt(2)
	v_perm_b32 v4, v8, v4, s30
	s_waitcnt lgkmcnt(0)
	v_perm_b32 v5, v9, v5, s30
	ds_read_u16 v9, v180 offset:16896
	ds_read_u16 v44, v181 offset:528
	ds_read_u16 v45, v182 offset:1056
	ds_read_u16 v47, v183 offset:16896
	v_mfma_f32_16x16x16f16 v[74:77], v[4:5], v[16:17], v[74:77]
	s_nop 7
	s_nop 2
	v_cvt_f16_f32_e32 v4, v75
	v_cvt_f16_f32_e32 v5, v76
	v_cvt_f16_f32_e32 v1, v74
	v_cvt_f16_f32_e32 v8, v77
	v_cvt_f32_f16_e32 v75, v4
	v_cvt_f32_f16_e32 v76, v5
	s_waitcnt lgkmcnt(0)
	v_perm_b32 v5, v47, v45, s30
	v_perm_b32 v4, v44, v9, s30
	v_cvt_f32_f16_e32 v74, v1
	v_cvt_f32_f16_e32 v77, v8
	s_nop 1
	v_mfma_f32_16x16x16f16 v[74:77], v[4:5], v[2:3], v[74:77]
	s_nop 7
	s_nop 2
	v_cvt_f16_f32_e32 v1, v74
	v_cvt_f16_f32_e32 v4, v75
	v_cvt_f16_f32_e32 v5, v76
	v_cvt_f16_f32_e32 v8, v77
	v_cvt_f32_f16_e32 v74, v43
	v_pack_b32_f16 v4, v1, v4
	v_cvt_f32_f16_sdwa v75, v43 dst_sel:DWORD dst_unused:UNUSED_PAD src0_sel:WORD_1
	v_pack_b32_f16 v1, v5, v8
	ds_read_u16 v5, v140 offset:288
	ds_read_u16 v8, v184 offset:528
	ds_read_u16 v9, v184 offset:1056
	ds_read_u16 v44, v142 offset:288
	v_cvt_f32_f16_e32 v76, v41
	v_cvt_f32_f16_sdwa v77, v41 dst_sel:DWORD dst_unused:UNUSED_PAD src0_sel:WORD_1
	s_waitcnt lgkmcnt(2)
	v_perm_b32 v8, v8, v5, s30
	s_waitcnt lgkmcnt(0)
	v_perm_b32 v9, v44, v9, s30
	ds_read_u16 v43, v185 offset:16896
	ds_read_u16 v44, v186 offset:528
	ds_read_u16 v45, v187 offset:1056
	ds_read_u16 v47, v188 offset:16896
	v_mfma_f32_16x16x16f16 v[74:77], v[8:9], v[16:17], v[74:77]
	;; [unrolled: 40-line block ×5, first 2 shown]
	s_nop 7
	s_nop 2
	v_cvt_f16_f32_e32 v40, v76
	v_cvt_f16_f32_e32 v41, v77
	;; [unrolled: 1-line block ×4, first 2 shown]
	v_cvt_f32_f16_e32 v76, v40
	v_cvt_f32_f16_e32 v77, v41
	s_waitcnt lgkmcnt(0)
	v_perm_b32 v41, v47, v45, s30
	v_perm_b32 v40, v44, v43, s30
	v_cvt_f32_f16_e32 v74, v13
	v_cvt_f32_f16_e32 v75, v14
	s_nop 1
	v_mfma_f32_16x16x16f16 v[74:77], v[40:41], v[2:3], v[74:77]
	s_nop 7
	s_nop 2
	v_cvt_f16_f32_e32 v13, v74
	v_cvt_f16_f32_e32 v14, v75
	;; [unrolled: 1-line block ×4, first 2 shown]
	v_cvt_f32_f16_e32 v74, v24
	v_pack_b32_f16 v14, v13, v14
	v_cvt_f32_f16_sdwa v75, v24 dst_sel:DWORD dst_unused:UNUSED_PAD src0_sel:WORD_1
	v_pack_b32_f16 v13, v40, v41
	ds_read_u16 v40, v140 offset:416
	ds_read_u16 v41, v204 offset:528
	;; [unrolled: 1-line block ×4, first 2 shown]
	v_cvt_f32_f16_e32 v76, v23
	v_cvt_f32_f16_sdwa v77, v23 dst_sel:DWORD dst_unused:UNUSED_PAD src0_sel:WORD_1
	s_waitcnt lgkmcnt(0)
	v_perm_b32 v45, v44, v43, s30
	v_perm_b32 v44, v41, v40, s30
	s_nop 1
	v_mfma_f32_16x16x16f16 v[74:77], v[44:45], v[16:17], v[74:77]
	ds_read_u16 v43, v205 offset:16896
	ds_read_u16 v44, v206 offset:528
	ds_read_u16 v45, v207 offset:1056
	ds_read_u16 v47, v208 offset:16896
	s_nop 6
	v_cvt_f16_f32_e32 v40, v76
	v_cvt_f16_f32_e32 v41, v77
	;; [unrolled: 1-line block ×4, first 2 shown]
	v_cvt_f32_f16_e32 v76, v40
	v_cvt_f32_f16_e32 v77, v41
	s_waitcnt lgkmcnt(0)
	v_perm_b32 v41, v47, v45, s30
	v_perm_b32 v40, v44, v43, s30
	v_cvt_f32_f16_e32 v74, v23
	v_cvt_f32_f16_e32 v75, v24
	s_nop 1
	v_mfma_f32_16x16x16f16 v[74:77], v[40:41], v[2:3], v[74:77]
	s_nop 7
	s_nop 2
	v_cvt_f16_f32_e32 v23, v74
	v_cvt_f16_f32_e32 v24, v75
	;; [unrolled: 1-line block ×4, first 2 shown]
	v_cvt_f32_f16_e32 v74, v28
	v_pack_b32_f16 v24, v23, v24
	v_cvt_f32_f16_sdwa v75, v28 dst_sel:DWORD dst_unused:UNUSED_PAD src0_sel:WORD_1
	v_pack_b32_f16 v23, v40, v41
	ds_read_u16 v40, v140 offset:448
	ds_read_u16 v43, v209 offset:528
	;; [unrolled: 1-line block ×4, first 2 shown]
	v_cvt_f32_f16_e32 v76, v27
	v_cvt_f32_f16_sdwa v77, v27 dst_sel:DWORD dst_unused:UNUSED_PAD src0_sel:WORD_1
	s_waitcnt lgkmcnt(2)
	v_perm_b32 v40, v43, v40, s30
	s_waitcnt lgkmcnt(0)
	v_perm_b32 v41, v44, v41, s30
	ds_read_u16 v43, v210 offset:16896
	ds_read_u16 v44, v211 offset:528
	;; [unrolled: 1-line block ×4, first 2 shown]
	v_mfma_f32_16x16x16f16 v[74:77], v[40:41], v[16:17], v[74:77]
	s_nop 7
	s_nop 2
	v_cvt_f16_f32_e32 v40, v76
	v_cvt_f16_f32_e32 v41, v77
	v_cvt_f16_f32_e32 v27, v74
	v_cvt_f16_f32_e32 v28, v75
	v_cvt_f32_f16_e32 v76, v40
	v_cvt_f32_f16_e32 v77, v41
	s_waitcnt lgkmcnt(0)
	v_perm_b32 v41, v47, v45, s30
	v_perm_b32 v40, v44, v43, s30
	v_cvt_f32_f16_e32 v74, v27
	v_cvt_f32_f16_e32 v75, v28
	s_nop 1
	v_mfma_f32_16x16x16f16 v[74:77], v[40:41], v[2:3], v[74:77]
	s_nop 7
	s_nop 2
	v_cvt_f16_f32_e32 v27, v74
	v_cvt_f16_f32_e32 v28, v75
	;; [unrolled: 1-line block ×4, first 2 shown]
	v_cvt_f32_f16_e32 v74, v39
	v_pack_b32_f16 v28, v27, v28
	v_cvt_f32_f16_sdwa v75, v39 dst_sel:DWORD dst_unused:UNUSED_PAD src0_sel:WORD_1
	v_pack_b32_f16 v27, v40, v41
	ds_read_u16 v40, v140 offset:480
	ds_read_u16 v43, v214 offset:528
	;; [unrolled: 1-line block ×4, first 2 shown]
	v_cvt_f32_f16_e32 v76, v37
	v_cvt_f32_f16_sdwa v77, v37 dst_sel:DWORD dst_unused:UNUSED_PAD src0_sel:WORD_1
	s_waitcnt lgkmcnt(2)
	v_perm_b32 v40, v43, v40, s30
	s_waitcnt lgkmcnt(0)
	v_perm_b32 v41, v44, v41, s30
	s_nop 1
	v_mfma_f32_16x16x16f16 v[74:77], v[40:41], v[16:17], v[74:77]
	ds_read_u16 v40, v215 offset:16896
	ds_read_u16 v41, v216 offset:528
	;; [unrolled: 1-line block ×4, first 2 shown]
	s_waitcnt lgkmcnt(0)
	s_barrier
	s_nop 4
	v_cvt_f16_f32_e32 v16, v74
	v_cvt_f16_f32_e32 v17, v75
	;; [unrolled: 1-line block ×4, first 2 shown]
	v_cvt_f32_f16_e32 v74, v16
	v_cvt_f32_f16_e32 v75, v17
	v_perm_b32 v17, v44, v43, s30
	v_perm_b32 v16, v41, v40, s30
	v_cvt_f32_f16_e32 v76, v37
	v_cvt_f32_f16_e32 v77, v39
	s_nop 1
	v_mfma_f32_16x16x16f16 v[74:77], v[16:17], v[2:3], v[74:77]
	s_nop 7
	s_nop 2
	v_cvt_f16_f32_e32 v2, v74
	v_cvt_f16_f32_e32 v3, v75
	;; [unrolled: 1-line block ×4, first 2 shown]
	v_pack_b32_f16 v2, v2, v3
	v_pack_b32_f16 v3, v16, v17
	s_and_saveexec_b64 s[42:43], s[40:41]
	s_xor_b64 s[40:41], exec, s[42:43]
	s_or_saveexec_b64 s[40:41], s[40:41]
	s_mov_b32 s88, s70
	s_xor_b64 exec, exec, s[40:41]
	s_cbranch_execz .LBB29_84
; %bb.83:                               ;   in Loop: Header=BB29_14 Depth=1
	global_load_dword v0, v121, s[72:73]
	v_max_f32_e32 v17, v6, v6
	s_waitcnt vmcnt(0)
	v_max_f32_e32 v16, v0, v0
	v_max_f32_e32 v16, v17, v16
	v_sub_f32_e32 v6, v6, v16
	v_mul_f32_e32 v17, 0x3fb8aa3b, v6
	v_fma_f32 v37, v6, s31, -v17
	v_rndne_f32_e32 v39, v17
	v_fmac_f32_e32 v37, 0x32a5705f, v6
	v_sub_f32_e32 v17, v17, v39
	v_add_f32_e32 v17, v17, v37
	v_exp_f32_e32 v17, v17
	v_cvt_i32_f32_e32 v37, v39
	v_cmp_ngt_f32_e32 vcc, s85, v6
	v_sub_f32_e32 v0, v0, v16
	v_ldexp_f32 v17, v17, v37
	v_cndmask_b32_e32 v17, 0, v17, vcc
	v_cmp_nlt_f32_e32 vcc, s39, v6
	v_cndmask_b32_e32 v17, v110, v17, vcc
	v_cmp_le_f32_e32 vcc, s33, v6
	v_cndmask_b32_e32 v6, 0, v17, vcc
	v_cvt_f16_f32_e32 v17, v6
	v_cmp_ngt_f32_e32 vcc, s85, v0
	v_pk_mul_f16 v18, v17, v18 op_sel_hi:[0,1]
	v_pk_mul_f16 v15, v17, v15 op_sel_hi:[0,1]
	;; [unrolled: 1-line block ×32, first 2 shown]
	v_mul_f32_e32 v17, 0x3fb8aa3b, v0
	v_fma_f32 v37, v0, s31, -v17
	v_rndne_f32_e32 v39, v17
	v_fmac_f32_e32 v37, 0x32a5705f, v0
	v_sub_f32_e32 v17, v17, v39
	v_add_f32_e32 v17, v17, v37
	v_exp_f32_e32 v17, v17
	v_cvt_i32_f32_e32 v37, v39
	v_ldexp_f32 v17, v17, v37
	v_cndmask_b32_e32 v17, 0, v17, vcc
	v_cmp_nlt_f32_e32 vcc, s39, v0
	v_cndmask_b32_e32 v17, v110, v17, vcc
	v_fmac_f32_e32 v17, v7, v6
	v_pk_mov_b32 v[6:7], v[16:17], v[16:17] op_sel:[0,1]
.LBB29_84:                              ;   in Loop: Header=BB29_14 Depth=1
	s_or_b64 exec, exec, s[40:41]
	s_mov_b64 s[40:41], exec
	v_readlane_b32 s42, v254, 60
	v_readlane_b32 s43, v254, 61
	s_and_b64 s[42:43], s[40:41], s[42:43]
	v_readlane_b32 s56, v255, 16
	s_mov_b64 exec, s[42:43]
	s_cbranch_execz .LBB29_86
; %bb.85:                               ;   in Loop: Header=BB29_14 Depth=1
	buffer_load_dword v0, off, s[0:3], 0 offset:68 ; 4-byte Folded Reload
	s_waitcnt vmcnt(0)
	v_add_u32_e32 v0, 0, v0
	ds_write2_b32 v0, v6, v7 offset0:64 offset1:65
.LBB29_86:                              ;   in Loop: Header=BB29_14 Depth=1
	s_or_b64 exec, exec, s[40:41]
	s_waitcnt lgkmcnt(0)
	s_barrier
	s_mov_b64 s[40:41], exec
	v_readlane_b32 s42, v254, 58
	v_readlane_b32 s43, v254, 59
	s_and_b64 s[42:43], s[40:41], s[42:43]
	s_xor_b64 s[40:41], s[42:43], s[40:41]
	s_mov_b64 exec, s[42:43]
	s_cbranch_execz .LBB29_88
; %bb.87:                               ;   in Loop: Header=BB29_14 Depth=1
	s_barrier
	s_waitcnt lgkmcnt(0)
                                        ; implicit-def: $vgpr38
.LBB29_88:                              ;   in Loop: Header=BB29_14 Depth=1
	s_andn2_saveexec_b64 s[40:41], s[40:41]
	s_cbranch_execz .LBB29_94
; %bb.89:                               ;   in Loop: Header=BB29_14 Depth=1
	buffer_load_dword v0, off, s[0:3], 0 offset:72 ; 4-byte Folded Reload
	s_waitcnt vmcnt(0)
	v_add_u32_e32 v0, 0, v0
	ds_read_b64 v[40:41], v0 offset:256
	s_waitcnt lgkmcnt(0)
	s_barrier
	ds_bpermute_b32 v6, v38, v40
	v_max_f32_e32 v7, v40, v40
	s_waitcnt lgkmcnt(0)
	v_max_f32_e32 v6, v6, v6
	v_max_f32_e32 v6, v7, v6
	v_sub_f32_e32 v7, v40, v6
	v_mul_f32_e32 v16, 0x3fb8aa3b, v7
	v_fma_f32 v17, v7, s31, -v16
	v_rndne_f32_e32 v37, v16
	v_fmac_f32_e32 v17, 0x32a5705f, v7
	v_sub_f32_e32 v16, v16, v37
	v_add_f32_e32 v16, v16, v17
	v_cvt_i32_f32_e32 v37, v37
	v_exp_f32_e32 v16, v16
	v_cmp_ngt_f32_e32 vcc, s85, v7
	v_ldexp_f32 v16, v16, v37
	v_cndmask_b32_e32 v16, 0, v16, vcc
	v_cmp_nlt_f32_e32 vcc, s39, v7
	v_cndmask_b32_e32 v16, v110, v16, vcc
	v_mul_f32_e32 v7, v41, v16
	ds_bpermute_b32 v17, v38, v7
	s_waitcnt lgkmcnt(0)
	v_fmac_f32_e32 v17, v41, v16
	s_mov_b64 s[42:43], exec
	v_readlane_b32 s44, v254, 62
	v_readlane_b32 s45, v254, 63
	s_and_b64 s[44:45], s[42:43], s[44:45]
	s_mov_b64 exec, s[44:45]
	s_cbranch_execz .LBB29_91
; %bb.90:                               ;   in Loop: Header=BB29_14 Depth=1
	ds_write_b64 v0, v[16:17] offset:256
.LBB29_91:                              ;   in Loop: Header=BB29_14 Depth=1
	s_or_b64 exec, exec, s[42:43]
	s_mov_b64 s[42:43], exec
	v_readlane_b32 s44, v254, 60
	v_readlane_b32 s45, v254, 61
	s_and_b64 s[44:45], s[42:43], s[44:45]
	s_mov_b64 exec, s[44:45]
	s_cbranch_execz .LBB29_93
; %bb.92:                               ;   in Loop: Header=BB29_14 Depth=1
	v_mov_b32_e32 v7, v17
	buffer_load_dword v16, off, s[0:3], 0 offset:176 ; 4-byte Folded Reload
	buffer_load_dword v17, off, s[0:3], 0 offset:180 ; 4-byte Folded Reload
	s_waitcnt vmcnt(0)
	global_store_dwordx2 v[16:17], v[6:7], off
.LBB29_93:                              ;   in Loop: Header=BB29_14 Depth=1
	s_or_b64 exec, exec, s[42:43]
.LBB29_94:                              ;   in Loop: Header=BB29_14 Depth=1
	s_or_b64 exec, exec, s[40:41]
	v_add_u32_e32 v0, s81, v243
	ds_write2_b32 v226, v18, v15 offset1:1
	ds_write2_b32 v226, v20, v19 offset0:8 offset1:9
	ds_write2_b32 v226, v22, v21 offset0:16 offset1:17
	;; [unrolled: 1-line block ×7, first 2 shown]
	s_waitcnt lgkmcnt(0)
	s_barrier
	s_and_saveexec_b64 s[40:41], s[48:49]
	s_cbranch_execz .LBB29_172
; %bb.95:                               ;   in Loop: Header=BB29_14 Depth=1
	v_cmp_gt_i32_e32 vcc, s84, v0
	v_mov_b32_e32 v6, 0x47
	s_and_saveexec_b64 s[42:43], vcc
	s_cbranch_execz .LBB29_97
; %bb.96:                               ;   in Loop: Header=BB29_14 Depth=1
	buffer_load_dword v6, off, s[0:3], 0 offset:76 ; 4-byte Folded Reload
	buffer_load_dword v15, off, s[0:3], 0 offset:80 ; 4-byte Folded Reload
	v_readlane_b32 s44, v255, 1
	v_mad_u64_u32 v[18:19], s[44:45], v0, s44, v[42:43]
	v_ashrrev_i32_e32 v19, 31, v18
	v_lshlrev_b64 v[18:19], 3, v[18:19]
	v_readlane_b32 s44, v255, 18
	v_add_co_u32_e32 v18, vcc, s44, v18
	v_readlane_b32 s44, v255, 19
	s_waitcnt vmcnt(1)
	v_add_u32_e32 v6, 0, v6
	s_waitcnt vmcnt(0)
	ds_read2st64_b32 v[16:17], v15 offset1:17
	ds_read2st64_b32 v[6:7], v6 offset0:1 offset1:18
	v_mov_b32_e32 v15, s44
	v_addc_co_u32_e32 v19, vcc, v15, v19, vcc
	s_waitcnt lgkmcnt(1)
	v_cvt_f32_f16_sdwa v21, v16 dst_sel:DWORD dst_unused:UNUSED_PAD src0_sel:WORD_1
	v_cvt_f32_f16_e32 v20, v16
	v_cvt_f32_f16_sdwa v31, v17 dst_sel:DWORD dst_unused:UNUSED_PAD src0_sel:WORD_1
	v_cvt_f32_f16_e32 v30, v17
	s_waitcnt lgkmcnt(0)
	v_pk_fma_f32 v[20:21], v[6:7], v[20:21], 0 op_sel_hi:[0,1,0]
	v_mov_b32_e32 v6, v7
	v_pk_fma_f32 v[6:7], v[6:7], v[30:31], v[20:21] op_sel_hi:[0,1,1]
	global_store_dwordx2 v[18:19], v[6:7], off
	v_mov_b32_e32 v6, 0
.LBB29_97:                              ;   in Loop: Header=BB29_14 Depth=1
	s_or_b64 exec, exec, s[42:43]
	v_cmp_gt_i32_e32 vcc, s89, v6
	s_mov_b64 s[42:43], -1
	s_and_saveexec_b64 s[44:45], vcc
; %bb.98:                               ;   in Loop: Header=BB29_14 Depth=1
	v_cmp_eq_u32_e32 vcc, 0, v6
	s_orn2_b64 s[42:43], vcc, exec
; %bb.99:                               ;   in Loop: Header=BB29_14 Depth=1
	s_or_b64 exec, exec, s[44:45]
	s_and_b64 exec, exec, s[42:43]
	s_cbranch_execz .LBB29_172
; %bb.100:                              ;   in Loop: Header=BB29_14 Depth=1
	buffer_load_dword v6, off, s[0:3], 0 offset:84 ; 4-byte Folded Reload
	s_waitcnt vmcnt(0)
	v_add_u32_e32 v7, s81, v6
	v_cmp_gt_i32_e32 vcc, s84, v7
	v_mov_b32_e32 v6, 0x47
	s_and_saveexec_b64 s[42:43], vcc
	s_cbranch_execz .LBB29_102
; %bb.101:                              ;   in Loop: Header=BB29_14 Depth=1
	buffer_load_dword v6, off, s[0:3], 0 offset:100 ; 4-byte Folded Reload
	v_readlane_b32 s44, v255, 1
	s_waitcnt vmcnt(0)
	v_add_u32_e32 v6, 0, v6
	ds_read2st64_b32 v[16:17], v6 offset0:1 offset1:18
	buffer_load_dword v6, off, s[0:3], 0 offset:104 ; 4-byte Folded Reload
	s_waitcnt vmcnt(0)
	ds_read2st64_b32 v[18:19], v6 offset1:17
	v_mad_u64_u32 v[6:7], s[44:45], v7, s44, v[42:43]
	v_ashrrev_i32_e32 v7, 31, v6
	v_lshlrev_b64 v[6:7], 3, v[6:7]
	s_waitcnt lgkmcnt(0)
	v_cvt_f32_f16_sdwa v21, v18 dst_sel:DWORD dst_unused:UNUSED_PAD src0_sel:WORD_1
	v_cvt_f32_f16_e32 v20, v18
	v_cvt_f32_f16_sdwa v31, v19 dst_sel:DWORD dst_unused:UNUSED_PAD src0_sel:WORD_1
	v_cvt_f32_f16_e32 v30, v19
	v_readlane_b32 s44, v255, 18
	v_add_co_u32_e32 v6, vcc, s44, v6
	v_readlane_b32 s44, v255, 19
	v_mov_b32_e32 v15, s44
	v_pk_fma_f32 v[20:21], v[16:17], v[20:21], 0 op_sel_hi:[0,1,0]
	v_mov_b32_e32 v16, v17
	v_addc_co_u32_e32 v7, vcc, v15, v7, vcc
	v_pk_fma_f32 v[16:17], v[16:17], v[30:31], v[20:21] op_sel_hi:[0,1,1]
	global_store_dwordx2 v[6:7], v[16:17], off
	v_mov_b32_e32 v6, 0
.LBB29_102:                             ;   in Loop: Header=BB29_14 Depth=1
	s_or_b64 exec, exec, s[42:43]
	v_cmp_gt_i32_e32 vcc, s89, v6
	s_mov_b64 s[42:43], -1
	s_and_saveexec_b64 s[44:45], vcc
; %bb.103:                              ;   in Loop: Header=BB29_14 Depth=1
	v_cmp_eq_u32_e32 vcc, 0, v6
	s_orn2_b64 s[42:43], vcc, exec
; %bb.104:                              ;   in Loop: Header=BB29_14 Depth=1
	s_or_b64 exec, exec, s[44:45]
	s_and_b64 exec, exec, s[42:43]
	s_cbranch_execz .LBB29_172
; %bb.105:                              ;   in Loop: Header=BB29_14 Depth=1
	buffer_load_dword v6, off, s[0:3], 0 offset:108 ; 4-byte Folded Reload
	s_waitcnt vmcnt(0)
	v_add_u32_e32 v7, s81, v6
	v_cmp_gt_i32_e32 vcc, s84, v7
	v_mov_b32_e32 v6, 0x47
	s_and_saveexec_b64 s[42:43], vcc
	s_cbranch_execz .LBB29_107
; %bb.106:                              ;   in Loop: Header=BB29_14 Depth=1
	buffer_load_dword v6, off, s[0:3], 0 offset:184 ; 4-byte Folded Reload
	v_readlane_b32 s44, v255, 1
	s_waitcnt vmcnt(0)
	v_add_u32_e32 v6, 0, v6
	ds_read2st64_b32 v[16:17], v6 offset0:1 offset1:18
	buffer_load_dword v6, off, s[0:3], 0 offset:188 ; 4-byte Folded Reload
	s_waitcnt vmcnt(0)
	ds_read2st64_b32 v[18:19], v6 offset1:17
	v_mad_u64_u32 v[6:7], s[44:45], v7, s44, v[42:43]
	v_ashrrev_i32_e32 v7, 31, v6
	v_lshlrev_b64 v[6:7], 3, v[6:7]
	s_waitcnt lgkmcnt(0)
	v_cvt_f32_f16_sdwa v21, v18 dst_sel:DWORD dst_unused:UNUSED_PAD src0_sel:WORD_1
	v_cvt_f32_f16_e32 v20, v18
	v_cvt_f32_f16_sdwa v31, v19 dst_sel:DWORD dst_unused:UNUSED_PAD src0_sel:WORD_1
	v_cvt_f32_f16_e32 v30, v19
	v_readlane_b32 s44, v255, 18
	v_add_co_u32_e32 v6, vcc, s44, v6
	v_readlane_b32 s44, v255, 19
	v_mov_b32_e32 v15, s44
	v_pk_fma_f32 v[20:21], v[16:17], v[20:21], 0 op_sel_hi:[0,1,0]
	v_mov_b32_e32 v16, v17
	v_addc_co_u32_e32 v7, vcc, v15, v7, vcc
	v_pk_fma_f32 v[16:17], v[16:17], v[30:31], v[20:21] op_sel_hi:[0,1,1]
	global_store_dwordx2 v[6:7], v[16:17], off
	v_mov_b32_e32 v6, 0
.LBB29_107:                             ;   in Loop: Header=BB29_14 Depth=1
	s_or_b64 exec, exec, s[42:43]
	v_cmp_gt_i32_e32 vcc, s89, v6
	s_mov_b64 s[42:43], -1
	s_and_saveexec_b64 s[44:45], vcc
; %bb.108:                              ;   in Loop: Header=BB29_14 Depth=1
	v_cmp_eq_u32_e32 vcc, 0, v6
	s_orn2_b64 s[42:43], vcc, exec
; %bb.109:                              ;   in Loop: Header=BB29_14 Depth=1
	;; [unrolled: 47-line block ×14, first 2 shown]
	s_or_b64 exec, exec, s[44:45]
	s_and_b64 exec, exec, s[42:43]
	s_cbranch_execz .LBB29_172
; %bb.170:                              ;   in Loop: Header=BB29_14 Depth=1
	buffer_load_dword v6, off, s[0:3], 0 offset:352 ; 4-byte Folded Reload
	s_waitcnt vmcnt(0)
	v_add_u32_e32 v6, s81, v6
	v_cmp_gt_i32_e32 vcc, s84, v6
	s_and_b64 exec, exec, vcc
	s_cbranch_execz .LBB29_172
; %bb.171:                              ;   in Loop: Header=BB29_14 Depth=1
	buffer_load_dword v7, off, s[0:3], 0 offset:356 ; 4-byte Folded Reload
	v_readlane_b32 s42, v255, 1
	s_waitcnt vmcnt(0)
	v_add_u32_e32 v7, 0, v7
	ds_read2st64_b32 v[16:17], v7 offset0:1 offset1:18
	buffer_load_dword v7, off, s[0:3], 0 offset:360 ; 4-byte Folded Reload
	s_waitcnt vmcnt(0)
	ds_read2st64_b32 v[18:19], v7 offset1:17
	v_mad_u64_u32 v[6:7], s[42:43], v6, s42, v[42:43]
	v_ashrrev_i32_e32 v7, 31, v6
	v_lshlrev_b64 v[6:7], 3, v[6:7]
	s_waitcnt lgkmcnt(0)
	v_cvt_f32_f16_sdwa v21, v18 dst_sel:DWORD dst_unused:UNUSED_PAD src0_sel:WORD_1
	v_cvt_f32_f16_e32 v20, v18
	v_cvt_f32_f16_sdwa v31, v19 dst_sel:DWORD dst_unused:UNUSED_PAD src0_sel:WORD_1
	v_cvt_f32_f16_e32 v30, v19
	v_readlane_b32 s42, v255, 18
	v_add_co_u32_e32 v6, vcc, s42, v6
	v_readlane_b32 s42, v255, 19
	v_mov_b32_e32 v15, s42
	v_pk_fma_f32 v[20:21], v[16:17], v[20:21], 0 op_sel_hi:[0,1,0]
	v_mov_b32_e32 v16, v17
	v_addc_co_u32_e32 v7, vcc, v15, v7, vcc
	v_pk_fma_f32 v[16:17], v[16:17], v[30:31], v[20:21] op_sel_hi:[0,1,1]
	global_store_dwordx2 v[6:7], v[16:17], off
.LBB29_172:                             ;   in Loop: Header=BB29_14 Depth=1
	s_or_b64 exec, exec, s[40:41]
	s_barrier
	ds_write2_b32 v226, v4, v1 offset1:1
	ds_write2_b32 v226, v8, v5 offset0:8 offset1:9
	ds_write2_b32 v226, v10, v9 offset0:16 offset1:17
	;; [unrolled: 1-line block ×7, first 2 shown]
	s_waitcnt lgkmcnt(0)
	s_barrier
	s_and_saveexec_b64 s[40:41], s[48:49]
	s_cbranch_execz .LBB29_250
; %bb.173:                              ;   in Loop: Header=BB29_14 Depth=1
	v_cmp_gt_i32_e32 vcc, s84, v0
	v_mov_b32_e32 v1, 0x47
	s_and_saveexec_b64 s[42:43], vcc
	s_cbranch_execz .LBB29_175
; %bb.174:                              ;   in Loop: Header=BB29_14 Depth=1
	buffer_load_dword v1, off, s[0:3], 0 offset:76 ; 4-byte Folded Reload
	v_readlane_b32 s44, v255, 1
	v_add_u32_e32 v6, 64, v42
	s_waitcnt vmcnt(0)
	v_add_u32_e32 v1, 0, v1
	ds_read2st64_b32 v[2:3], v1 offset0:1 offset1:18
	buffer_load_dword v1, off, s[0:3], 0 offset:80 ; 4-byte Folded Reload
	s_waitcnt vmcnt(0)
	ds_read2st64_b32 v[4:5], v1 offset1:17
	v_mad_u64_u32 v[0:1], s[44:45], v0, s44, v[6:7]
	v_ashrrev_i32_e32 v1, 31, v0
	v_lshlrev_b64 v[0:1], 3, v[0:1]
	v_readlane_b32 s44, v255, 18
	v_add_co_u32_e32 v0, vcc, s44, v0
	v_readlane_b32 s44, v255, 19
	v_mov_b32_e32 v6, s44
	v_addc_co_u32_e32 v1, vcc, v6, v1, vcc
	s_waitcnt lgkmcnt(0)
	v_cvt_f32_f16_sdwa v7, v4 dst_sel:DWORD dst_unused:UNUSED_PAD src0_sel:WORD_1
	v_cvt_f32_f16_e32 v6, v4
	v_cvt_f32_f16_sdwa v9, v5 dst_sel:DWORD dst_unused:UNUSED_PAD src0_sel:WORD_1
	v_cvt_f32_f16_e32 v8, v5
	v_pk_fma_f32 v[6:7], v[2:3], v[6:7], 0 op_sel_hi:[0,1,0]
	v_mov_b32_e32 v2, v3
	v_pk_fma_f32 v[2:3], v[2:3], v[8:9], v[6:7] op_sel_hi:[0,1,1]
	global_store_dwordx2 v[0:1], v[2:3], off
	v_mov_b32_e32 v1, 0
.LBB29_175:                             ;   in Loop: Header=BB29_14 Depth=1
	s_or_b64 exec, exec, s[42:43]
	v_cmp_gt_i32_e32 vcc, s89, v1
	s_mov_b64 s[42:43], -1
	s_and_saveexec_b64 s[44:45], vcc
; %bb.176:                              ;   in Loop: Header=BB29_14 Depth=1
	v_cmp_eq_u32_e32 vcc, 0, v1
	s_orn2_b64 s[42:43], vcc, exec
; %bb.177:                              ;   in Loop: Header=BB29_14 Depth=1
	s_or_b64 exec, exec, s[44:45]
	s_and_b64 exec, exec, s[42:43]
	s_cbranch_execz .LBB29_250
; %bb.178:                              ;   in Loop: Header=BB29_14 Depth=1
	buffer_load_dword v0, off, s[0:3], 0 offset:84 ; 4-byte Folded Reload
	s_waitcnt vmcnt(0)
	v_add_u32_e32 v1, s81, v0
	v_cmp_gt_i32_e32 vcc, s84, v1
	v_mov_b32_e32 v0, 0x47
	s_and_saveexec_b64 s[42:43], vcc
	s_cbranch_execz .LBB29_180
; %bb.179:                              ;   in Loop: Header=BB29_14 Depth=1
	buffer_load_dword v0, off, s[0:3], 0 offset:100 ; 4-byte Folded Reload
	v_readlane_b32 s44, v255, 1
	s_waitcnt vmcnt(0)
	v_add_u32_e32 v0, 0, v0
	ds_read2st64_b32 v[2:3], v0 offset0:1 offset1:18
	buffer_load_dword v0, off, s[0:3], 0 offset:104 ; 4-byte Folded Reload
	s_waitcnt vmcnt(0)
	ds_read2st64_b32 v[4:5], v0 offset1:17
	v_add_u32_e32 v0, 64, v42
	v_mad_u64_u32 v[0:1], s[44:45], v1, s44, v[0:1]
	v_ashrrev_i32_e32 v1, 31, v0
	v_lshlrev_b64 v[0:1], 3, v[0:1]
	v_readlane_b32 s44, v255, 18
	v_add_co_u32_e32 v0, vcc, s44, v0
	v_readlane_b32 s44, v255, 19
	v_mov_b32_e32 v6, s44
	v_addc_co_u32_e32 v1, vcc, v6, v1, vcc
	s_waitcnt lgkmcnt(0)
	v_cvt_f32_f16_sdwa v7, v4 dst_sel:DWORD dst_unused:UNUSED_PAD src0_sel:WORD_1
	v_cvt_f32_f16_e32 v6, v4
	v_cvt_f32_f16_sdwa v9, v5 dst_sel:DWORD dst_unused:UNUSED_PAD src0_sel:WORD_1
	v_cvt_f32_f16_e32 v8, v5
	v_pk_fma_f32 v[6:7], v[2:3], v[6:7], 0 op_sel_hi:[0,1,0]
	v_mov_b32_e32 v2, v3
	v_pk_fma_f32 v[2:3], v[2:3], v[8:9], v[6:7] op_sel_hi:[0,1,1]
	global_store_dwordx2 v[0:1], v[2:3], off
	v_mov_b32_e32 v0, 0
.LBB29_180:                             ;   in Loop: Header=BB29_14 Depth=1
	s_or_b64 exec, exec, s[42:43]
	v_cmp_gt_i32_e32 vcc, s89, v0
	s_mov_b64 s[42:43], -1
	s_and_saveexec_b64 s[44:45], vcc
; %bb.181:                              ;   in Loop: Header=BB29_14 Depth=1
	v_cmp_eq_u32_e32 vcc, 0, v0
	s_orn2_b64 s[42:43], vcc, exec
; %bb.182:                              ;   in Loop: Header=BB29_14 Depth=1
	s_or_b64 exec, exec, s[44:45]
	s_and_b64 exec, exec, s[42:43]
	s_cbranch_execz .LBB29_250
; %bb.183:                              ;   in Loop: Header=BB29_14 Depth=1
	buffer_load_dword v0, off, s[0:3], 0 offset:108 ; 4-byte Folded Reload
	s_waitcnt vmcnt(0)
	v_add_u32_e32 v1, s81, v0
	v_cmp_gt_i32_e32 vcc, s84, v1
	v_mov_b32_e32 v0, 0x47
	s_and_saveexec_b64 s[42:43], vcc
	s_cbranch_execz .LBB29_185
; %bb.184:                              ;   in Loop: Header=BB29_14 Depth=1
	buffer_load_dword v0, off, s[0:3], 0 offset:184 ; 4-byte Folded Reload
	v_readlane_b32 s44, v255, 1
	s_waitcnt vmcnt(0)
	v_add_u32_e32 v0, 0, v0
	ds_read2st64_b32 v[2:3], v0 offset0:1 offset1:18
	buffer_load_dword v0, off, s[0:3], 0 offset:188 ; 4-byte Folded Reload
	s_waitcnt vmcnt(0)
	ds_read2st64_b32 v[4:5], v0 offset1:17
	v_add_u32_e32 v0, 64, v42
	v_mad_u64_u32 v[0:1], s[44:45], v1, s44, v[0:1]
	v_ashrrev_i32_e32 v1, 31, v0
	v_lshlrev_b64 v[0:1], 3, v[0:1]
	v_readlane_b32 s44, v255, 18
	v_add_co_u32_e32 v0, vcc, s44, v0
	v_readlane_b32 s44, v255, 19
	v_mov_b32_e32 v6, s44
	v_addc_co_u32_e32 v1, vcc, v6, v1, vcc
	s_waitcnt lgkmcnt(0)
	v_cvt_f32_f16_sdwa v7, v4 dst_sel:DWORD dst_unused:UNUSED_PAD src0_sel:WORD_1
	v_cvt_f32_f16_e32 v6, v4
	v_cvt_f32_f16_sdwa v9, v5 dst_sel:DWORD dst_unused:UNUSED_PAD src0_sel:WORD_1
	v_cvt_f32_f16_e32 v8, v5
	v_pk_fma_f32 v[6:7], v[2:3], v[6:7], 0 op_sel_hi:[0,1,0]
	v_mov_b32_e32 v2, v3
	v_pk_fma_f32 v[2:3], v[2:3], v[8:9], v[6:7] op_sel_hi:[0,1,1]
	global_store_dwordx2 v[0:1], v[2:3], off
	v_mov_b32_e32 v0, 0
.LBB29_185:                             ;   in Loop: Header=BB29_14 Depth=1
	;; [unrolled: 48-line block ×14, first 2 shown]
	s_or_b64 exec, exec, s[42:43]
	v_cmp_gt_i32_e32 vcc, s89, v0
	s_mov_b64 s[42:43], -1
	s_and_saveexec_b64 s[44:45], vcc
; %bb.246:                              ;   in Loop: Header=BB29_14 Depth=1
	v_cmp_eq_u32_e32 vcc, 0, v0
	s_orn2_b64 s[42:43], vcc, exec
; %bb.247:                              ;   in Loop: Header=BB29_14 Depth=1
	s_or_b64 exec, exec, s[44:45]
	s_and_b64 exec, exec, s[42:43]
	s_cbranch_execz .LBB29_250
; %bb.248:                              ;   in Loop: Header=BB29_14 Depth=1
	buffer_load_dword v0, off, s[0:3], 0 offset:352 ; 4-byte Folded Reload
	s_waitcnt vmcnt(0)
	v_add_u32_e32 v0, s81, v0
	v_cmp_gt_i32_e32 vcc, s84, v0
	s_and_b64 exec, exec, vcc
	s_cbranch_execz .LBB29_250
; %bb.249:                              ;   in Loop: Header=BB29_14 Depth=1
	buffer_load_dword v1, off, s[0:3], 0 offset:356 ; 4-byte Folded Reload
	v_readlane_b32 s42, v255, 1
	v_add_u32_e32 v6, 64, v42
	s_waitcnt vmcnt(0)
	v_add_u32_e32 v1, 0, v1
	ds_read2st64_b32 v[2:3], v1 offset0:1 offset1:18
	buffer_load_dword v1, off, s[0:3], 0 offset:360 ; 4-byte Folded Reload
	s_waitcnt vmcnt(0)
	ds_read2st64_b32 v[4:5], v1 offset1:17
	v_mad_u64_u32 v[0:1], s[42:43], v0, s42, v[6:7]
	v_ashrrev_i32_e32 v1, 31, v0
	v_lshlrev_b64 v[0:1], 3, v[0:1]
	v_readlane_b32 s42, v255, 18
	v_add_co_u32_e32 v0, vcc, s42, v0
	v_readlane_b32 s42, v255, 19
	v_mov_b32_e32 v6, s42
	v_addc_co_u32_e32 v1, vcc, v6, v1, vcc
	s_waitcnt lgkmcnt(0)
	v_cvt_f32_f16_sdwa v7, v4 dst_sel:DWORD dst_unused:UNUSED_PAD src0_sel:WORD_1
	v_cvt_f32_f16_e32 v6, v4
	v_cvt_f32_f16_sdwa v9, v5 dst_sel:DWORD dst_unused:UNUSED_PAD src0_sel:WORD_1
	v_cvt_f32_f16_e32 v8, v5
	v_pk_fma_f32 v[6:7], v[2:3], v[6:7], 0 op_sel_hi:[0,1,0]
	v_mov_b32_e32 v2, v3
	v_pk_fma_f32 v[2:3], v[2:3], v[8:9], v[6:7] op_sel_hi:[0,1,1]
	global_store_dwordx2 v[0:1], v[2:3], off
.LBB29_250:                             ;   in Loop: Header=BB29_14 Depth=1
	s_or_b64 exec, exec, s[40:41]
	s_barrier
	s_branch .LBB29_13
.LBB29_251:                             ;   in Loop: Header=BB29_14 Depth=1
	s_lshl_b32 s71, s93, 6
	v_add_u32_e32 v81, s71, v246
	v_cmp_le_i32_e32 vcc, s84, v81
	s_and_saveexec_b64 s[40:41], vcc
	s_xor_b64 s[40:41], exec, s[40:41]
	s_cbranch_execz .LBB29_253
; %bb.252:                              ;   in Loop: Header=BB29_14 Depth=1
	s_waitcnt vmcnt(0)
	ds_write2st64_b32 v247, v121, v121 offset1:1
.LBB29_253:                             ;   in Loop: Header=BB29_14 Depth=1
	s_andn2_saveexec_b64 s[40:41], s[40:41]
	s_cbranch_execz .LBB29_255
; %bb.254:                              ;   in Loop: Header=BB29_14 Depth=1
	v_mad_u64_u32 v[0:1], s[42:43], v81, s56, v[42:43]
	v_ashrrev_i32_e32 v1, 31, v0
	v_lshlrev_b64 v[0:1], 3, v[0:1]
	v_add_co_u32_e32 v0, vcc, s83, v0
	v_mov_b32_e32 v2, s82
	v_addc_co_u32_e32 v1, vcc, v2, v1, vcc
	global_load_dwordx2 v[2:3], v[0:1], off
	s_waitcnt vmcnt(0)
	v_cvt_f16_f32_e32 v2, v2
	global_load_dwordx2 v[0:1], v[0:1], off offset:512
	v_cvt_f16_f32_e32 v3, v3
	v_pack_b32_f16 v2, v2, v3
	v_pk_mul_f16 v2, v113, v2
	s_waitcnt vmcnt(0)
	v_cvt_f16_f32_e32 v0, v0
	v_cvt_f16_f32_e32 v1, v1
	v_pack_b32_f16 v0, v0, v1
	v_pk_mul_f16 v0, v113, v0
	ds_write2st64_b32 v247, v2, v0 offset1:1
.LBB29_255:                             ;   in Loop: Header=BB29_14 Depth=1
	s_or_b64 exec, exec, s[40:41]
	s_waitcnt vmcnt(1)
	v_add_u32_e32 v83, s71, v227
	v_cmp_le_i32_e32 vcc, s84, v83
	s_and_saveexec_b64 s[40:41], vcc
	s_xor_b64 s[40:41], exec, s[40:41]
	s_cbranch_execz .LBB29_257
; %bb.256:                              ;   in Loop: Header=BB29_14 Depth=1
	ds_write2st64_b32 v228, v121, v121 offset1:1
.LBB29_257:                             ;   in Loop: Header=BB29_14 Depth=1
	s_andn2_saveexec_b64 s[40:41], s[40:41]
	s_cbranch_execz .LBB29_259
; %bb.258:                              ;   in Loop: Header=BB29_14 Depth=1
	v_mad_u64_u32 v[0:1], s[42:43], v83, s56, v[42:43]
	v_ashrrev_i32_e32 v1, 31, v0
	v_lshlrev_b64 v[0:1], 3, v[0:1]
	v_add_co_u32_e32 v0, vcc, s83, v0
	v_mov_b32_e32 v2, s82
	v_addc_co_u32_e32 v1, vcc, v2, v1, vcc
	global_load_dwordx2 v[2:3], v[0:1], off
	s_waitcnt vmcnt(0)
	v_cvt_f16_f32_e32 v2, v2
	global_load_dwordx2 v[0:1], v[0:1], off offset:512
	v_cvt_f16_f32_e32 v3, v3
	v_pack_b32_f16 v2, v2, v3
	v_pk_mul_f16 v2, v113, v2
	s_waitcnt vmcnt(0)
	v_cvt_f16_f32_e32 v0, v0
	v_cvt_f16_f32_e32 v1, v1
	v_pack_b32_f16 v0, v0, v1
	v_pk_mul_f16 v0, v113, v0
	ds_write2st64_b32 v228, v2, v0 offset1:1
.LBB29_259:                             ;   in Loop: Header=BB29_14 Depth=1
	s_or_b64 exec, exec, s[40:41]
	v_add_u32_e32 v87, s71, v120
	v_cmp_le_i32_e32 vcc, s84, v87
	s_and_saveexec_b64 s[40:41], vcc
	s_xor_b64 s[40:41], exec, s[40:41]
	s_cbranch_execz .LBB29_261
; %bb.260:                              ;   in Loop: Header=BB29_14 Depth=1
	v_add_u32_e32 v0, 0x80, v228
	ds_write2st64_b32 v0, v121, v121 offset0:16 offset1:17
.LBB29_261:                             ;   in Loop: Header=BB29_14 Depth=1
	s_andn2_saveexec_b64 s[40:41], s[40:41]
	s_cbranch_execz .LBB29_263
; %bb.262:                              ;   in Loop: Header=BB29_14 Depth=1
	v_mad_u64_u32 v[0:1], s[42:43], v87, s56, v[42:43]
	v_ashrrev_i32_e32 v1, 31, v0
	v_lshlrev_b64 v[0:1], 3, v[0:1]
	v_add_co_u32_e32 v0, vcc, s83, v0
	v_mov_b32_e32 v2, s82
	v_addc_co_u32_e32 v1, vcc, v2, v1, vcc
	global_load_dwordx2 v[2:3], v[0:1], off
	s_waitcnt vmcnt(0)
	v_cvt_f16_f32_e32 v2, v2
	global_load_dwordx2 v[0:1], v[0:1], off offset:512
	v_cvt_f16_f32_e32 v3, v3
	v_pack_b32_f16 v2, v2, v3
	v_pk_mul_f16 v2, v113, v2
	s_waitcnt vmcnt(0)
	v_cvt_f16_f32_e32 v0, v0
	v_cvt_f16_f32_e32 v1, v1
	v_pack_b32_f16 v0, v0, v1
	v_pk_mul_f16 v0, v113, v0
	v_add_u32_e32 v1, 0x80, v228
	ds_write2st64_b32 v1, v2, v0 offset0:16 offset1:17
.LBB29_263:                             ;   in Loop: Header=BB29_14 Depth=1
	s_or_b64 exec, exec, s[40:41]
	v_add_u32_e32 v89, s71, v119
	v_cmp_le_i32_e32 vcc, s84, v89
	s_and_saveexec_b64 s[40:41], vcc
	s_xor_b64 s[40:41], exec, s[40:41]
	s_cbranch_execz .LBB29_265
; %bb.264:                              ;   in Loop: Header=BB29_14 Depth=1
	ds_write2st64_b32 v228, v121, v121 offset0:33 offset1:34
.LBB29_265:                             ;   in Loop: Header=BB29_14 Depth=1
	s_andn2_saveexec_b64 s[40:41], s[40:41]
	s_cbranch_execz .LBB29_267
; %bb.266:                              ;   in Loop: Header=BB29_14 Depth=1
	v_mad_u64_u32 v[0:1], s[42:43], v89, s56, v[42:43]
	v_ashrrev_i32_e32 v1, 31, v0
	v_lshlrev_b64 v[0:1], 3, v[0:1]
	v_add_co_u32_e32 v0, vcc, s83, v0
	v_mov_b32_e32 v2, s82
	v_addc_co_u32_e32 v1, vcc, v2, v1, vcc
	global_load_dwordx2 v[2:3], v[0:1], off
	s_waitcnt vmcnt(0)
	v_cvt_f16_f32_e32 v2, v2
	global_load_dwordx2 v[0:1], v[0:1], off offset:512
	v_cvt_f16_f32_e32 v3, v3
	v_pack_b32_f16 v2, v2, v3
	v_pk_mul_f16 v2, v113, v2
	s_waitcnt vmcnt(0)
	v_cvt_f16_f32_e32 v0, v0
	v_cvt_f16_f32_e32 v1, v1
	v_pack_b32_f16 v0, v0, v1
	v_pk_mul_f16 v0, v113, v0
	ds_write2st64_b32 v228, v2, v0 offset0:33 offset1:34
.LBB29_267:                             ;   in Loop: Header=BB29_14 Depth=1
	s_or_b64 exec, exec, s[40:41]
	v_add_u32_e32 v85, s71, v118
	v_cmp_le_i32_e32 vcc, s84, v85
	s_and_saveexec_b64 s[40:41], vcc
	s_xor_b64 s[40:41], exec, s[40:41]
	s_cbranch_execz .LBB29_269
; %bb.268:                              ;   in Loop: Header=BB29_14 Depth=1
	v_add_u32_e32 v0, 0x80, v228
	ds_write2st64_b32 v0, v121, v121 offset0:49 offset1:50
.LBB29_269:                             ;   in Loop: Header=BB29_14 Depth=1
	s_andn2_saveexec_b64 s[40:41], s[40:41]
	s_cbranch_execz .LBB29_271
; %bb.270:                              ;   in Loop: Header=BB29_14 Depth=1
	v_mad_u64_u32 v[0:1], s[42:43], v85, s56, v[42:43]
	v_ashrrev_i32_e32 v1, 31, v0
	v_lshlrev_b64 v[0:1], 3, v[0:1]
	v_add_co_u32_e32 v0, vcc, s83, v0
	v_mov_b32_e32 v2, s82
	v_addc_co_u32_e32 v1, vcc, v2, v1, vcc
	global_load_dwordx2 v[2:3], v[0:1], off
	s_waitcnt vmcnt(0)
	v_cvt_f16_f32_e32 v2, v2
	global_load_dwordx2 v[0:1], v[0:1], off offset:512
	v_cvt_f16_f32_e32 v3, v3
	v_pack_b32_f16 v2, v2, v3
	v_pk_mul_f16 v2, v113, v2
	s_waitcnt vmcnt(0)
	v_cvt_f16_f32_e32 v0, v0
	v_cvt_f16_f32_e32 v1, v1
	v_pack_b32_f16 v0, v0, v1
	v_pk_mul_f16 v0, v113, v0
	v_add_u32_e32 v1, 0x80, v228
	ds_write2st64_b32 v1, v2, v0 offset0:49 offset1:50
.LBB29_271:                             ;   in Loop: Header=BB29_14 Depth=1
	s_or_b64 exec, exec, s[40:41]
	v_add_u32_e32 v91, s71, v134
	v_cmp_le_i32_e32 vcc, s84, v91
	s_and_saveexec_b64 s[40:41], vcc
	s_xor_b64 s[40:41], exec, s[40:41]
	s_cbranch_execz .LBB29_273
; %bb.272:                              ;   in Loop: Header=BB29_14 Depth=1
	ds_write2st64_b32 v228, v121, v121 offset0:66 offset1:67
.LBB29_273:                             ;   in Loop: Header=BB29_14 Depth=1
	s_andn2_saveexec_b64 s[40:41], s[40:41]
	s_cbranch_execz .LBB29_275
; %bb.274:                              ;   in Loop: Header=BB29_14 Depth=1
	v_mad_u64_u32 v[0:1], s[42:43], v91, s56, v[42:43]
	v_ashrrev_i32_e32 v1, 31, v0
	v_lshlrev_b64 v[0:1], 3, v[0:1]
	v_add_co_u32_e32 v0, vcc, s83, v0
	v_mov_b32_e32 v2, s82
	v_addc_co_u32_e32 v1, vcc, v2, v1, vcc
	global_load_dwordx2 v[2:3], v[0:1], off
	s_waitcnt vmcnt(0)
	v_cvt_f16_f32_e32 v2, v2
	global_load_dwordx2 v[0:1], v[0:1], off offset:512
	v_cvt_f16_f32_e32 v3, v3
	v_pack_b32_f16 v2, v2, v3
	v_pk_mul_f16 v2, v113, v2
	s_waitcnt vmcnt(0)
	v_cvt_f16_f32_e32 v0, v0
	v_cvt_f16_f32_e32 v1, v1
	v_pack_b32_f16 v0, v0, v1
	v_pk_mul_f16 v0, v113, v0
	ds_write2st64_b32 v228, v2, v0 offset0:66 offset1:67
.LBB29_275:                             ;   in Loop: Header=BB29_14 Depth=1
	s_or_b64 exec, exec, s[40:41]
	v_add_u32_e32 v233, s71, v125
	v_cmp_le_i32_e32 vcc, s84, v233
	s_and_saveexec_b64 s[40:41], vcc
	s_xor_b64 s[40:41], exec, s[40:41]
	s_cbranch_execz .LBB29_277
; %bb.276:                              ;   in Loop: Header=BB29_14 Depth=1
	v_add_u32_e32 v0, 0x80, v228
	ds_write2st64_b32 v0, v121, v121 offset0:82 offset1:83
.LBB29_277:                             ;   in Loop: Header=BB29_14 Depth=1
	s_andn2_saveexec_b64 s[40:41], s[40:41]
	s_cbranch_execz .LBB29_279
; %bb.278:                              ;   in Loop: Header=BB29_14 Depth=1
	v_mad_u64_u32 v[0:1], s[42:43], v233, s56, v[42:43]
	v_ashrrev_i32_e32 v1, 31, v0
	v_lshlrev_b64 v[0:1], 3, v[0:1]
	v_add_co_u32_e32 v0, vcc, s83, v0
	v_mov_b32_e32 v2, s82
	v_addc_co_u32_e32 v1, vcc, v2, v1, vcc
	global_load_dwordx2 v[2:3], v[0:1], off
	s_waitcnt vmcnt(0)
	v_cvt_f16_f32_e32 v2, v2
	global_load_dwordx2 v[0:1], v[0:1], off offset:512
	v_cvt_f16_f32_e32 v3, v3
	v_pack_b32_f16 v2, v2, v3
	v_pk_mul_f16 v2, v113, v2
	s_waitcnt vmcnt(0)
	v_cvt_f16_f32_e32 v0, v0
	v_cvt_f16_f32_e32 v1, v1
	v_pack_b32_f16 v0, v0, v1
	v_pk_mul_f16 v0, v113, v0
	v_add_u32_e32 v1, 0x80, v228
	ds_write2st64_b32 v1, v2, v0 offset0:82 offset1:83
.LBB29_279:                             ;   in Loop: Header=BB29_14 Depth=1
	s_or_b64 exec, exec, s[40:41]
	v_add_u32_e32 v111, s71, v138
	v_cmp_le_i32_e32 vcc, s84, v111
	s_and_saveexec_b64 s[40:41], vcc
	s_xor_b64 s[40:41], exec, s[40:41]
	s_cbranch_execz .LBB29_281
; %bb.280:                              ;   in Loop: Header=BB29_14 Depth=1
	ds_write2st64_b32 v228, v121, v121 offset0:99 offset1:100
.LBB29_281:                             ;   in Loop: Header=BB29_14 Depth=1
	s_andn2_saveexec_b64 s[40:41], s[40:41]
	s_cbranch_execz .LBB29_283
; %bb.282:                              ;   in Loop: Header=BB29_14 Depth=1
	v_mad_u64_u32 v[0:1], s[42:43], v111, s56, v[42:43]
	v_ashrrev_i32_e32 v1, 31, v0
	v_lshlrev_b64 v[0:1], 3, v[0:1]
	v_add_co_u32_e32 v0, vcc, s83, v0
	v_mov_b32_e32 v2, s82
	v_addc_co_u32_e32 v1, vcc, v2, v1, vcc
	global_load_dwordx2 v[2:3], v[0:1], off
	s_waitcnt vmcnt(0)
	v_cvt_f16_f32_e32 v2, v2
	global_load_dwordx2 v[0:1], v[0:1], off offset:512
	v_cvt_f16_f32_e32 v3, v3
	v_pack_b32_f16 v2, v2, v3
	v_pk_mul_f16 v2, v113, v2
	s_waitcnt vmcnt(0)
	v_cvt_f16_f32_e32 v0, v0
	v_cvt_f16_f32_e32 v1, v1
	v_pack_b32_f16 v0, v0, v1
	v_pk_mul_f16 v0, v113, v0
	ds_write2st64_b32 v228, v2, v0 offset0:99 offset1:100
.LBB29_283:                             ;   in Loop: Header=BB29_14 Depth=1
	s_or_b64 exec, exec, s[40:41]
	s_waitcnt lgkmcnt(0)
	s_barrier
	ds_read2_b64 v[30:33], v122 offset1:4
	ds_read2_b64 v[26:29], v122 offset0:8 offset1:12
	ds_read2_b64 v[22:25], v122 offset0:16 offset1:20
	;; [unrolled: 1-line block ×7, first 2 shown]
	v_mov_b32_e32 v120, v119
	v_mov_b32_e32 v119, v118
	;; [unrolled: 1-line block ×7, first 2 shown]
	s_mov_b32 s46, 0
	s_cmp_lt_i32 s92, 2
	v_mov_b32_e32 v51, 0
	v_cmp_ne_u64_e64 s[40:41], 0, v[72:73]
	s_waitcnt lgkmcnt(0)
	s_barrier
	s_cbranch_scc1 .LBB29_294
; %bb.284:                              ;   in Loop: Header=BB29_14 Depth=1
	v_mul_hi_u32 v0, s98, v81
	v_add_u32_e32 v0, v81, v0
	v_lshrrev_b32_e32 v0, s99, v0
	v_mul_lo_u32 v0, v0, s84
	v_sub_u32_e32 v34, v81, v0
	v_mul_hi_u32 v0, s98, v83
	v_add_u32_e32 v0, v83, v0
	v_lshrrev_b32_e32 v0, s99, v0
	v_mul_lo_u32 v0, v0, s84
	v_sub_u32_e32 v35, v83, v0
	;; [unrolled: 5-line block ×8, first 2 shown]
	v_and_b32_e32 v0, 64, v232
	v_add_u32_e32 v1, 64, v0
	v_xor_b32_e32 v0, 32, v232
	v_cmp_lt_i32_e32 vcc, v0, v1
	v_xor_b32_e32 v43, 16, v232
	v_cndmask_b32_e32 v0, v232, v0, vcc
	v_cmp_lt_i32_e32 vcc, v43, v1
	v_cndmask_b32_e32 v1, v232, v43, vcc
	buffer_load_dword v43, off, s[0:3], 0 offset:112 ; 4-byte Folded Reload
	buffer_load_dword v44, off, s[0:3], 0 offset:120 ; 4-byte Folded Reload
	;; [unrolled: 1-line block ×3, first 2 shown]
	s_add_i32 s46, s92, -1
	s_add_u32 s42, s74, s75
	s_addc_u32 s34, s34, s79
	v_lshlrev_b32_e32 v50, 2, v1
	v_mov_b32_e32 v1, s34
	v_mov_b32_e32 v127, 0
	v_lshlrev_b32_e32 v0, 2, v0
	v_mov_b32_e32 v74, v70
	v_mov_b32_e32 v75, v70
	;; [unrolled: 1-line block ×9, first 2 shown]
	s_waitcnt vmcnt(3)
	v_mov_b32_e32 v247, 0
	v_mov_b32_e32 v231, 0
	;; [unrolled: 1-line block ×24, first 2 shown]
	buffer_load_dword v45, off, s[0:3], 0 offset:128 ; 4-byte Folded Reload
	buffer_load_dword v51, off, s[0:3], 0 offset:152 ; 4-byte Folded Reload
	;; [unrolled: 1-line block ×3, first 2 shown]
	s_waitcnt vmcnt(5)
	v_add_co_u32_e32 v76, vcc, s42, v43
	buffer_load_dword v43, off, s[0:3], 0 offset:116 ; 4-byte Folded Reload
	s_waitcnt vmcnt(0)
	v_addc_co_u32_e32 v1, vcc, v43, v1, vcc
	v_add_co_u32_e32 v78, vcc, s42, v44
	buffer_load_dword v44, off, s[0:3], 0 offset:124 ; 4-byte Folded Reload
	v_mov_b32_e32 v43, s34
	s_waitcnt vmcnt(0)
	v_addc_co_u32_e32 v43, vcc, v44, v43, vcc
	v_add_co_u32_e32 v80, vcc, s42, v45
	buffer_load_dword v45, off, s[0:3], 0 offset:132 ; 4-byte Folded Reload
	v_mov_b32_e32 v44, s34
	s_add_u32 s34, s80, s77
	s_waitcnt vmcnt(0)
	v_addc_co_u32_e32 v45, vcc, v45, v44, vcc
	v_add_co_u32_e32 v82, vcc, s42, v47
	buffer_load_dword v47, off, s[0:3], 0 offset:140 ; 4-byte Folded Reload
	s_addc_u32 s42, s76, s78
	s_waitcnt vmcnt(0)
	v_addc_co_u32_e32 v47, vcc, v47, v44, vcc
	v_add_co_u32_e32 v84, vcc, s34, v49
	buffer_load_dword v49, off, s[0:3], 0 offset:148 ; 4-byte Folded Reload
	v_mov_b32_e32 v44, s42
	v_readlane_b32 s42, v255, 14
	v_readlane_b32 s43, v255, 15
	s_waitcnt vmcnt(0)
	v_addc_co_u32_e32 v49, vcc, v49, v44, vcc
	v_add_co_u32_e32 v86, vcc, s34, v51
	buffer_load_dword v51, off, s[0:3], 0 offset:156 ; 4-byte Folded Reload
	s_waitcnt vmcnt(0)
	v_addc_co_u32_e32 v53, vcc, v51, v44, vcc
	buffer_load_dword v51, off, s[0:3], 0 offset:160 ; 4-byte Folded Reload
	s_waitcnt vmcnt(0)
	v_add_co_u32_e32 v88, vcc, s34, v51
	buffer_load_dword v51, off, s[0:3], 0 offset:164 ; 4-byte Folded Reload
	s_waitcnt vmcnt(0)
	v_addc_co_u32_e32 v77, vcc, v51, v44, vcc
	buffer_load_dword v51, off, s[0:3], 0 offset:168 ; 4-byte Folded Reload
	s_waitcnt vmcnt(0)
	v_add_co_u32_e32 v90, vcc, s34, v51
	buffer_load_dword v51, off, s[0:3], 0 offset:172 ; 4-byte Folded Reload
	s_mov_b32 s34, s42
	v_mad_i64_i32 v[92:93], s[42:43], s34, v37, v[72:73]
	v_mad_i64_i32 v[94:95], s[42:43], s34, v36, v[72:73]
	;; [unrolled: 1-line block ×8, first 2 shown]
	s_mov_b32 s34, s46
	s_waitcnt vmcnt(0)
	v_addc_co_u32_e32 v79, vcc, v51, v44, vcc
	v_mov_b32_e32 v44, 0
	v_mov_b32_e32 v51, 0
	v_cndmask_b32_e64 v34, 0, 1, s[40:41]
	v_cmp_ne_u32_e64 s[42:43], 1, v34
	s_andn2_b64 vcc, exec, s[40:41]
	s_cbranch_vccnz .LBB29_290
.LBB29_285:                             ;   in Loop: Header=BB29_14 Depth=1
                                        ; implicit-def: $sgpr47
	s_and_saveexec_b64 s[44:45], s[4:5]
	s_xor_b64 s[44:45], exec, s[44:45]
	s_cbranch_execz .LBB29_287
; %bb.286:                              ;   in Loop: Header=BB29_14 Depth=1
	v_add_u32_e32 v34, v123, v124
	ds_write_b16 v34, v121 offset:33792
	ds_write_b16 v34, v121 offset:34944
	;; [unrolled: 1-line block ×4, first 2 shown]
	s_mov_b32 s47, 0
.LBB29_287:                             ;   in Loop: Header=BB29_14 Depth=1
	s_or_saveexec_b64 s[44:45], s[44:45]
	v_mov_b32_e32 v34, s47
	v_mov_b32_e32 v35, s47
	;; [unrolled: 1-line block ×4, first 2 shown]
	s_xor_b64 exec, exec, s[44:45]
	s_cbranch_execz .LBB29_289
; %bb.288:                              ;   in Loop: Header=BB29_14 Depth=1
	v_add_co_u32_e32 v34, vcc, v98, v46
	v_addc_co_u32_e32 v35, vcc, 0, v99, vcc
	flat_load_ushort v36, v[34:35]
	v_add_co_u32_e32 v34, vcc, v96, v46
	v_addc_co_u32_e32 v35, vcc, 0, v97, vcc
	flat_load_ushort v37, v[34:35]
	;; [unrolled: 3-line block ×4, first 2 shown]
	v_add_u32_e32 v35, v123, v124
	s_waitcnt vmcnt(0) lgkmcnt(0)
	ds_write_b16 v35, v36 offset:33792
	ds_write_b16 v35, v37 offset:34944
	;; [unrolled: 1-line block ×4, first 2 shown]
	v_add_co_u32_e32 v34, vcc, v106, v46
	v_addc_co_u32_e32 v35, vcc, 0, v107, vcc
	v_add_co_u32_e32 v36, vcc, v104, v46
	v_addc_co_u32_e32 v37, vcc, 0, v105, vcc
	flat_load_ushort v34, v[34:35]
	s_nop 0
	flat_load_ushort v35, v[36:37]
	v_add_co_u32_e32 v36, vcc, v102, v46
	v_addc_co_u32_e32 v37, vcc, 0, v103, vcc
	v_add_co_u32_e32 v38, vcc, v100, v46
	v_addc_co_u32_e32 v39, vcc, 0, v101, vcc
	flat_load_ushort v36, v[36:37]
	s_nop 0
	flat_load_ushort v37, v[38:39]
.LBB29_289:                             ;   in Loop: Header=BB29_14 Depth=1
	s_or_b64 exec, exec, s[44:45]
	v_add_u32_e32 v38, v123, v124
	s_waitcnt vmcnt(0) lgkmcnt(0)
	ds_write_b16 v38, v34 offset:38400
	ds_write_b16 v38, v35 offset:39552
	;; [unrolled: 1-line block ×4, first 2 shown]
.LBB29_290:                             ;   Parent Loop BB29_14 Depth=1
                                        ; =>  This Inner Loop Header: Depth=2
	v_add_co_u32_e32 v34, vcc, v84, v52
	v_addc_co_u32_e32 v35, vcc, 0, v49, vcc
	v_mov_b32_e32 v38, s97
	v_mov_b32_e32 v39, s96
	buffer_store_dword v121, off, s[0:3], 0
	buffer_store_dword v121, off, s[0:3], 0 offset:4
	buffer_store_dword v121, off, s[0:3], 0 offset:8
	buffer_store_dword v121, off, s[0:3], 0 offset:12
	v_cndmask_b32_e64 v35, v38, v35, s[6:7]
	v_cndmask_b32_e64 v34, v39, v34, s[6:7]
	flat_load_dwordx4 v[34:37], v[34:35]
	v_add_u32_e32 v71, 0x4000, v133
	s_waitcnt vmcnt(0) lgkmcnt(0)
	ds_write_b128 v126, v[34:37]
	v_add_co_u32_e32 v34, vcc, v86, v52
	v_addc_co_u32_e32 v35, vcc, 0, v53, vcc
	v_cndmask_b32_e64 v35, v38, v35, s[58:59]
	v_cndmask_b32_e64 v34, v39, v34, s[58:59]
	flat_load_dwordx4 v[34:37], v[34:35]
	s_waitcnt vmcnt(0) lgkmcnt(0)
	ds_write_b128 v128, v[34:37]
	v_add_co_u32_e32 v34, vcc, v88, v52
	v_addc_co_u32_e32 v35, vcc, 0, v77, vcc
	v_cndmask_b32_e64 v35, v38, v35, s[10:11]
	v_cndmask_b32_e64 v34, v39, v34, s[10:11]
	flat_load_dwordx4 v[34:37], v[34:35]
	;; [unrolled: 7-line block ×3, first 2 shown]
	s_and_b64 vcc, exec, s[42:43]
	s_waitcnt vmcnt(0) lgkmcnt(0)
	ds_write_b128 v132, v[34:37]
	s_waitcnt lgkmcnt(0)
	s_barrier
	ds_read2_b64 v[34:37], v133 offset1:4
	s_waitcnt lgkmcnt(0)
	v_mfma_f32_16x16x16f16 v[38:41], v[34:35], v[30:31], 0
	v_mfma_f32_16x16x16f16 v[34:37], v[36:37], v[32:33], v[38:41]
	s_nop 7
	s_nop 1
	ds_read2_b64 v[38:41], v133 offset0:8 offset1:12
	s_waitcnt lgkmcnt(0)
	v_mfma_f32_16x16x16f16 v[34:37], v[38:39], v[26:27], v[34:37]
	v_mfma_f32_16x16x16f16 v[34:37], v[40:41], v[28:29], v[34:37]
	ds_read2_b64 v[38:41], v133 offset0:16 offset1:20
	s_waitcnt lgkmcnt(0)
	v_mfma_f32_16x16x16f16 v[34:37], v[38:39], v[22:23], v[34:37]
	v_mfma_f32_16x16x16f16 v[34:37], v[40:41], v[24:25], v[34:37]
	;; [unrolled: 4-line block ×8, first 2 shown]
	s_nop 7
	s_nop 1
	ds_read2_b64 v[114:117], v71 offset0:72 offset1:76
	s_waitcnt lgkmcnt(0)
	v_mfma_f32_16x16x16f16 v[38:41], v[114:115], v[26:27], v[38:41]
	v_mfma_f32_16x16x16f16 v[38:41], v[116:117], v[28:29], v[38:41]
	ds_read2_b64 v[114:117], v71 offset0:80 offset1:84
	s_waitcnt lgkmcnt(0)
	v_mfma_f32_16x16x16f16 v[38:41], v[114:115], v[22:23], v[38:41]
	v_mfma_f32_16x16x16f16 v[38:41], v[116:117], v[24:25], v[38:41]
	;; [unrolled: 4-line block ×6, first 2 shown]
	ds_read2_b64 v[114:117], v71 offset0:120 offset1:124
	s_waitcnt lgkmcnt(0)
	s_barrier
	v_mfma_f32_16x16x16f16 v[38:41], v[114:115], v[2:3], v[38:41]
	v_mfma_f32_16x16x16f16 v[38:41], v[116:117], v[4:5], v[38:41]
	s_cbranch_vccnz .LBB29_292
; %bb.291:                              ;   in Loop: Header=BB29_290 Depth=2
	v_add_u32_e32 v71, 0x8400, v135
	ds_read2_b32 v[114:115], v71 offset1:1
	ds_read_b32 v108, v137 offset:33792
	v_mov_b32_e32 v71, v70
	s_waitcnt lgkmcnt(1)
	v_cvt_f32_f16_e32 v116, v114
	v_cvt_f32_f16_sdwa v117, v114 dst_sel:DWORD dst_unused:UNUSED_PAD src0_sel:WORD_1
	v_cvt_f32_f16_e32 v114, v115
	v_cvt_f32_f16_sdwa v115, v115 dst_sel:DWORD dst_unused:UNUSED_PAD src0_sel:WORD_1
	v_pk_fma_f32 v[34:35], v[74:75], v[116:117], v[34:35]
	v_pk_fma_f32 v[36:37], v[70:71], v[114:115], v[36:37]
	s_waitcnt lgkmcnt(0)
	v_cvt_f32_f16_sdwa v115, v108 dst_sel:DWORD dst_unused:UNUSED_PAD src0_sel:WORD_1
	v_cvt_f32_f16_e32 v114, v108
	ds_read_b32 v108, v139 offset:33792
	v_pk_fma_f32 v[38:39], v[74:75], v[114:115], v[38:39]
	s_waitcnt lgkmcnt(0)
	v_cvt_f32_f16_sdwa v117, v108 dst_sel:DWORD dst_unused:UNUSED_PAD src0_sel:WORD_1
	v_cvt_f32_f16_e32 v116, v108
	v_pk_fma_f32 v[40:41], v[70:71], v[116:117], v[40:41]
.LBB29_292:                             ;   in Loop: Header=BB29_290 Depth=2
	v_add_f32_e32 v71, 0x40051340, v34
	v_max_f32_e32 v108, v221, v221
	v_max_f32_e32 v71, v108, v71
	v_cndmask_b32_e64 v71, v221, v71, s[14:15]
	v_add_f32_e32 v108, 0x40051340, v35
	v_max_f32_e32 v109, v71, v71
	v_max_f32_e32 v108, v109, v108
	v_cndmask_b32_e64 v71, v71, v108, s[16:17]
	;; [unrolled: 4-line block ×8, first 2 shown]
	ds_bpermute_b32 v108, v0, v71
	v_max_f32_e32 v71, v71, v71
	v_cndmask_b32_e64 v36, v36, v36, s[16:17]
	v_cndmask_b32_e64 v37, v37, v37, s[16:17]
	;; [unrolled: 1-line block ×3, first 2 shown]
	s_waitcnt lgkmcnt(0)
	v_max_f32_e32 v108, v108, v108
	v_max_f32_e32 v71, v71, v108
	ds_bpermute_b32 v108, v50, v71
	v_cndmask_b32_e64 v40, v40, v40, s[22:23]
	v_cndmask_b32_e64 v41, v41, v41, s[22:23]
	v_mov_b32_e32 v116, s96
	buffer_store_dword v121, off, s[0:3], 0
	buffer_store_dword v121, off, s[0:3], 0 offset:4
	buffer_store_dword v121, off, s[0:3], 0 offset:8
	;; [unrolled: 1-line block ×3, first 2 shown]
	s_waitcnt lgkmcnt(0)
	v_max_f32_e32 v108, v108, v108
	v_max_f32_e32 v71, v71, v108
	v_sub_f32_e32 v34, v34, v71
	v_mul_f32_e32 v108, 0x3fb8aa3b, v34
	v_fma_f32 v109, v34, s31, -v108
	v_rndne_f32_e32 v114, v108
	v_fmac_f32_e32 v109, 0x32a5705f, v34
	v_sub_f32_e32 v108, v108, v114
	v_add_f32_e32 v108, v108, v109
	v_exp_f32_e32 v108, v108
	v_cvt_i32_f32_e32 v109, v114
	v_cmp_ngt_f32_e32 vcc, s85, v34
	v_sub_f32_e32 v35, v35, v71
	v_sub_f32_e32 v36, v36, v71
	v_ldexp_f32 v108, v108, v109
	v_cndmask_b32_e32 v108, 0, v108, vcc
	v_cmp_nlt_f32_e32 vcc, s39, v34
	v_cndmask_b32_e32 v34, v110, v108, vcc
	v_mul_f32_e32 v108, 0x3fb8aa3b, v35
	v_fma_f32 v109, v35, s31, -v108
	v_rndne_f32_e32 v114, v108
	v_fmac_f32_e32 v109, 0x32a5705f, v35
	v_sub_f32_e32 v108, v108, v114
	v_add_f32_e32 v108, v108, v109
	v_exp_f32_e32 v108, v108
	v_cvt_i32_f32_e32 v109, v114
	v_cmp_ngt_f32_e32 vcc, s85, v35
	v_cndmask_b32_e64 v34, 0, v34, s[14:15]
	s_add_i32 s34, s34, -1
	v_ldexp_f32 v108, v108, v109
	v_cndmask_b32_e32 v108, 0, v108, vcc
	v_cmp_nlt_f32_e32 vcc, s39, v35
	v_cndmask_b32_e32 v108, v110, v108, vcc
	v_add_f32_e32 v109, v108, v34
	v_mov_b32_e32 v35, s35
	v_cndmask_b32_e64 v108, v35, v108, s[16:17]
	v_cndmask_b32_e64 v35, v34, v109, s[16:17]
	v_mul_f32_e32 v109, 0x3fb8aa3b, v36
	v_fma_f32 v114, v36, s31, -v109
	v_rndne_f32_e32 v115, v109
	v_fmac_f32_e32 v114, 0x32a5705f, v36
	v_sub_f32_e32 v109, v109, v115
	v_add_f32_e32 v109, v109, v114
	v_exp_f32_e32 v109, v109
	v_cvt_i32_f32_e32 v114, v115
	v_cmp_ngt_f32_e32 vcc, s85, v36
	v_cvt_f16_f32_e32 v34, v34
	s_cmp_lg_u32 s34, 0
	v_ldexp_f32 v109, v109, v114
	v_cndmask_b32_e32 v109, 0, v109, vcc
	v_cmp_nlt_f32_e32 vcc, s39, v36
	v_cndmask_b32_e32 v109, v110, v109, vcc
	v_add_f32_e32 v114, v35, v109
	v_mov_b32_e32 v36, s35
	v_cndmask_b32_e64 v109, v36, v109, s[18:19]
	v_cndmask_b32_e64 v36, v35, v114, s[18:19]
	v_sub_f32_e32 v35, v37, v71
	v_mul_f32_e32 v37, 0x3fb8aa3b, v35
	v_fma_f32 v114, v35, s31, -v37
	v_rndne_f32_e32 v115, v37
	v_fmac_f32_e32 v114, 0x32a5705f, v35
	v_sub_f32_e32 v37, v37, v115
	v_add_f32_e32 v37, v37, v114
	v_exp_f32_e32 v37, v37
	v_cvt_i32_f32_e32 v114, v115
	v_cmp_ngt_f32_e32 vcc, s85, v35
	v_ldexp_f32 v37, v37, v114
	v_cndmask_b32_e32 v37, 0, v37, vcc
	v_cmp_nlt_f32_e32 vcc, s39, v35
	v_cndmask_b32_e32 v37, v110, v37, vcc
	v_add_f32_e32 v114, v36, v37
	v_mov_b32_e32 v35, s35
	v_cndmask_b32_e64 v37, v35, v37, s[20:21]
	v_cndmask_b32_e64 v35, v36, v114, s[20:21]
	v_sub_f32_e32 v36, v38, v71
	v_mul_f32_e32 v38, 0x3fb8aa3b, v36
	v_fma_f32 v114, v36, s31, -v38
	v_rndne_f32_e32 v115, v38
	v_fmac_f32_e32 v114, 0x32a5705f, v36
	v_sub_f32_e32 v38, v38, v115
	v_add_f32_e32 v38, v38, v114
	v_exp_f32_e32 v38, v38
	v_cvt_i32_f32_e32 v114, v115
	v_cmp_ngt_f32_e32 vcc, s85, v36
	v_cvt_f16_f32_e32 v37, v37
	v_ldexp_f32 v38, v38, v114
	v_cndmask_b32_e32 v38, 0, v38, vcc
	v_cmp_nlt_f32_e32 vcc, s39, v36
	v_cndmask_b32_e32 v38, v110, v38, vcc
	v_add_f32_e32 v114, v38, v35
	v_mov_b32_e32 v36, s35
	v_cndmask_b32_e64 v38, v36, v38, s[22:23]
	v_cndmask_b32_e64 v36, v35, v114, s[22:23]
	v_sub_f32_e32 v35, v39, v71
	v_mul_f32_e32 v39, 0x3fb8aa3b, v35
	v_fma_f32 v114, v35, s31, -v39
	v_rndne_f32_e32 v115, v39
	v_fmac_f32_e32 v114, 0x32a5705f, v35
	v_sub_f32_e32 v39, v39, v115
	v_add_f32_e32 v39, v39, v114
	v_exp_f32_e32 v39, v39
	v_cvt_i32_f32_e32 v114, v115
	v_cmp_ngt_f32_e32 vcc, s85, v35
	v_ldexp_f32 v39, v39, v114
	v_cndmask_b32_e32 v39, 0, v39, vcc
	v_cmp_nlt_f32_e32 vcc, s39, v35
	v_cndmask_b32_e32 v39, v110, v39, vcc
	v_add_f32_e32 v114, v39, v36
	v_mov_b32_e32 v35, s35
	v_cndmask_b32_e64 v39, v35, v39, s[24:25]
	v_cndmask_b32_e64 v35, v36, v114, s[24:25]
	v_sub_f32_e32 v36, v40, v71
	v_mul_f32_e32 v40, 0x3fb8aa3b, v36
	v_fma_f32 v114, v36, s31, -v40
	v_rndne_f32_e32 v115, v40
	v_fmac_f32_e32 v114, 0x32a5705f, v36
	v_sub_f32_e32 v40, v40, v115
	v_add_f32_e32 v40, v40, v114
	v_exp_f32_e32 v40, v40
	v_cvt_i32_f32_e32 v114, v115
	v_cmp_ngt_f32_e32 vcc, s85, v36
	;; [unrolled: 18-line block ×3, first 2 shown]
	v_ldexp_f32 v41, v41, v114
	v_cndmask_b32_e32 v41, 0, v41, vcc
	v_cmp_nlt_f32_e32 vcc, s39, v35
	v_cndmask_b32_e32 v41, v110, v41, vcc
	v_add_f32_e32 v114, v41, v36
	v_mov_b32_e32 v35, s35
	v_cndmask_b32_e64 v234, v36, v114, s[28:29]
	v_sub_f32_e32 v36, v221, v71
	v_cndmask_b32_e64 v35, v35, v41, s[28:29]
	v_mul_f32_e32 v41, 0x3fb8aa3b, v36
	v_fma_f32 v114, v36, s31, -v41
	v_rndne_f32_e32 v115, v41
	v_fmac_f32_e32 v114, 0x32a5705f, v36
	v_sub_f32_e32 v41, v41, v115
	v_add_f32_e32 v41, v41, v114
	v_exp_f32_e32 v41, v41
	v_cvt_i32_f32_e32 v114, v115
	v_cmp_ngt_f32_e32 vcc, s85, v36
	v_cvt_f16_f32_e32 v35, v35
	v_ldexp_f32 v41, v41, v114
	v_cndmask_b32_e32 v41, 0, v41, vcc
	v_cmp_nlt_f32_e32 vcc, s39, v36
	v_cndmask_b32_e32 v41, v110, v41, vcc
	v_cmp_le_f32_e32 vcc, s33, v36
	v_cndmask_b32_e32 v36, 0, v41, vcc
	v_fmac_f32_e32 v234, v136, v36
	v_cvt_f16_f32_e32 v36, v36
	v_pk_mul_f16 v235, v36, v235 op_sel_hi:[0,1]
	v_pk_mul_f16 v51, v36, v51 op_sel_hi:[0,1]
	;; [unrolled: 1-line block ×32, first 2 shown]
	v_cvt_f16_f32_e32 v36, v108
	v_mov_b32_e32 v112, s97
	v_pack_b32_f16 v36, v34, v36
	v_cvt_f16_f32_e32 v34, v109
	v_pack_b32_f16 v37, v34, v37
	v_cvt_f16_f32_e32 v34, v38
	v_cvt_f16_f32_e32 v38, v39
	v_pack_b32_f16 v34, v34, v38
	v_cvt_f16_f32_e32 v38, v40
	v_pack_b32_f16 v35, v38, v35
	v_add_co_u32_e32 v38, vcc, v76, v52
	v_addc_co_u32_e32 v39, vcc, 0, v1, vcc
	v_cndmask_b32_e64 v114, v116, v38, s[6:7]
	v_add_co_u32_e32 v38, vcc, v78, v52
	v_cndmask_b32_e64 v115, v112, v39, s[6:7]
	v_addc_co_u32_e32 v39, vcc, 0, v43, vcc
	v_cndmask_b32_e64 v108, v116, v38, s[58:59]
	v_add_co_u32_e32 v38, vcc, v80, v52
	v_cndmask_b32_e64 v109, v112, v39, s[58:59]
	;; [unrolled: 4-line block ×3, first 2 shown]
	flat_load_dwordx4 v[114:117], v[114:115]
	v_cndmask_b32_e64 v41, v112, v39, s[10:11]
	v_addc_co_u32_e32 v39, vcc, 0, v47, vcc
	v_cndmask_b32_e64 v39, v112, v39, s[12:13]
	v_add_co_u32_e32 v76, vcc, s36, v76
	s_waitcnt vmcnt(0) lgkmcnt(0)
	ds_write_b128 v126, v[114:117]
	flat_load_dwordx4 v[114:117], v[108:109]
	s_waitcnt vmcnt(0) lgkmcnt(0)
	ds_write_b128 v128, v[114:117]
	flat_load_dwordx4 v[114:117], v[40:41]
	;; [unrolled: 3-line block ×3, first 2 shown]
	v_cvt_f32_f16_e32 v116, v219
	v_cvt_f32_f16_sdwa v117, v219 dst_sel:DWORD dst_unused:UNUSED_PAD src0_sel:WORD_1
	s_waitcnt vmcnt(0) lgkmcnt(0)
	ds_write_b128 v132, v[38:41]
	s_waitcnt lgkmcnt(0)
	s_barrier
	ds_read_u16 v108, v141 offset:528
	ds_read_u16 v109, v141 offset:1056
	v_cvt_f32_f16_e32 v40, v51
	v_cvt_f32_f16_sdwa v41, v51 dst_sel:DWORD dst_unused:UNUSED_PAD src0_sel:WORD_1
	ds_read_u16 v51, v142
	ds_read_u16 v112, v142 offset:32
	v_cvt_f32_f16_e32 v38, v235
	v_cvt_f32_f16_sdwa v39, v235 dst_sel:DWORD dst_unused:UNUSED_PAD src0_sel:WORD_1
	s_waitcnt lgkmcnt(1)
	v_perm_b32 v109, v51, v109, s30
	ds_read_u16 v51, v140
	ds_read_u16 v114, v140 offset:32
	s_waitcnt lgkmcnt(1)
	v_perm_b32 v108, v108, v51, s30
	s_nop 1
	v_mfma_f32_16x16x16f16 v[38:41], v[108:109], v[36:37], v[38:41]
	ds_read_u16 v51, v140 offset:16896
	ds_read_u16 v108, v143 offset:528
	;; [unrolled: 1-line block ×4, first 2 shown]
	s_waitcnt lgkmcnt(2)
	v_perm_b32 v108, v108, v51, s30
	s_waitcnt lgkmcnt(0)
	v_perm_b32 v109, v115, v109, s30
	s_nop 2
	v_cvt_f16_f32_e32 v38, v38
	v_cvt_f16_f32_e32 v39, v39
	;; [unrolled: 1-line block ×4, first 2 shown]
	v_cvt_f32_f16_e32 v38, v38
	v_cvt_f32_f16_e32 v39, v39
	;; [unrolled: 1-line block ×4, first 2 shown]
	s_nop 1
	v_mfma_f32_16x16x16f16 v[38:41], v[108:109], v[34:35], v[38:41]
	ds_read_u16 v108, v144 offset:528
	ds_read_u16 v109, v144 offset:1056
	s_waitcnt lgkmcnt(1)
	v_perm_b32 v108, v108, v114, s30
	s_waitcnt lgkmcnt(0)
	v_perm_b32 v109, v112, v109, s30
	s_nop 4
	v_cvt_f16_f32_e32 v38, v38
	v_cvt_f16_f32_e32 v39, v39
	v_cvt_f16_f32_e32 v40, v40
	v_cvt_f16_f32_e32 v41, v41
	v_pack_b32_f16 v235, v38, v39
	v_cvt_f32_f16_e32 v38, v241
	v_pack_b32_f16 v51, v40, v41
	v_cvt_f32_f16_sdwa v39, v241 dst_sel:DWORD dst_unused:UNUSED_PAD src0_sel:WORD_1
	v_cvt_f32_f16_e32 v40, v236
	v_cvt_f32_f16_sdwa v41, v236 dst_sel:DWORD dst_unused:UNUSED_PAD src0_sel:WORD_1
	s_nop 1
	v_mfma_f32_16x16x16f16 v[38:41], v[108:109], v[36:37], v[38:41]
	ds_read_u16 v108, v145 offset:16896
	ds_read_u16 v112, v146 offset:528
	ds_read_u16 v109, v147 offset:1056
	ds_read_u16 v114, v148 offset:16896
	s_waitcnt lgkmcnt(2)
	v_perm_b32 v108, v112, v108, s30
	s_waitcnt lgkmcnt(0)
	v_perm_b32 v109, v114, v109, s30
	s_nop 2
	v_cvt_f16_f32_e32 v38, v38
	v_cvt_f16_f32_e32 v39, v39
	v_cvt_f16_f32_e32 v40, v40
	v_cvt_f16_f32_e32 v41, v41
	v_cvt_f32_f16_e32 v38, v38
	v_cvt_f32_f16_e32 v39, v39
	v_cvt_f32_f16_e32 v40, v40
	v_cvt_f32_f16_e32 v41, v41
	s_nop 1
	v_mfma_f32_16x16x16f16 v[38:41], v[108:109], v[34:35], v[38:41]
	ds_read_u16 v108, v140 offset:64
	ds_read_u16 v112, v149 offset:528
	ds_read_u16 v109, v149 offset:1056
	ds_read_u16 v114, v142 offset:64
	s_waitcnt lgkmcnt(2)
	v_perm_b32 v108, v112, v108, s30
	s_waitcnt lgkmcnt(0)
	v_perm_b32 v109, v114, v109, s30
	s_nop 2
	v_cvt_f16_f32_e32 v38, v38
	v_cvt_f16_f32_e32 v39, v39
	v_cvt_f16_f32_e32 v40, v40
	v_cvt_f16_f32_e32 v41, v41
	v_pack_b32_f16 v241, v38, v39
	v_cvt_f32_f16_e32 v38, v252
	v_pack_b32_f16 v236, v40, v41
	v_cvt_f32_f16_sdwa v39, v252 dst_sel:DWORD dst_unused:UNUSED_PAD src0_sel:WORD_1
	v_cvt_f32_f16_e32 v40, v242
	v_cvt_f32_f16_sdwa v41, v242 dst_sel:DWORD dst_unused:UNUSED_PAD src0_sel:WORD_1
	s_nop 1
	v_mfma_f32_16x16x16f16 v[38:41], v[108:109], v[36:37], v[38:41]
	ds_read_u16 v108, v150 offset:16896
	ds_read_u16 v112, v151 offset:528
	ds_read_u16 v109, v152 offset:1056
	ds_read_u16 v114, v153 offset:16896
	s_waitcnt lgkmcnt(2)
	v_perm_b32 v108, v112, v108, s30
	s_waitcnt lgkmcnt(0)
	v_perm_b32 v109, v114, v109, s30
	s_nop 2
	v_cvt_f16_f32_e32 v38, v38
	v_cvt_f16_f32_e32 v39, v39
	v_cvt_f16_f32_e32 v40, v40
	v_cvt_f16_f32_e32 v41, v41
	v_cvt_f32_f16_e32 v38, v38
	v_cvt_f32_f16_e32 v39, v39
	v_cvt_f32_f16_e32 v40, v40
	v_cvt_f32_f16_e32 v41, v41
	s_nop 1
	v_mfma_f32_16x16x16f16 v[38:41], v[108:109], v[34:35], v[38:41]
	ds_read_u16 v108, v140 offset:96
	ds_read_u16 v112, v154 offset:528
	;; [unrolled: 40-line block ×11, first 2 shown]
	ds_read_u16 v109, v199 offset:1056
	ds_read_u16 v115, v142 offset:384
	s_waitcnt lgkmcnt(2)
	v_perm_b32 v108, v114, v108, s30
	s_waitcnt lgkmcnt(0)
	v_perm_b32 v109, v115, v109, s30
	s_nop 2
	v_cvt_f16_f32_e32 v38, v38
	v_cvt_f16_f32_e32 v39, v39
	;; [unrolled: 1-line block ×4, first 2 shown]
	v_pack_b32_f16 v230, v38, v39
	v_cvt_f32_f16_e32 v38, v247
	v_pack_b32_f16 v229, v40, v41
	v_cvt_f32_f16_sdwa v39, v247 dst_sel:DWORD dst_unused:UNUSED_PAD src0_sel:WORD_1
	v_cvt_f32_f16_e32 v40, v231
	v_cvt_f32_f16_sdwa v41, v231 dst_sel:DWORD dst_unused:UNUSED_PAD src0_sel:WORD_1
	s_nop 1
	v_mfma_f32_16x16x16f16 v[38:41], v[108:109], v[36:37], v[38:41]
	ds_read_u16 v108, v200 offset:16896
	ds_read_u16 v114, v201 offset:528
	;; [unrolled: 1-line block ×4, first 2 shown]
	s_waitcnt lgkmcnt(2)
	v_perm_b32 v108, v114, v108, s30
	v_cvt_f32_f16_e32 v114, v220
	s_waitcnt lgkmcnt(0)
	v_perm_b32 v109, v115, v109, s30
	v_cvt_f32_f16_sdwa v115, v220 dst_sel:DWORD dst_unused:UNUSED_PAD src0_sel:WORD_1
	s_nop 0
	v_cvt_f16_f32_e32 v38, v38
	v_cvt_f16_f32_e32 v39, v39
	;; [unrolled: 1-line block ×4, first 2 shown]
	v_cvt_f32_f16_e32 v38, v38
	v_cvt_f32_f16_e32 v39, v39
	;; [unrolled: 1-line block ×4, first 2 shown]
	s_nop 1
	v_mfma_f32_16x16x16f16 v[38:41], v[108:109], v[34:35], v[38:41]
	s_nop 7
	s_nop 2
	v_cvt_f16_f32_e32 v38, v38
	v_cvt_f16_f32_e32 v39, v39
	;; [unrolled: 1-line block ×4, first 2 shown]
	v_pack_b32_f16 v247, v38, v39
	v_pack_b32_f16 v231, v40, v41
	ds_read_u16 v38, v140 offset:416
	ds_read_u16 v39, v204 offset:528
	;; [unrolled: 1-line block ×4, first 2 shown]
	s_waitcnt lgkmcnt(0)
	v_perm_b32 v41, v41, v40, s30
	v_perm_b32 v40, v39, v38, s30
	s_nop 1
	v_mfma_f32_16x16x16f16 v[38:41], v[40:41], v[36:37], v[114:117]
	ds_read_u16 v108, v205 offset:16896
	s_nop 5
	ds_read_u16 v114, v206 offset:528
	ds_read_u16 v109, v207 offset:1056
	;; [unrolled: 1-line block ×3, first 2 shown]
	s_waitcnt lgkmcnt(2)
	v_perm_b32 v108, v114, v108, s30
	s_waitcnt lgkmcnt(0)
	v_perm_b32 v109, v115, v109, s30
	v_cvt_f16_f32_e32 v38, v38
	v_cvt_f16_f32_e32 v39, v39
	v_cvt_f16_f32_e32 v40, v40
	v_cvt_f16_f32_e32 v41, v41
	v_cvt_f32_f16_e32 v38, v38
	v_cvt_f32_f16_e32 v39, v39
	;; [unrolled: 1-line block ×4, first 2 shown]
	s_nop 1
	v_mfma_f32_16x16x16f16 v[38:41], v[108:109], v[34:35], v[38:41]
	ds_read_u16 v108, v140 offset:448
	ds_read_u16 v114, v209 offset:528
	;; [unrolled: 1-line block ×4, first 2 shown]
	s_waitcnt lgkmcnt(2)
	v_perm_b32 v108, v114, v108, s30
	s_waitcnt lgkmcnt(0)
	v_perm_b32 v109, v115, v109, s30
	s_nop 2
	v_cvt_f16_f32_e32 v38, v38
	v_cvt_f16_f32_e32 v39, v39
	;; [unrolled: 1-line block ×4, first 2 shown]
	v_pack_b32_f16 v220, v38, v39
	v_cvt_f32_f16_e32 v38, v131
	v_pack_b32_f16 v219, v40, v41
	v_cvt_f32_f16_sdwa v39, v131 dst_sel:DWORD dst_unused:UNUSED_PAD src0_sel:WORD_1
	v_cvt_f32_f16_e32 v40, v129
	v_cvt_f32_f16_sdwa v41, v129 dst_sel:DWORD dst_unused:UNUSED_PAD src0_sel:WORD_1
	s_nop 1
	v_mfma_f32_16x16x16f16 v[38:41], v[108:109], v[36:37], v[38:41]
	ds_read_u16 v108, v210 offset:16896
	ds_read_u16 v114, v211 offset:528
	;; [unrolled: 1-line block ×4, first 2 shown]
	s_waitcnt lgkmcnt(2)
	v_perm_b32 v108, v114, v108, s30
	s_waitcnt lgkmcnt(0)
	v_perm_b32 v109, v115, v109, s30
	s_nop 2
	v_cvt_f16_f32_e32 v38, v38
	v_cvt_f16_f32_e32 v39, v39
	;; [unrolled: 1-line block ×4, first 2 shown]
	v_cvt_f32_f16_e32 v38, v38
	v_cvt_f32_f16_e32 v39, v39
	;; [unrolled: 1-line block ×4, first 2 shown]
	s_nop 1
	v_mfma_f32_16x16x16f16 v[38:41], v[108:109], v[34:35], v[38:41]
	ds_read_u16 v108, v140 offset:480
	ds_read_u16 v114, v214 offset:528
	;; [unrolled: 1-line block ×4, first 2 shown]
	s_waitcnt lgkmcnt(2)
	v_perm_b32 v108, v114, v108, s30
	s_waitcnt lgkmcnt(0)
	v_perm_b32 v109, v115, v109, s30
	s_nop 2
	v_cvt_f16_f32_e32 v38, v38
	v_cvt_f16_f32_e32 v39, v39
	;; [unrolled: 1-line block ×4, first 2 shown]
	v_pack_b32_f16 v131, v38, v39
	v_cvt_f32_f16_e32 v38, v127
	v_pack_b32_f16 v129, v40, v41
	v_cvt_f32_f16_sdwa v39, v127 dst_sel:DWORD dst_unused:UNUSED_PAD src0_sel:WORD_1
	v_cvt_f32_f16_e32 v40, v237
	v_cvt_f32_f16_sdwa v41, v237 dst_sel:DWORD dst_unused:UNUSED_PAD src0_sel:WORD_1
	s_nop 1
	v_mfma_f32_16x16x16f16 v[36:39], v[108:109], v[36:37], v[38:41]
	s_nop 6
	ds_read_u16 v40, v215 offset:16896
	ds_read_u16 v108, v216 offset:528
	;; [unrolled: 1-line block ×4, first 2 shown]
	s_waitcnt lgkmcnt(0)
	s_barrier
	v_perm_b32 v40, v108, v40, s30
	v_perm_b32 v41, v109, v41, s30
	v_cvt_f16_f32_e32 v36, v36
	v_cvt_f16_f32_e32 v37, v37
	;; [unrolled: 1-line block ×4, first 2 shown]
	v_cvt_f32_f16_e32 v36, v36
	v_cvt_f32_f16_e32 v37, v37
	;; [unrolled: 1-line block ×4, first 2 shown]
	s_nop 1
	v_mfma_f32_16x16x16f16 v[34:37], v[40:41], v[34:35], v[36:39]
	s_nop 7
	s_nop 2
	v_cvt_f16_f32_e32 v34, v34
	v_cvt_f16_f32_e32 v35, v35
	;; [unrolled: 1-line block ×4, first 2 shown]
	v_pack_b32_f16 v127, v34, v35
	v_mov_b32_e32 v34, s37
	v_addc_co_u32_e32 v1, vcc, v1, v34, vcc
	v_add_co_u32_e32 v78, vcc, s36, v78
	v_addc_co_u32_e32 v43, vcc, v43, v34, vcc
	v_add_co_u32_e32 v80, vcc, s36, v80
	;; [unrolled: 2-line block ×4, first 2 shown]
	v_mov_b32_e32 v34, s9
	v_addc_co_u32_e32 v49, vcc, v49, v34, vcc
	v_add_co_u32_e32 v86, vcc, s8, v86
	v_addc_co_u32_e32 v53, vcc, v53, v34, vcc
	v_add_co_u32_e32 v88, vcc, s8, v88
	;; [unrolled: 2-line block ×11, first 2 shown]
	v_pack_b32_f16 v237, v36, v37
	v_addc_co_u32_e32 v107, vcc, 0, v107, vcc
	s_cbranch_scc0 .LBB29_295
; %bb.293:                              ;   in Loop: Header=BB29_290 Depth=2
	v_mov_b32_e32 v136, v234
	v_mov_b32_e32 v221, v71
	v_cndmask_b32_e64 v34, 0, 1, s[40:41]
	v_cmp_ne_u32_e64 s[42:43], 1, v34
	s_andn2_b64 vcc, exec, s[40:41]
	s_cbranch_vccz .LBB29_285
	s_branch .LBB29_290
.LBB29_294:                             ;   in Loop: Header=BB29_14 Depth=1
	v_mov_b32_e32 v234, 0
	v_mov_b32_e32 v71, 0xfeffffff
	;; [unrolled: 1-line block ×26, first 2 shown]
	s_waitcnt vmcnt(0)
	v_mov_b32_e32 v247, 0
	v_mov_b32_e32 v219, 0
	;; [unrolled: 1-line block ×7, first 2 shown]
	s_branch .LBB29_296
.LBB29_295:                             ;   in Loop: Header=BB29_14 Depth=1
	buffer_load_dword v80, off, s[0:3], 0 offset:20 ; 4-byte Folded Reload
	buffer_load_dword v82, off, s[0:3], 0 offset:24 ; 4-byte Folded Reload
	;; [unrolled: 1-line block ×12, first 2 shown]
.LBB29_296:                             ;   in Loop: Header=BB29_14 Depth=1
	s_lshl_b32 s34, s46, 6
	v_readlane_b32 s40, v254, 4
	v_cmp_eq_u64_e32 vcc, 0, v[72:73]
	s_sub_i32 s64, s40, s34
	v_cmp_ne_u64_e64 s[48:49], 0, v[72:73]
	v_readlane_b32 s41, v254, 5
	s_cbranch_vccnz .LBB29_306
; %bb.297:                              ;   in Loop: Header=BB29_14 Depth=1
	v_cmp_le_i32_e32 vcc, s64, v42
	v_add_u32_e32 v0, v123, v124
                                        ; implicit-def: $sgpr44
	s_and_saveexec_b64 s[40:41], vcc
	s_xor_b64 s[40:41], exec, s[40:41]
	s_cbranch_execz .LBB29_299
; %bb.298:                              ;   in Loop: Header=BB29_14 Depth=1
	ds_write_b16 v0, v121 offset:33792
	ds_write_b16 v0, v121 offset:34944
	s_mov_b32 s44, 0
                                        ; implicit-def: $vgpr81
                                        ; implicit-def: $vgpr83
                                        ; implicit-def: $vgpr87
                                        ; implicit-def: $vgpr89
.LBB29_299:                             ;   in Loop: Header=BB29_14 Depth=1
	s_or_saveexec_b64 s[42:43], s[40:41]
	s_lshl_b64 s[40:41], s[34:35], 1
	v_mov_b32_e32 v1, s41
	v_add_co_u32_e64 v34, s[40:41], s40, v72
	v_addc_co_u32_e64 v35, s[40:41], v73, v1, s[40:41]
	v_lshlrev_b32_e32 v1, 1, v42
	v_add_co_u32_e64 v1, s[40:41], v34, v1
	v_addc_co_u32_e64 v34, s[40:41], 0, v35, s[40:41]
	v_mov_b32_e32 v35, s44
	v_mov_b32_e32 v36, s44
	s_xor_b64 exec, exec, s[42:43]
	s_cbranch_execz .LBB29_301
; %bb.300:                              ;   in Loop: Header=BB29_14 Depth=1
	v_mul_hi_u32 v35, s98, v81
	v_add_u32_e32 v35, v81, v35
	v_lshrrev_b32_e32 v35, s99, v35
	v_mul_lo_u32 v35, v35, s84
	v_sub_u32_e32 v35, v81, v35
	v_mad_i64_i32 v[36:37], s[40:41], v35, s88, 0
	v_lshlrev_b64 v[36:37], 1, v[36:37]
	v_add_co_u32_e64 v36, s[40:41], v1, v36
	v_addc_co_u32_e64 v37, s[40:41], v34, v37, s[40:41]
	flat_load_ushort v35, v[36:37]
	v_mul_hi_u32 v36, s98, v83
	v_add_u32_e32 v36, v83, v36
	v_lshrrev_b32_e32 v36, s99, v36
	v_mul_lo_u32 v36, v36, s84
	v_sub_u32_e32 v36, v83, v36
	v_mad_i64_i32 v[36:37], s[40:41], v36, s88, 0
	v_lshlrev_b64 v[36:37], 1, v[36:37]
	v_add_co_u32_e64 v36, s[40:41], v1, v36
	v_addc_co_u32_e64 v37, s[40:41], v34, v37, s[40:41]
	flat_load_ushort v36, v[36:37]
	s_waitcnt vmcnt(0) lgkmcnt(0)
	ds_write_b16 v0, v35 offset:33792
	ds_write_b16 v0, v36 offset:34944
	v_mul_hi_u32 v35, s98, v87
	v_add_u32_e32 v35, v87, v35
	v_lshrrev_b32_e32 v35, s99, v35
	v_mul_lo_u32 v35, v35, s84
	v_sub_u32_e32 v35, v87, v35
	v_mad_i64_i32 v[36:37], s[40:41], v35, s88, 0
	v_lshlrev_b64 v[36:37], 1, v[36:37]
	v_add_co_u32_e64 v36, s[40:41], v1, v36
	v_addc_co_u32_e64 v37, s[40:41], v34, v37, s[40:41]
	flat_load_ushort v35, v[36:37]
	v_mul_hi_u32 v36, s98, v89
	v_add_u32_e32 v36, v89, v36
	v_lshrrev_b32_e32 v36, s99, v36
	v_mul_lo_u32 v36, v36, s84
	v_sub_u32_e32 v36, v89, v36
	v_mad_i64_i32 v[36:37], s[40:41], v36, s88, 0
	v_lshlrev_b64 v[36:37], 1, v[36:37]
	v_add_co_u32_e64 v36, s[40:41], v1, v36
	v_addc_co_u32_e64 v37, s[40:41], v34, v37, s[40:41]
	flat_load_ushort v36, v[36:37]
.LBB29_301:                             ;   in Loop: Header=BB29_14 Depth=1
	s_or_b64 exec, exec, s[42:43]
	s_waitcnt vmcnt(0) lgkmcnt(0)
	ds_write_b16 v0, v35 offset:36096
	ds_write_b16 v0, v36 offset:37248
                                        ; implicit-def: $sgpr42
	s_and_saveexec_b64 s[40:41], vcc
	s_xor_b64 s[40:41], exec, s[40:41]
	s_cbranch_execz .LBB29_303
; %bb.302:                              ;   in Loop: Header=BB29_14 Depth=1
	ds_write_b16 v0, v121 offset:38400
	ds_write_b16 v0, v121 offset:39552
	s_mov_b32 s42, 0
                                        ; implicit-def: $vgpr85
                                        ; implicit-def: $vgpr1
                                        ; implicit-def: $vgpr34
                                        ; implicit-def: $vgpr91
                                        ; implicit-def: $vgpr233
                                        ; implicit-def: $vgpr111
.LBB29_303:                             ;   in Loop: Header=BB29_14 Depth=1
	s_or_saveexec_b64 s[40:41], s[40:41]
	v_mov_b32_e32 v35, s42
	v_mov_b32_e32 v36, s42
	s_xor_b64 exec, exec, s[40:41]
	s_cbranch_execz .LBB29_305
; %bb.304:                              ;   in Loop: Header=BB29_14 Depth=1
	v_mul_hi_u32 v35, s98, v85
	v_add_u32_e32 v35, v85, v35
	v_lshrrev_b32_e32 v35, s99, v35
	v_mul_lo_u32 v35, v35, s84
	v_sub_u32_e32 v35, v85, v35
	v_mad_i64_i32 v[36:37], s[42:43], v35, s88, 0
	v_lshlrev_b64 v[36:37], 1, v[36:37]
	v_add_co_u32_e32 v36, vcc, v1, v36
	v_addc_co_u32_e32 v37, vcc, v34, v37, vcc
	flat_load_ushort v35, v[36:37]
	v_mul_hi_u32 v36, s98, v91
	v_add_u32_e32 v36, v91, v36
	v_lshrrev_b32_e32 v36, s99, v36
	v_mul_lo_u32 v36, v36, s84
	v_sub_u32_e32 v36, v91, v36
	v_mad_i64_i32 v[36:37], s[42:43], v36, s88, 0
	v_lshlrev_b64 v[36:37], 1, v[36:37]
	v_add_co_u32_e32 v36, vcc, v1, v36
	v_addc_co_u32_e32 v37, vcc, v34, v37, vcc
	flat_load_ushort v36, v[36:37]
	s_waitcnt vmcnt(0) lgkmcnt(0)
	ds_write_b16 v0, v35 offset:38400
	ds_write_b16 v0, v36 offset:39552
	v_mul_hi_u32 v35, s98, v233
	v_add_u32_e32 v35, v233, v35
	v_lshrrev_b32_e32 v35, s99, v35
	v_mul_lo_u32 v35, v35, s84
	v_sub_u32_e32 v35, v233, v35
	v_mad_i64_i32 v[36:37], s[42:43], v35, s88, 0
	v_lshlrev_b64 v[36:37], 1, v[36:37]
	v_add_co_u32_e32 v36, vcc, v1, v36
	v_addc_co_u32_e32 v37, vcc, v34, v37, vcc
	flat_load_ushort v35, v[36:37]
	v_mul_hi_u32 v36, s98, v111
	v_add_u32_e32 v36, v111, v36
	v_lshrrev_b32_e32 v36, s99, v36
	v_mul_lo_u32 v36, v36, s84
	v_sub_u32_e32 v36, v111, v36
	v_mad_i64_i32 v[36:37], s[42:43], v36, s88, 0
	v_lshlrev_b64 v[36:37], 1, v[36:37]
	v_add_co_u32_e32 v36, vcc, v1, v36
	v_addc_co_u32_e32 v37, vcc, v34, v37, vcc
	flat_load_ushort v36, v[36:37]
.LBB29_305:                             ;   in Loop: Header=BB29_14 Depth=1
	s_or_b64 exec, exec, s[40:41]
	s_waitcnt vmcnt(0) lgkmcnt(0)
	ds_write_b16 v0, v35 offset:40704
	ds_write_b16 v0, v36 offset:41856
.LBB29_306:                             ;   in Loop: Header=BB29_14 Depth=1
	s_mul_i32 s40, s34, s67
	s_mul_hi_u32 s41, s34, s66
	s_add_i32 s41, s41, s40
	s_mul_i32 s40, s34, s66
	s_lshl_b64 s[40:41], s[40:41], 2
	s_add_u32 s50, s68, s40
	s_addc_u32 s51, s69, s41
	v_add_co_u32_e32 v0, vcc, s50, v62
	v_mov_b32_e32 v1, s51
	v_addc_co_u32_e32 v1, vcc, v1, v63, vcc
	v_lshlrev_b32_e32 v47, 2, v48
	v_add_co_u32_e32 v0, vcc, v0, v47
	s_waitcnt vmcnt(11)
	v_cmp_gt_i32_e64 s[40:41], s64, v80
	v_addc_co_u32_e32 v1, vcc, 0, v1, vcc
	v_mov_b32_e32 v38, s97
	v_mov_b32_e32 v39, s96
	buffer_store_dword v121, off, s[0:3], 0
	buffer_store_dword v121, off, s[0:3], 0 offset:4
	buffer_store_dword v121, off, s[0:3], 0 offset:8
	;; [unrolled: 1-line block ×3, first 2 shown]
	v_cndmask_b32_e64 v1, v38, v1, s[40:41]
	v_cndmask_b32_e64 v0, v39, v0, s[40:41]
	flat_load_dwordx4 v[34:37], v[0:1]
	v_add_co_u32_e32 v0, vcc, s50, v64
	v_mov_b32_e32 v1, s51
	v_addc_co_u32_e32 v1, vcc, v1, v65, vcc
	v_add_co_u32_e32 v0, vcc, v0, v47
	s_waitcnt vmcnt(0)
	v_cmp_gt_i32_e64 s[42:43], s64, v82
	v_addc_co_u32_e32 v1, vcc, 0, v1, vcc
	v_cndmask_b32_e64 v1, v38, v1, s[42:43]
	v_cndmask_b32_e64 v0, v39, v0, s[42:43]
	v_cmp_gt_i32_e64 s[44:45], s64, v84
	v_cmp_gt_i32_e64 s[46:47], s64, v86
	s_waitcnt lgkmcnt(0)
	ds_write_b128 v126, v[34:37]
	flat_load_dwordx4 v[34:37], v[0:1]
	v_add_co_u32_e32 v0, vcc, s50, v66
	v_mov_b32_e32 v1, s51
	v_addc_co_u32_e32 v1, vcc, v1, v67, vcc
	v_add_co_u32_e32 v0, vcc, v0, v47
	v_addc_co_u32_e32 v1, vcc, 0, v1, vcc
	v_cndmask_b32_e64 v1, v38, v1, s[44:45]
	v_cndmask_b32_e64 v0, v39, v0, s[44:45]
	s_waitcnt vmcnt(0) lgkmcnt(0)
	ds_write_b128 v128, v[34:37]
	flat_load_dwordx4 v[34:37], v[0:1]
	v_add_co_u32_e32 v0, vcc, s50, v68
	v_mov_b32_e32 v1, s51
	v_addc_co_u32_e32 v1, vcc, v1, v69, vcc
	v_add_co_u32_e32 v0, vcc, v0, v47
	v_addc_co_u32_e32 v1, vcc, 0, v1, vcc
	v_cndmask_b32_e64 v1, v38, v1, s[46:47]
	v_cndmask_b32_e64 v0, v39, v0, s[46:47]
	s_andn2_b64 vcc, exec, s[48:49]
	s_waitcnt vmcnt(0) lgkmcnt(0)
	ds_write_b128 v130, v[34:37]
	flat_load_dwordx4 v[34:37], v[0:1]
	v_add_u32_e32 v0, 0x4000, v133
	s_waitcnt vmcnt(0) lgkmcnt(0)
	ds_write_b128 v132, v[34:37]
	s_waitcnt lgkmcnt(0)
	s_barrier
	ds_read2_b64 v[34:37], v133 offset1:4
	s_waitcnt lgkmcnt(0)
	v_mfma_f32_16x16x16f16 v[38:41], v[34:35], v[30:31], 0
	v_mfma_f32_16x16x16f16 v[34:37], v[36:37], v[32:33], v[38:41]
	s_nop 7
	s_nop 1
	ds_read2_b64 v[38:41], v133 offset0:8 offset1:12
	s_waitcnt lgkmcnt(0)
	v_mfma_f32_16x16x16f16 v[34:37], v[38:39], v[26:27], v[34:37]
	v_mfma_f32_16x16x16f16 v[34:37], v[40:41], v[28:29], v[34:37]
	ds_read2_b64 v[38:41], v133 offset0:16 offset1:20
	s_waitcnt lgkmcnt(0)
	v_mfma_f32_16x16x16f16 v[34:37], v[38:39], v[22:23], v[34:37]
	v_mfma_f32_16x16x16f16 v[34:37], v[40:41], v[24:25], v[34:37]
	;; [unrolled: 4-line block ×9, first 2 shown]
	s_nop 7
	s_nop 1
	ds_read2_b64 v[30:33], v0 offset0:80 offset1:84
	s_waitcnt lgkmcnt(0)
	v_mfma_f32_16x16x16f16 v[26:29], v[30:31], v[22:23], v[26:29]
	v_mfma_f32_16x16x16f16 v[22:25], v[32:33], v[24:25], v[26:29]
	s_nop 7
	s_nop 1
	ds_read2_b64 v[26:29], v0 offset0:88 offset1:92
	s_waitcnt lgkmcnt(0)
	v_mfma_f32_16x16x16f16 v[22:25], v[26:27], v[18:19], v[22:25]
	v_mfma_f32_16x16x16f16 v[18:21], v[28:29], v[20:21], v[22:25]
	;; [unrolled: 6-line block ×5, first 2 shown]
	s_nop 7
	s_nop 1
	ds_read2_b64 v[10:13], v0 offset0:120 offset1:124
	s_waitcnt lgkmcnt(0)
	v_mfma_f32_16x16x16f16 v[0:3], v[10:11], v[2:3], v[6:9]
	s_barrier
	v_mfma_f32_16x16x16f16 v[2:5], v[12:13], v[4:5], v[0:3]
	s_cbranch_vccnz .LBB29_308
; %bb.307:                              ;   in Loop: Header=BB29_14 Depth=1
	s_nop 7
	v_add_u32_e32 v0, 0x8400, v135
	ds_read2_b32 v[0:1], v0 offset1:1
	s_waitcnt lgkmcnt(0)
	v_cvt_f32_f16_e32 v6, v0
	v_cvt_f32_f16_sdwa v7, v0 dst_sel:DWORD dst_unused:UNUSED_PAD src0_sel:WORD_1
	v_cvt_f32_f16_e32 v0, v1
	v_cvt_f32_f16_sdwa v1, v1 dst_sel:DWORD dst_unused:UNUSED_PAD src0_sel:WORD_1
	v_pk_fma_f32 v[34:35], v[70:71], v[6:7], v[34:35] op_sel_hi:[0,1,1]
	ds_read_b32 v6, v139 offset:33792
	v_pk_fma_f32 v[36:37], v[70:71], v[0:1], v[36:37] op_sel_hi:[0,1,1]
	ds_read_b32 v0, v137 offset:33792
	s_waitcnt lgkmcnt(1)
	v_cvt_f32_f16_sdwa v7, v6 dst_sel:DWORD dst_unused:UNUSED_PAD src0_sel:WORD_1
	v_cvt_f32_f16_e32 v6, v6
	s_waitcnt lgkmcnt(0)
	v_cvt_f32_f16_sdwa v1, v0 dst_sel:DWORD dst_unused:UNUSED_PAD src0_sel:WORD_1
	v_cvt_f32_f16_e32 v0, v0
	v_pk_fma_f32 v[4:5], v[70:71], v[6:7], v[4:5] op_sel_hi:[0,1,1]
	v_pk_fma_f32 v[2:3], v[70:71], v[0:1], v[2:3] op_sel_hi:[0,1,1]
.LBB29_308:                             ;   in Loop: Header=BB29_14 Depth=1
	s_nop 7
	v_add_f32_e32 v0, 0x40051340, v34
	v_max_f32_e32 v1, v71, v71
	v_cmp_gt_u32_e64 s[60:61], s64, v88
	v_max_f32_e32 v0, v1, v0
	v_cndmask_b32_e64 v0, v71, v0, s[60:61]
	v_add_f32_e32 v1, 0x40051340, v35
	v_max_f32_e32 v6, v0, v0
	v_cmp_gt_u32_e64 s[62:63], s64, v96
	v_max_f32_e32 v1, v6, v1
	v_cndmask_b32_e64 v0, v0, v1, s[62:63]
	;; [unrolled: 5-line block ×7, first 2 shown]
	v_add_f32_e32 v1, 0x40051340, v5
	v_max_f32_e32 v6, v0, v0
	v_cmp_gt_u32_e32 vcc, s64, v116
	v_max_f32_e32 v1, v6, v1
	v_cndmask_b32_e32 v1, v0, v1, vcc
	v_and_b32_e32 v0, 64, v232
	v_add_u32_e32 v6, 64, v0
	v_xor_b32_e32 v0, 32, v232
	v_cmp_lt_i32_e64 s[64:65], v0, v6
	v_cndmask_b32_e64 v0, v232, v0, s[64:65]
	v_lshlrev_b32_e32 v0, 2, v0
	ds_bpermute_b32 v7, v0, v1
	v_max_f32_e32 v1, v1, v1
	v_cndmask_b32_e64 v10, v36, v36, s[62:63]
	v_cndmask_b32_e64 v3, v3, v3, s[52:53]
	;; [unrolled: 1-line block ×3, first 2 shown]
	s_waitcnt lgkmcnt(0)
	v_max_f32_e32 v7, v7, v7
	v_max_f32_e32 v1, v1, v7
	v_xor_b32_e32 v7, 16, v232
	v_cmp_lt_i32_e64 s[64:65], v7, v6
	v_cndmask_b32_e64 v6, v232, v7, s[64:65]
	v_lshlrev_b32_e32 v38, 2, v6
	ds_bpermute_b32 v6, v38, v1
	v_cndmask_b32_e64 v4, v4, v4, s[52:53]
	buffer_store_dword v121, off, s[0:3], 0
	buffer_store_dword v121, off, s[0:3], 0 offset:4
	buffer_store_dword v121, off, s[0:3], 0 offset:8
	;; [unrolled: 1-line block ×3, first 2 shown]
	s_waitcnt lgkmcnt(0)
	v_max_f32_e32 v6, v6, v6
	v_max_f32_e32 v6, v1, v6
	v_sub_f32_e32 v1, v34, v6
	v_mul_f32_e32 v7, 0x3fb8aa3b, v1
	v_fma_f32 v8, v1, s31, -v7
	v_rndne_f32_e32 v9, v7
	v_fmac_f32_e32 v8, 0x32a5705f, v1
	v_sub_f32_e32 v7, v7, v9
	v_add_f32_e32 v7, v7, v8
	v_exp_f32_e32 v7, v7
	v_cvt_i32_f32_e32 v8, v9
	v_cmp_ngt_f32_e64 s[64:65], s85, v1
	v_sub_f32_e32 v2, v2, v6
	v_ldexp_f32 v7, v7, v8
	v_cndmask_b32_e64 v7, 0, v7, s[64:65]
	v_cmp_nlt_f32_e64 s[64:65], s39, v1
	v_cndmask_b32_e64 v1, v110, v7, s[64:65]
	v_cndmask_b32_e64 v14, 0, v1, s[60:61]
	v_sub_f32_e32 v1, v35, v6
	v_mul_f32_e32 v7, 0x3fb8aa3b, v1
	v_fma_f32 v8, v1, s31, -v7
	v_rndne_f32_e32 v9, v7
	v_fmac_f32_e32 v8, 0x32a5705f, v1
	v_sub_f32_e32 v7, v7, v9
	v_add_f32_e32 v7, v7, v8
	v_exp_f32_e32 v7, v7
	v_cvt_i32_f32_e32 v8, v9
	v_cmp_ngt_f32_e64 s[60:61], s85, v1
	v_cndmask_b32_e64 v9, v37, v37, s[62:63]
	v_ldexp_f32 v7, v7, v8
	v_cndmask_b32_e64 v7, 0, v7, s[60:61]
	v_cmp_nlt_f32_e64 s[60:61], s39, v1
	v_cndmask_b32_e64 v7, v110, v7, s[60:61]
	v_mov_b32_e32 v1, s35
	v_add_f32_e32 v8, v7, v14
	v_cndmask_b32_e64 v15, v1, v7, s[62:63]
	v_sub_f32_e32 v7, v10, v6
	v_cndmask_b32_e64 v1, v14, v8, s[62:63]
	v_mul_f32_e32 v8, 0x3fb8aa3b, v7
	v_fma_f32 v10, v7, s31, -v8
	v_rndne_f32_e32 v11, v8
	v_fmac_f32_e32 v10, 0x32a5705f, v7
	v_sub_f32_e32 v8, v8, v11
	v_add_f32_e32 v8, v8, v10
	v_exp_f32_e32 v8, v8
	v_cvt_i32_f32_e32 v10, v11
	v_cmp_ngt_f32_e64 s[60:61], s85, v7
	v_ldexp_f32 v8, v8, v10
	v_cndmask_b32_e64 v8, 0, v8, s[60:61]
	v_cmp_nlt_f32_e64 s[60:61], s39, v7
	v_cndmask_b32_e64 v7, v110, v8, s[60:61]
	v_mov_b32_e32 v8, s35
	v_add_f32_e32 v10, v1, v7
	v_cndmask_b32_e64 v21, v8, v7, s[56:57]
	v_sub_f32_e32 v7, v9, v6
	v_mul_f32_e32 v8, 0x3fb8aa3b, v7
	v_cndmask_b32_e64 v1, v1, v10, s[56:57]
	v_fma_f32 v9, v7, s31, -v8
	v_rndne_f32_e32 v10, v8
	v_fmac_f32_e32 v9, 0x32a5705f, v7
	v_sub_f32_e32 v8, v8, v10
	v_add_f32_e32 v8, v8, v9
	v_exp_f32_e32 v8, v8
	v_cvt_i32_f32_e32 v9, v10
	v_cmp_ngt_f32_e64 s[56:57], s85, v7
	v_ldexp_f32 v8, v8, v9
	v_cndmask_b32_e64 v8, 0, v8, s[56:57]
	v_cmp_nlt_f32_e64 s[56:57], s39, v7
	v_cndmask_b32_e64 v8, v110, v8, s[56:57]
	v_mov_b32_e32 v7, s35
	v_add_f32_e32 v9, v1, v8
	v_cndmask_b32_e64 v49, v7, v8, s[54:55]
	v_mul_f32_e32 v7, 0x3fb8aa3b, v2
	v_cndmask_b32_e64 v1, v1, v9, s[54:55]
	v_fma_f32 v8, v2, s31, -v7
	v_rndne_f32_e32 v9, v7
	v_fmac_f32_e32 v8, 0x32a5705f, v2
	v_sub_f32_e32 v7, v7, v9
	v_add_f32_e32 v7, v7, v8
	v_exp_f32_e32 v7, v7
	v_cvt_i32_f32_e32 v8, v9
	v_cmp_ngt_f32_e64 s[54:55], s85, v2
	v_ldexp_f32 v7, v7, v8
	v_cndmask_b32_e64 v7, 0, v7, s[54:55]
	v_cmp_nlt_f32_e64 s[54:55], s39, v2
	v_cndmask_b32_e64 v7, v110, v7, s[54:55]
	v_add_f32_e32 v8, v7, v1
	v_mov_b32_e32 v2, s35
	v_cndmask_b32_e64 v50, v2, v7, s[52:53]
	v_cndmask_b32_e64 v2, v1, v8, s[52:53]
	v_sub_f32_e32 v1, v3, v6
	v_mul_f32_e32 v3, 0x3fb8aa3b, v1
	v_fma_f32 v7, v1, s31, -v3
	v_rndne_f32_e32 v8, v3
	v_fmac_f32_e32 v7, 0x32a5705f, v1
	v_sub_f32_e32 v3, v3, v8
	v_add_f32_e32 v3, v3, v7
	v_exp_f32_e32 v3, v3
	v_cvt_i32_f32_e32 v7, v8
	v_cmp_ngt_f32_e64 s[52:53], s85, v1
	v_ldexp_f32 v3, v3, v7
	v_cndmask_b32_e64 v3, 0, v3, s[52:53]
	v_cmp_nlt_f32_e64 s[52:53], s39, v1
	v_cndmask_b32_e64 v3, v110, v3, s[52:53]
	v_add_f32_e32 v7, v3, v2
	v_mov_b32_e32 v1, s35
	v_cndmask_b32_e64 v53, v1, v3, s[50:51]
	v_cndmask_b32_e64 v1, v2, v7, s[50:51]
	v_sub_f32_e32 v2, v4, v6
	v_mul_f32_e32 v3, 0x3fb8aa3b, v2
	v_fma_f32 v4, v2, s31, -v3
	v_rndne_f32_e32 v7, v3
	v_fmac_f32_e32 v4, 0x32a5705f, v2
	v_sub_f32_e32 v3, v3, v7
	v_add_f32_e32 v3, v3, v4
	v_exp_f32_e32 v3, v3
	v_cvt_i32_f32_e32 v4, v7
	v_cmp_ngt_f32_e64 s[50:51], s85, v2
	v_ldexp_f32 v3, v3, v4
	v_cndmask_b32_e64 v3, 0, v3, s[50:51]
	v_cmp_nlt_f32_e64 s[50:51], s39, v2
	v_cndmask_b32_e64 v3, v110, v3, s[50:51]
	v_mov_b32_e32 v2, s35
	v_add_f32_e32 v4, v3, v1
	v_cndmask_b32_e64 v2, v2, v3, s[48:49]
	v_sub_f32_e32 v3, v5, v6
	v_cndmask_b32_e64 v1, v1, v4, s[48:49]
	v_mul_f32_e32 v4, 0x3fb8aa3b, v3
	v_fma_f32 v5, v3, s31, -v4
	v_rndne_f32_e32 v7, v4
	v_fmac_f32_e32 v5, 0x32a5705f, v3
	v_sub_f32_e32 v4, v4, v7
	v_add_f32_e32 v4, v4, v5
	v_exp_f32_e32 v4, v4
	v_cvt_i32_f32_e32 v5, v7
	v_cmp_ngt_f32_e64 s[48:49], s85, v3
	v_cvt_f16_f32_e32 v2, v2
	v_ldexp_f32 v4, v4, v5
	v_cndmask_b32_e64 v4, 0, v4, s[48:49]
	v_cmp_nlt_f32_e64 s[48:49], s39, v3
	v_cndmask_b32_e64 v4, v110, v4, s[48:49]
	v_add_f32_e32 v5, v4, v1
	v_mov_b32_e32 v3, s35
	v_cndmask_b32_e32 v7, v1, v5, vcc
	v_sub_f32_e32 v1, v71, v6
	v_cndmask_b32_e32 v3, v3, v4, vcc
	v_mul_f32_e32 v4, 0x3fb8aa3b, v1
	v_fma_f32 v5, v1, s31, -v4
	v_rndne_f32_e32 v8, v4
	v_fmac_f32_e32 v5, 0x32a5705f, v1
	v_sub_f32_e32 v4, v4, v8
	v_add_f32_e32 v4, v4, v5
	v_exp_f32_e32 v4, v4
	v_cvt_i32_f32_e32 v5, v8
	v_cmp_ngt_f32_e32 vcc, s85, v1
	s_mul_i32 s48, s34, s87
	s_mul_hi_u32 s49, s34, s86
	v_ldexp_f32 v4, v4, v5
	v_cndmask_b32_e32 v4, 0, v4, vcc
	v_cmp_nlt_f32_e32 vcc, s39, v1
	v_cndmask_b32_e32 v4, v110, v4, vcc
	v_cmp_le_f32_e32 vcc, s33, v1
	v_cndmask_b32_e32 v1, 0, v4, vcc
	v_cvt_f16_f32_e32 v4, v1
	v_fmac_f32_e32 v7, v234, v1
	v_cvt_f16_f32_e32 v5, v15
	v_cvt_f16_f32_e32 v3, v3
	v_pk_mul_f16 v22, v4, v235 op_sel_hi:[0,1]
	v_pk_mul_f16 v19, v4, v51 op_sel_hi:[0,1]
	;; [unrolled: 1-line block ×32, first 2 shown]
	v_cvt_f16_f32_e32 v4, v14
	s_add_i32 s49, s49, s48
	s_mul_i32 s48, s34, s86
	s_lshl_b64 s[48:49], s[48:49], 2
	s_add_u32 s34, s91, s48
	s_addc_u32 s38, s38, s49
	v_pack_b32_f16 v20, v4, v5
	v_cvt_f16_f32_e32 v4, v21
	v_cvt_f16_f32_e32 v5, v49
	v_pack_b32_f16 v15, v2, v3
	v_add_co_u32_e32 v2, vcc, s34, v54
	v_mov_b32_e32 v3, s38
	v_addc_co_u32_e32 v3, vcc, v3, v55, vcc
	v_add_co_u32_e32 v2, vcc, v2, v47
	v_addc_co_u32_e32 v3, vcc, 0, v3, vcc
	v_mov_b32_e32 v44, s97
	v_mov_b32_e32 v49, s96
	v_pack_b32_f16 v21, v4, v5
	v_cvt_f16_f32_e32 v4, v50
	v_cndmask_b32_e64 v51, v44, v3, s[40:41]
	v_cndmask_b32_e64 v50, v49, v2, s[40:41]
	flat_load_dwordx4 v[70:73], v[50:51]
	v_add_co_u32_e32 v2, vcc, s34, v56
	v_mov_b32_e32 v3, s38
	v_addc_co_u32_e32 v3, vcc, v3, v57, vcc
	v_add_co_u32_e32 v2, vcc, v2, v47
	v_addc_co_u32_e32 v3, vcc, 0, v3, vcc
	v_cndmask_b32_e64 v75, v44, v3, s[42:43]
	v_cndmask_b32_e64 v74, v49, v2, s[42:43]
	v_cvt_f16_f32_e32 v5, v53
	v_add_co_u32_e32 v2, vcc, s34, v58
	v_mov_b32_e32 v3, s38
	v_addc_co_u32_e32 v3, vcc, v3, v59, vcc
	v_add_co_u32_e32 v2, vcc, v2, v47
	v_addc_co_u32_e32 v3, vcc, 0, v3, vcc
	v_pack_b32_f16 v14, v4, v5
	v_cndmask_b32_e64 v5, v44, v3, s[44:45]
	v_cndmask_b32_e64 v4, v49, v2, s[44:45]
	v_add_co_u32_e32 v2, vcc, s34, v60
	v_mov_b32_e32 v3, s38
	v_addc_co_u32_e32 v3, vcc, v3, v61, vcc
	v_add_co_u32_e32 v2, vcc, v2, v47
	v_addc_co_u32_e32 v3, vcc, 0, v3, vcc
	v_cndmask_b32_e64 v3, v44, v3, s[46:47]
	v_cndmask_b32_e64 v2, v49, v2, s[46:47]
	ds_bpermute_b32 v0, v0, v7
	v_readlane_b32 s48, v254, 56
	s_cmp_eq_u64 s[72:73], 0
	v_readlane_b32 s49, v254, 57
	s_cselect_b64 s[40:41], -1, 0
	s_waitcnt lgkmcnt(0)
	v_add_f32_e32 v0, v7, v0
	ds_bpermute_b32 v7, v38, v0
	s_xor_b64 s[42:43], s[48:49], -1
	s_or_b64 s[40:41], s[42:43], s[40:41]
	s_waitcnt lgkmcnt(0)
	v_add_f32_e32 v7, v0, v7
	s_waitcnt vmcnt(0)
	ds_write_b128 v126, v[70:73]
	flat_load_dwordx4 v[70:73], v[74:75]
	s_waitcnt vmcnt(0) lgkmcnt(0)
	ds_write_b128 v128, v[70:73]
	flat_load_dwordx4 v[70:73], v[4:5]
	s_waitcnt vmcnt(0) lgkmcnt(0)
	ds_write_b128 v130, v[70:73]
	flat_load_dwordx4 v[2:5], v[2:3]
	v_cvt_f32_f16_e32 v70, v43
	v_cvt_f32_f16_sdwa v71, v43 dst_sel:DWORD dst_unused:UNUSED_PAD src0_sel:WORD_1
	v_cvt_f32_f16_e32 v72, v41
	v_cvt_f32_f16_sdwa v73, v41 dst_sel:DWORD dst_unused:UNUSED_PAD src0_sel:WORD_1
	s_waitcnt vmcnt(0) lgkmcnt(0)
	ds_write_b128 v132, v[2:5]
	s_waitcnt lgkmcnt(0)
	s_barrier
	ds_read_u16 v44, v141 offset:528
	ds_read_u16 v47, v141 offset:1056
	v_cvt_f32_f16_e32 v4, v19
	v_cvt_f32_f16_sdwa v5, v19 dst_sel:DWORD dst_unused:UNUSED_PAD src0_sel:WORD_1
	ds_read_u16 v19, v142
	ds_read_u16 v49, v142 offset:32
	v_cvt_f32_f16_e32 v2, v22
	v_cvt_f32_f16_sdwa v3, v22 dst_sel:DWORD dst_unused:UNUSED_PAD src0_sel:WORD_1
	s_waitcnt lgkmcnt(1)
	v_perm_b32 v51, v19, v47, s30
	ds_read_u16 v19, v140
	ds_read_u16 v47, v140 offset:32
	s_waitcnt lgkmcnt(1)
	v_perm_b32 v50, v44, v19, s30
	s_nop 1
	v_mfma_f32_16x16x16f16 v[2:5], v[50:51], v[20:21], v[2:5]
	ds_read_u16 v19, v140 offset:16896
	ds_read_u16 v22, v143 offset:528
	;; [unrolled: 1-line block ×4, first 2 shown]
	s_waitcnt lgkmcnt(0)
	v_perm_b32 v51, v50, v44, s30
	v_perm_b32 v50, v22, v19, s30
	s_nop 3
	v_cvt_f16_f32_e32 v2, v2
	v_cvt_f16_f32_e32 v3, v3
	;; [unrolled: 1-line block ×4, first 2 shown]
	v_cvt_f32_f16_e32 v2, v2
	v_cvt_f32_f16_e32 v3, v3
	;; [unrolled: 1-line block ×4, first 2 shown]
	s_nop 1
	v_mfma_f32_16x16x16f16 v[2:5], v[50:51], v[14:15], v[2:5]
	ds_read_u16 v44, v144 offset:528
	ds_read_u16 v50, v144 offset:1056
	s_waitcnt lgkmcnt(0)
	v_perm_b32 v51, v49, v50, s30
	v_perm_b32 v50, v44, v47, s30
	s_nop 5
	v_cvt_f16_f32_e32 v2, v2
	v_cvt_f16_f32_e32 v3, v3
	v_cvt_f16_f32_e32 v4, v4
	v_cvt_f16_f32_e32 v5, v5
	v_pack_b32_f16 v22, v2, v3
	v_cvt_f32_f16_e32 v2, v24
	v_pack_b32_f16 v19, v4, v5
	v_cvt_f32_f16_sdwa v3, v24 dst_sel:DWORD dst_unused:UNUSED_PAD src0_sel:WORD_1
	v_cvt_f32_f16_e32 v4, v23
	v_cvt_f32_f16_sdwa v5, v23 dst_sel:DWORD dst_unused:UNUSED_PAD src0_sel:WORD_1
	ds_read_u16 v23, v145 offset:16896
	ds_read_u16 v24, v146 offset:528
	ds_read_u16 v44, v147 offset:1056
	ds_read_u16 v47, v148 offset:16896
	v_mfma_f32_16x16x16f16 v[2:5], v[50:51], v[20:21], v[2:5]
	s_waitcnt lgkmcnt(2)
	v_perm_b32 v50, v24, v23, s30
	s_waitcnt lgkmcnt(0)
	v_perm_b32 v51, v47, v44, s30
	s_nop 6
	v_cvt_f16_f32_e32 v2, v2
	v_cvt_f16_f32_e32 v3, v3
	v_cvt_f16_f32_e32 v4, v4
	v_cvt_f16_f32_e32 v5, v5
	v_cvt_f32_f16_e32 v2, v2
	v_cvt_f32_f16_e32 v3, v3
	v_cvt_f32_f16_e32 v4, v4
	v_cvt_f32_f16_e32 v5, v5
	s_nop 1
	v_mfma_f32_16x16x16f16 v[2:5], v[50:51], v[14:15], v[2:5]
	ds_read_u16 v44, v140 offset:64
	ds_read_u16 v47, v149 offset:528
	ds_read_u16 v49, v149 offset:1056
	ds_read_u16 v50, v142 offset:64
	s_waitcnt lgkmcnt(0)
	v_perm_b32 v51, v50, v49, s30
	v_perm_b32 v50, v47, v44, s30
	s_nop 3
	v_cvt_f16_f32_e32 v2, v2
	v_cvt_f16_f32_e32 v3, v3
	v_cvt_f16_f32_e32 v4, v4
	v_cvt_f16_f32_e32 v5, v5
	v_pack_b32_f16 v24, v2, v3
	v_cvt_f32_f16_e32 v2, v26
	v_pack_b32_f16 v23, v4, v5
	v_cvt_f32_f16_sdwa v3, v26 dst_sel:DWORD dst_unused:UNUSED_PAD src0_sel:WORD_1
	v_cvt_f32_f16_e32 v4, v25
	v_cvt_f32_f16_sdwa v5, v25 dst_sel:DWORD dst_unused:UNUSED_PAD src0_sel:WORD_1
	ds_read_u16 v25, v150 offset:16896
	ds_read_u16 v26, v151 offset:528
	ds_read_u16 v44, v152 offset:1056
	ds_read_u16 v47, v153 offset:16896
	v_mfma_f32_16x16x16f16 v[2:5], v[50:51], v[20:21], v[2:5]
	s_waitcnt lgkmcnt(2)
	v_perm_b32 v50, v26, v25, s30
	s_waitcnt lgkmcnt(0)
	v_perm_b32 v51, v47, v44, s30
	s_nop 6
	v_cvt_f16_f32_e32 v2, v2
	v_cvt_f16_f32_e32 v3, v3
	v_cvt_f16_f32_e32 v4, v4
	v_cvt_f16_f32_e32 v5, v5
	v_cvt_f32_f16_e32 v2, v2
	v_cvt_f32_f16_e32 v3, v3
	v_cvt_f32_f16_e32 v4, v4
	v_cvt_f32_f16_e32 v5, v5
	s_nop 1
	v_mfma_f32_16x16x16f16 v[2:5], v[50:51], v[14:15], v[2:5]
	ds_read_u16 v44, v140 offset:96
	ds_read_u16 v47, v154 offset:528
	;; [unrolled: 38-line block ×7, first 2 shown]
	ds_read_u16 v49, v179 offset:1056
	ds_read_u16 v50, v142 offset:256
	s_waitcnt lgkmcnt(2)
	v_perm_b32 v44, v47, v44, s30
	s_nop 4
	v_cvt_f16_f32_e32 v2, v2
	v_cvt_f16_f32_e32 v3, v3
	;; [unrolled: 1-line block ×4, first 2 shown]
	v_pack_b32_f16 v36, v2, v3
	v_cvt_f32_f16_e32 v2, v45
	v_cvt_f32_f16_sdwa v3, v45 dst_sel:DWORD dst_unused:UNUSED_PAD src0_sel:WORD_1
	s_waitcnt lgkmcnt(0)
	v_perm_b32 v45, v50, v49, s30
	v_pack_b32_f16 v35, v4, v5
	v_cvt_f32_f16_e32 v4, v1
	v_cvt_f32_f16_sdwa v5, v1 dst_sel:DWORD dst_unused:UNUSED_PAD src0_sel:WORD_1
	s_nop 1
	v_mfma_f32_16x16x16f16 v[2:5], v[44:45], v[20:21], v[2:5]
	ds_read_u16 v44, v180 offset:16896
	ds_read_u16 v47, v181 offset:528
	;; [unrolled: 1-line block ×4, first 2 shown]
	s_waitcnt lgkmcnt(2)
	v_perm_b32 v44, v47, v44, s30
	s_waitcnt lgkmcnt(0)
	v_perm_b32 v45, v49, v45, s30
	s_nop 2
	v_cvt_f16_f32_e32 v1, v2
	v_cvt_f16_f32_e32 v3, v3
	;; [unrolled: 1-line block ×4, first 2 shown]
	v_cvt_f32_f16_e32 v2, v1
	v_cvt_f32_f16_e32 v3, v3
	;; [unrolled: 1-line block ×4, first 2 shown]
	s_nop 1
	v_mfma_f32_16x16x16f16 v[2:5], v[44:45], v[14:15], v[2:5]
	s_nop 7
	s_nop 2
	v_cvt_f16_f32_e32 v1, v2
	v_cvt_f16_f32_e32 v2, v3
	;; [unrolled: 1-line block ×4, first 2 shown]
	v_pack_b32_f16 v2, v1, v2
	v_pack_b32_f16 v1, v3, v4
	ds_read_u16 v3, v140 offset:288
	ds_read_u16 v4, v184 offset:528
	;; [unrolled: 1-line block ×4, first 2 shown]
	s_waitcnt lgkmcnt(2)
	v_perm_b32 v4, v4, v3, s30
	s_waitcnt lgkmcnt(0)
	v_perm_b32 v5, v44, v5, s30
	ds_read_u16 v43, v185 offset:16896
	ds_read_u16 v44, v186 offset:528
	ds_read_u16 v45, v187 offset:1056
	ds_read_u16 v47, v188 offset:16896
	v_mfma_f32_16x16x16f16 v[70:73], v[4:5], v[20:21], v[70:73]
	s_nop 7
	s_nop 2
	v_cvt_f16_f32_e32 v4, v71
	v_cvt_f16_f32_e32 v5, v72
	v_cvt_f16_f32_e32 v3, v70
	v_cvt_f16_f32_e32 v41, v73
	v_cvt_f32_f16_e32 v71, v4
	v_cvt_f32_f16_e32 v72, v5
	s_waitcnt lgkmcnt(0)
	v_perm_b32 v5, v47, v45, s30
	v_perm_b32 v4, v44, v43, s30
	v_cvt_f32_f16_e32 v70, v3
	v_cvt_f32_f16_e32 v73, v41
	s_nop 1
	v_mfma_f32_16x16x16f16 v[70:73], v[4:5], v[14:15], v[70:73]
	s_nop 7
	s_nop 2
	v_cvt_f16_f32_e32 v3, v70
	v_cvt_f16_f32_e32 v4, v71
	v_cvt_f16_f32_e32 v5, v72
	v_cvt_f16_f32_e32 v41, v73
	v_cvt_f32_f16_e32 v70, v40
	v_pack_b32_f16 v4, v3, v4
	v_cvt_f32_f16_sdwa v71, v40 dst_sel:DWORD dst_unused:UNUSED_PAD src0_sel:WORD_1
	v_pack_b32_f16 v3, v5, v41
	ds_read_u16 v5, v140 offset:320
	ds_read_u16 v43, v189 offset:528
	ds_read_u16 v41, v189 offset:1056
	ds_read_u16 v44, v142 offset:320
	v_cvt_f32_f16_e32 v72, v8
	v_cvt_f32_f16_sdwa v73, v8 dst_sel:DWORD dst_unused:UNUSED_PAD src0_sel:WORD_1
	s_waitcnt lgkmcnt(2)
	v_perm_b32 v40, v43, v5, s30
	s_waitcnt lgkmcnt(0)
	v_perm_b32 v41, v44, v41, s30
	ds_read_u16 v43, v190 offset:16896
	ds_read_u16 v44, v191 offset:528
	ds_read_u16 v45, v192 offset:1056
	ds_read_u16 v47, v193 offset:16896
	v_mfma_f32_16x16x16f16 v[70:73], v[40:41], v[20:21], v[70:73]
	s_nop 7
	s_nop 2
	v_cvt_f16_f32_e32 v40, v72
	v_cvt_f16_f32_e32 v41, v73
	v_cvt_f16_f32_e32 v5, v70
	v_cvt_f16_f32_e32 v8, v71
	v_cvt_f32_f16_e32 v72, v40
	v_cvt_f32_f16_e32 v73, v41
	s_waitcnt lgkmcnt(0)
	v_perm_b32 v41, v47, v45, s30
	v_perm_b32 v40, v44, v43, s30
	v_cvt_f32_f16_e32 v70, v5
	v_cvt_f32_f16_e32 v71, v8
	s_nop 1
	v_mfma_f32_16x16x16f16 v[70:73], v[40:41], v[14:15], v[70:73]
	s_nop 7
	s_nop 2
	v_cvt_f16_f32_e32 v5, v70
	v_cvt_f16_f32_e32 v8, v71
	v_cvt_f16_f32_e32 v40, v72
	v_cvt_f16_f32_e32 v41, v73
	v_cvt_f32_f16_e32 v70, v10
	v_pack_b32_f16 v8, v5, v8
	v_cvt_f32_f16_sdwa v71, v10 dst_sel:DWORD dst_unused:UNUSED_PAD src0_sel:WORD_1
	v_pack_b32_f16 v5, v40, v41
	ds_read_u16 v40, v140 offset:352
	ds_read_u16 v43, v194 offset:528
	ds_read_u16 v41, v194 offset:1056
	ds_read_u16 v44, v142 offset:352
	v_cvt_f32_f16_e32 v72, v9
	v_cvt_f32_f16_sdwa v73, v9 dst_sel:DWORD dst_unused:UNUSED_PAD src0_sel:WORD_1
	;; [unrolled: 40-line block ×4, first 2 shown]
	s_waitcnt lgkmcnt(0)
	v_perm_b32 v45, v44, v43, s30
	v_perm_b32 v44, v41, v40, s30
	s_nop 1
	v_mfma_f32_16x16x16f16 v[70:73], v[44:45], v[20:21], v[70:73]
	ds_read_u16 v43, v205 offset:16896
	ds_read_u16 v44, v206 offset:528
	;; [unrolled: 1-line block ×4, first 2 shown]
	s_nop 6
	v_cvt_f16_f32_e32 v40, v72
	v_cvt_f16_f32_e32 v41, v73
	;; [unrolled: 1-line block ×4, first 2 shown]
	v_cvt_f32_f16_e32 v72, v40
	v_cvt_f32_f16_e32 v73, v41
	s_waitcnt lgkmcnt(0)
	v_perm_b32 v41, v47, v45, s30
	v_perm_b32 v40, v44, v43, s30
	v_cvt_f32_f16_e32 v70, v13
	v_cvt_f32_f16_e32 v71, v16
	s_nop 1
	v_mfma_f32_16x16x16f16 v[70:73], v[40:41], v[14:15], v[70:73]
	s_nop 7
	s_nop 2
	v_cvt_f16_f32_e32 v13, v70
	v_cvt_f16_f32_e32 v16, v71
	;; [unrolled: 1-line block ×4, first 2 shown]
	v_cvt_f32_f16_e32 v70, v18
	v_pack_b32_f16 v16, v13, v16
	v_cvt_f32_f16_sdwa v71, v18 dst_sel:DWORD dst_unused:UNUSED_PAD src0_sel:WORD_1
	v_pack_b32_f16 v13, v40, v41
	ds_read_u16 v40, v140 offset:448
	ds_read_u16 v43, v209 offset:528
	;; [unrolled: 1-line block ×4, first 2 shown]
	v_cvt_f32_f16_e32 v72, v17
	v_cvt_f32_f16_sdwa v73, v17 dst_sel:DWORD dst_unused:UNUSED_PAD src0_sel:WORD_1
	s_waitcnt lgkmcnt(2)
	v_perm_b32 v40, v43, v40, s30
	s_waitcnt lgkmcnt(0)
	v_perm_b32 v41, v44, v41, s30
	ds_read_u16 v43, v210 offset:16896
	ds_read_u16 v44, v211 offset:528
	;; [unrolled: 1-line block ×4, first 2 shown]
	v_mfma_f32_16x16x16f16 v[70:73], v[40:41], v[20:21], v[70:73]
	s_nop 7
	s_nop 2
	v_cvt_f16_f32_e32 v40, v72
	v_cvt_f16_f32_e32 v41, v73
	v_cvt_f16_f32_e32 v17, v70
	v_cvt_f16_f32_e32 v18, v71
	v_cvt_f32_f16_e32 v72, v40
	v_cvt_f32_f16_e32 v73, v41
	s_waitcnt lgkmcnt(0)
	v_perm_b32 v41, v47, v45, s30
	v_perm_b32 v40, v44, v43, s30
	v_cvt_f32_f16_e32 v70, v17
	v_cvt_f32_f16_e32 v71, v18
	s_nop 1
	v_mfma_f32_16x16x16f16 v[70:73], v[40:41], v[14:15], v[70:73]
	s_nop 7
	s_nop 2
	v_cvt_f16_f32_e32 v17, v70
	v_cvt_f16_f32_e32 v18, v71
	;; [unrolled: 1-line block ×4, first 2 shown]
	v_cvt_f32_f16_e32 v70, v39
	v_pack_b32_f16 v18, v17, v18
	v_cvt_f32_f16_sdwa v71, v39 dst_sel:DWORD dst_unused:UNUSED_PAD src0_sel:WORD_1
	v_pack_b32_f16 v17, v40, v41
	ds_read_u16 v40, v140 offset:480
	ds_read_u16 v43, v214 offset:528
	;; [unrolled: 1-line block ×4, first 2 shown]
	v_cvt_f32_f16_e32 v72, v37
	v_cvt_f32_f16_sdwa v73, v37 dst_sel:DWORD dst_unused:UNUSED_PAD src0_sel:WORD_1
	s_waitcnt lgkmcnt(2)
	v_perm_b32 v40, v43, v40, s30
	s_waitcnt lgkmcnt(0)
	v_perm_b32 v41, v44, v41, s30
	s_nop 1
	v_mfma_f32_16x16x16f16 v[70:73], v[40:41], v[20:21], v[70:73]
	ds_read_u16 v40, v215 offset:16896
	ds_read_u16 v41, v216 offset:528
	;; [unrolled: 1-line block ×4, first 2 shown]
	s_waitcnt lgkmcnt(0)
	s_barrier
	s_nop 4
	v_cvt_f16_f32_e32 v20, v70
	v_cvt_f16_f32_e32 v21, v71
	;; [unrolled: 1-line block ×4, first 2 shown]
	v_cvt_f32_f16_e32 v70, v20
	v_cvt_f32_f16_e32 v71, v21
	v_perm_b32 v21, v44, v43, s30
	v_perm_b32 v20, v41, v40, s30
	v_cvt_f32_f16_e32 v72, v37
	v_cvt_f32_f16_e32 v73, v39
	s_nop 1
	v_mfma_f32_16x16x16f16 v[70:73], v[20:21], v[14:15], v[70:73]
	s_nop 7
	s_nop 2
	v_cvt_f16_f32_e32 v14, v70
	v_cvt_f16_f32_e32 v15, v71
	v_cvt_f16_f32_e32 v20, v72
	v_cvt_f16_f32_e32 v21, v73
	v_pack_b32_f16 v14, v14, v15
	v_pack_b32_f16 v15, v20, v21
	s_and_saveexec_b64 s[42:43], s[40:41]
	s_xor_b64 s[40:41], exec, s[42:43]
	s_or_saveexec_b64 s[40:41], s[40:41]
	v_mov_b32_e32 v243, v138
	v_mov_b32_e32 v246, v227
	v_mov_b32_e32 v138, v125
	v_mov_b32_e32 v125, v134
	v_mov_b32_e32 v134, v118
	v_mov_b32_e32 v118, v119
	v_mov_b32_e32 v119, v120
	buffer_load_dword v120, off, s[0:3], 0 offset:88 ; 4-byte Folded Reload
	buffer_load_dword v227, off, s[0:3], 0 offset:92 ; 4-byte Folded Reload
	;; [unrolled: 1-line block ×3, first 2 shown]
	s_xor_b64 exec, exec, s[40:41]
	s_cbranch_execz .LBB29_310
; %bb.309:                              ;   in Loop: Header=BB29_14 Depth=1
	global_load_dword v0, v121, s[72:73]
	v_max_f32_e32 v21, v6, v6
	s_waitcnt vmcnt(0)
	v_max_f32_e32 v20, v0, v0
	v_max_f32_e32 v20, v21, v20
	v_sub_f32_e32 v6, v6, v20
	v_mul_f32_e32 v21, 0x3fb8aa3b, v6
	v_fma_f32 v37, v6, s31, -v21
	v_rndne_f32_e32 v39, v21
	v_fmac_f32_e32 v37, 0x32a5705f, v6
	v_sub_f32_e32 v21, v21, v39
	v_add_f32_e32 v21, v21, v37
	v_exp_f32_e32 v21, v21
	v_cvt_i32_f32_e32 v37, v39
	v_cmp_ngt_f32_e32 vcc, s85, v6
	v_sub_f32_e32 v0, v0, v20
	v_ldexp_f32 v21, v21, v37
	v_cndmask_b32_e32 v21, 0, v21, vcc
	v_cmp_nlt_f32_e32 vcc, s39, v6
	v_cndmask_b32_e32 v21, v110, v21, vcc
	v_cmp_le_f32_e32 vcc, s33, v6
	v_cndmask_b32_e32 v6, 0, v21, vcc
	v_cvt_f16_f32_e32 v21, v6
	v_cmp_ngt_f32_e32 vcc, s85, v0
	v_pk_mul_f16 v22, v21, v22 op_sel_hi:[0,1]
	v_pk_mul_f16 v19, v21, v19 op_sel_hi:[0,1]
	;; [unrolled: 1-line block ×32, first 2 shown]
	v_mul_f32_e32 v21, 0x3fb8aa3b, v0
	v_fma_f32 v37, v0, s31, -v21
	v_rndne_f32_e32 v39, v21
	v_fmac_f32_e32 v37, 0x32a5705f, v0
	v_sub_f32_e32 v21, v21, v39
	v_add_f32_e32 v21, v21, v37
	v_exp_f32_e32 v21, v21
	v_cvt_i32_f32_e32 v37, v39
	v_ldexp_f32 v21, v21, v37
	v_cndmask_b32_e32 v21, 0, v21, vcc
	v_cmp_nlt_f32_e32 vcc, s39, v0
	v_cndmask_b32_e32 v21, v110, v21, vcc
	v_fmac_f32_e32 v21, v7, v6
	v_pk_mov_b32 v[6:7], v[20:21], v[20:21] op_sel:[0,1]
.LBB29_310:                             ;   in Loop: Header=BB29_14 Depth=1
	s_or_b64 exec, exec, s[40:41]
	s_mov_b64 s[40:41], exec
	v_readlane_b32 s42, v254, 60
	v_readlane_b32 s43, v254, 61
	s_and_b64 s[42:43], s[40:41], s[42:43]
	v_readlane_b32 s56, v255, 16
	s_mov_b64 exec, s[42:43]
	s_cbranch_execz .LBB29_312
; %bb.311:                              ;   in Loop: Header=BB29_14 Depth=1
	buffer_load_dword v0, off, s[0:3], 0 offset:68 ; 4-byte Folded Reload
	s_waitcnt vmcnt(0)
	v_add_u32_e32 v0, 0, v0
	ds_write2_b32 v0, v6, v7 offset0:64 offset1:65
.LBB29_312:                             ;   in Loop: Header=BB29_14 Depth=1
	s_or_b64 exec, exec, s[40:41]
	s_waitcnt lgkmcnt(0)
	s_barrier
	s_mov_b64 s[40:41], exec
	v_readlane_b32 s42, v254, 58
	v_readlane_b32 s43, v254, 59
	s_and_b64 s[42:43], s[40:41], s[42:43]
	s_xor_b64 s[40:41], s[42:43], s[40:41]
	s_mov_b64 exec, s[42:43]
	s_cbranch_execz .LBB29_314
; %bb.313:                              ;   in Loop: Header=BB29_14 Depth=1
	s_barrier
	s_waitcnt lgkmcnt(0)
                                        ; implicit-def: $vgpr38
.LBB29_314:                             ;   in Loop: Header=BB29_14 Depth=1
	s_andn2_saveexec_b64 s[40:41], s[40:41]
	s_cbranch_execz .LBB29_318
; %bb.315:                              ;   in Loop: Header=BB29_14 Depth=1
	buffer_load_dword v0, off, s[0:3], 0 offset:72 ; 4-byte Folded Reload
	s_waitcnt vmcnt(0)
	v_add_u32_e32 v0, 0, v0
	ds_read_b64 v[6:7], v0 offset:256
	s_waitcnt lgkmcnt(0)
	s_barrier
	ds_bpermute_b32 v20, v38, v6
	v_max_f32_e32 v21, v6, v6
	s_waitcnt lgkmcnt(0)
	v_max_f32_e32 v20, v20, v20
	v_max_f32_e32 v20, v21, v20
	v_sub_f32_e32 v6, v6, v20
	v_mul_f32_e32 v20, 0x3fb8aa3b, v6
	v_fma_f32 v21, v6, s31, -v20
	v_rndne_f32_e32 v37, v20
	v_fmac_f32_e32 v21, 0x32a5705f, v6
	v_sub_f32_e32 v20, v20, v37
	v_add_f32_e32 v20, v20, v21
	v_cvt_i32_f32_e32 v37, v37
	v_exp_f32_e32 v20, v20
	v_cmp_ngt_f32_e32 vcc, s85, v6
	v_ldexp_f32 v20, v20, v37
	v_cndmask_b32_e32 v20, 0, v20, vcc
	v_cmp_nlt_f32_e32 vcc, s39, v6
	v_cndmask_b32_e32 v6, v110, v20, vcc
	v_mul_f32_e32 v7, v7, v6
	ds_bpermute_b32 v20, v38, v7
	s_mov_b64 s[42:43], exec
	v_readlane_b32 s44, v254, 62
	v_readlane_b32 s45, v254, 63
	s_and_b64 s[44:45], s[42:43], s[44:45]
	s_mov_b64 exec, s[44:45]
	s_cbranch_execz .LBB29_317
; %bb.316:                              ;   in Loop: Header=BB29_14 Depth=1
	s_waitcnt lgkmcnt(0)
	v_add_f32_e32 v7, v7, v20
	ds_write_b64 v0, v[6:7] offset:256
.LBB29_317:                             ;   in Loop: Header=BB29_14 Depth=1
	s_or_b64 exec, exec, s[42:43]
.LBB29_318:                             ;   in Loop: Header=BB29_14 Depth=1
	s_or_b64 exec, exec, s[40:41]
	ds_write2_b32 v226, v22, v19 offset1:1
	ds_write2_b32 v226, v24, v23 offset0:8 offset1:9
	ds_write2_b32 v226, v26, v25 offset0:16 offset1:17
	;; [unrolled: 1-line block ×7, first 2 shown]
	s_waitcnt lgkmcnt(0)
	s_barrier
	s_and_saveexec_b64 s[40:41], s[48:49]
	s_cbranch_execz .LBB29_396
; %bb.319:                              ;   in Loop: Header=BB29_14 Depth=1
	v_add_u32_e32 v6, s71, v243
	v_cmp_gt_i32_e32 vcc, s84, v6
	v_mov_b32_e32 v0, 0x47
	s_and_saveexec_b64 s[42:43], vcc
	s_cbranch_execz .LBB29_321
; %bb.320:                              ;   in Loop: Header=BB29_14 Depth=1
	buffer_load_dword v0, off, s[0:3], 0 offset:76 ; 4-byte Folded Reload
	buffer_load_dword v7, off, s[0:3], 0 offset:80 ; 4-byte Folded Reload
	v_readlane_b32 s34, v255, 1
	s_waitcnt vmcnt(1)
	v_add_u32_e32 v0, 0, v0
	ds_read2_b32 v[20:21], v0 offset0:64 offset1:65
	s_waitcnt vmcnt(0)
	ds_read2st64_b32 v[22:23], v7 offset1:17
	ds_read_b32 v0, v0 offset:4608
	v_mad_u64_u32 v[6:7], s[44:45], v6, s34, v[42:43]
	v_ashrrev_i32_e32 v7, 31, v6
	s_waitcnt lgkmcnt(1)
	v_cvt_f32_f16_sdwa v25, v22 dst_sel:DWORD dst_unused:UNUSED_PAD src0_sel:WORD_1
	v_cvt_f32_f16_e32 v24, v22
	v_cvt_f32_f16_sdwa v27, v23 dst_sel:DWORD dst_unused:UNUSED_PAD src0_sel:WORD_1
	v_cvt_f32_f16_e32 v26, v23
	v_lshlrev_b64 v[6:7], 3, v[6:7]
	v_readlane_b32 s34, v255, 18
	v_pk_fma_f32 v[24:25], v[20:21], v[24:25], 0 op_sel_hi:[0,1,0]
	v_add_co_u32_e32 v6, vcc, s34, v6
	v_readlane_b32 s34, v255, 19
	s_waitcnt lgkmcnt(0)
	v_pk_fma_f32 v[22:23], v[0:1], v[26:27], v[24:25] op_sel_hi:[0,1,1]
	v_mov_b32_e32 v19, s34
	v_div_scale_f32 v0, s[44:45], v21, v21, v23
	v_addc_co_u32_e32 v7, vcc, v19, v7, vcc
	v_rcp_f32_e32 v19, v0
	v_fma_f32 v20, -v0, v19, 1.0
	v_fmac_f32_e32 v19, v20, v19
	v_div_scale_f32 v20, vcc, v23, v21, v23
	v_mul_f32_e32 v24, v20, v19
	v_fma_f32 v25, -v0, v24, v20
	v_fmac_f32_e32 v24, v25, v19
	v_fma_f32 v0, -v0, v24, v20
	v_div_fmas_f32 v0, v0, v19, v24
	v_div_fixup_f32 v23, v0, v21, v23
	v_div_scale_f32 v0, s[44:45], v21, v21, v22
	v_rcp_f32_e32 v19, v0
	v_fma_f32 v20, -v0, v19, 1.0
	v_fmac_f32_e32 v19, v20, v19
	v_div_scale_f32 v20, vcc, v22, v21, v22
	v_mul_f32_e32 v24, v20, v19
	v_fma_f32 v25, -v0, v24, v20
	v_fmac_f32_e32 v24, v25, v19
	v_fma_f32 v0, -v0, v24, v20
	v_div_fmas_f32 v0, v0, v19, v24
	v_div_fixup_f32 v22, v0, v21, v22
	v_mov_b32_e32 v0, 0
	global_store_dwordx2 v[6:7], v[22:23], off
.LBB29_321:                             ;   in Loop: Header=BB29_14 Depth=1
	s_or_b64 exec, exec, s[42:43]
	v_cmp_gt_i32_e32 vcc, s89, v0
	s_mov_b64 s[42:43], -1
	s_and_saveexec_b64 s[44:45], vcc
; %bb.322:                              ;   in Loop: Header=BB29_14 Depth=1
	v_cmp_eq_u32_e32 vcc, 0, v0
	s_orn2_b64 s[42:43], vcc, exec
; %bb.323:                              ;   in Loop: Header=BB29_14 Depth=1
	s_or_b64 exec, exec, s[44:45]
	s_and_b64 exec, exec, s[42:43]
	s_cbranch_execz .LBB29_396
; %bb.324:                              ;   in Loop: Header=BB29_14 Depth=1
	buffer_load_dword v0, off, s[0:3], 0 offset:84 ; 4-byte Folded Reload
	s_waitcnt vmcnt(0)
	v_add_u32_e32 v6, s71, v0
	v_cmp_gt_i32_e32 vcc, s84, v6
	v_mov_b32_e32 v0, 0x47
	s_and_saveexec_b64 s[42:43], vcc
	s_cbranch_execz .LBB29_326
; %bb.325:                              ;   in Loop: Header=BB29_14 Depth=1
	buffer_load_dword v0, off, s[0:3], 0 offset:100 ; 4-byte Folded Reload
	buffer_load_dword v7, off, s[0:3], 0 offset:104 ; 4-byte Folded Reload
	v_readlane_b32 s34, v255, 1
	s_waitcnt vmcnt(1)
	v_add_u32_e32 v0, 0, v0
	ds_read2_b32 v[20:21], v0 offset0:64 offset1:65
	s_waitcnt vmcnt(0)
	ds_read2st64_b32 v[22:23], v7 offset1:17
	ds_read_b32 v0, v0 offset:4608
	v_mad_u64_u32 v[6:7], s[44:45], v6, s34, v[42:43]
	v_ashrrev_i32_e32 v7, 31, v6
	s_waitcnt lgkmcnt(1)
	v_cvt_f32_f16_sdwa v25, v22 dst_sel:DWORD dst_unused:UNUSED_PAD src0_sel:WORD_1
	v_cvt_f32_f16_e32 v24, v22
	v_cvt_f32_f16_sdwa v27, v23 dst_sel:DWORD dst_unused:UNUSED_PAD src0_sel:WORD_1
	v_cvt_f32_f16_e32 v26, v23
	v_lshlrev_b64 v[6:7], 3, v[6:7]
	v_readlane_b32 s34, v255, 18
	v_pk_fma_f32 v[24:25], v[20:21], v[24:25], 0 op_sel_hi:[0,1,0]
	v_add_co_u32_e32 v6, vcc, s34, v6
	v_readlane_b32 s34, v255, 19
	s_waitcnt lgkmcnt(0)
	v_pk_fma_f32 v[22:23], v[0:1], v[26:27], v[24:25] op_sel_hi:[0,1,1]
	v_mov_b32_e32 v19, s34
	v_div_scale_f32 v0, s[44:45], v21, v21, v23
	v_addc_co_u32_e32 v7, vcc, v19, v7, vcc
	v_rcp_f32_e32 v19, v0
	v_fma_f32 v20, -v0, v19, 1.0
	v_fmac_f32_e32 v19, v20, v19
	v_div_scale_f32 v20, vcc, v23, v21, v23
	v_mul_f32_e32 v24, v20, v19
	v_fma_f32 v25, -v0, v24, v20
	v_fmac_f32_e32 v24, v25, v19
	v_fma_f32 v0, -v0, v24, v20
	v_div_fmas_f32 v0, v0, v19, v24
	v_div_fixup_f32 v23, v0, v21, v23
	v_div_scale_f32 v0, s[44:45], v21, v21, v22
	v_rcp_f32_e32 v19, v0
	v_fma_f32 v20, -v0, v19, 1.0
	v_fmac_f32_e32 v19, v20, v19
	v_div_scale_f32 v20, vcc, v22, v21, v22
	v_mul_f32_e32 v24, v20, v19
	v_fma_f32 v25, -v0, v24, v20
	v_fmac_f32_e32 v24, v25, v19
	v_fma_f32 v0, -v0, v24, v20
	v_div_fmas_f32 v0, v0, v19, v24
	v_div_fixup_f32 v22, v0, v21, v22
	v_mov_b32_e32 v0, 0
	global_store_dwordx2 v[6:7], v[22:23], off
.LBB29_326:                             ;   in Loop: Header=BB29_14 Depth=1
	s_or_b64 exec, exec, s[42:43]
	v_cmp_gt_i32_e32 vcc, s89, v0
	s_mov_b64 s[42:43], -1
	s_and_saveexec_b64 s[44:45], vcc
; %bb.327:                              ;   in Loop: Header=BB29_14 Depth=1
	v_cmp_eq_u32_e32 vcc, 0, v0
	s_orn2_b64 s[42:43], vcc, exec
; %bb.328:                              ;   in Loop: Header=BB29_14 Depth=1
	s_or_b64 exec, exec, s[44:45]
	s_and_b64 exec, exec, s[42:43]
	s_cbranch_execz .LBB29_396
; %bb.329:                              ;   in Loop: Header=BB29_14 Depth=1
	buffer_load_dword v0, off, s[0:3], 0 offset:108 ; 4-byte Folded Reload
	s_waitcnt vmcnt(0)
	v_add_u32_e32 v6, s71, v0
	v_cmp_gt_i32_e32 vcc, s84, v6
	v_mov_b32_e32 v0, 0x47
	s_and_saveexec_b64 s[42:43], vcc
	s_cbranch_execz .LBB29_331
; %bb.330:                              ;   in Loop: Header=BB29_14 Depth=1
	buffer_load_dword v0, off, s[0:3], 0 offset:184 ; 4-byte Folded Reload
	buffer_load_dword v7, off, s[0:3], 0 offset:188 ; 4-byte Folded Reload
	v_readlane_b32 s34, v255, 1
	s_waitcnt vmcnt(1)
	v_add_u32_e32 v0, 0, v0
	ds_read2_b32 v[20:21], v0 offset0:64 offset1:65
	s_waitcnt vmcnt(0)
	ds_read2st64_b32 v[22:23], v7 offset1:17
	ds_read_b32 v0, v0 offset:4608
	v_mad_u64_u32 v[6:7], s[44:45], v6, s34, v[42:43]
	v_ashrrev_i32_e32 v7, 31, v6
	s_waitcnt lgkmcnt(1)
	v_cvt_f32_f16_sdwa v25, v22 dst_sel:DWORD dst_unused:UNUSED_PAD src0_sel:WORD_1
	v_cvt_f32_f16_e32 v24, v22
	v_cvt_f32_f16_sdwa v27, v23 dst_sel:DWORD dst_unused:UNUSED_PAD src0_sel:WORD_1
	v_cvt_f32_f16_e32 v26, v23
	v_lshlrev_b64 v[6:7], 3, v[6:7]
	v_readlane_b32 s34, v255, 18
	v_pk_fma_f32 v[24:25], v[20:21], v[24:25], 0 op_sel_hi:[0,1,0]
	v_add_co_u32_e32 v6, vcc, s34, v6
	v_readlane_b32 s34, v255, 19
	s_waitcnt lgkmcnt(0)
	v_pk_fma_f32 v[22:23], v[0:1], v[26:27], v[24:25] op_sel_hi:[0,1,1]
	v_mov_b32_e32 v19, s34
	v_div_scale_f32 v0, s[44:45], v21, v21, v23
	v_addc_co_u32_e32 v7, vcc, v19, v7, vcc
	v_rcp_f32_e32 v19, v0
	v_fma_f32 v20, -v0, v19, 1.0
	v_fmac_f32_e32 v19, v20, v19
	v_div_scale_f32 v20, vcc, v23, v21, v23
	v_mul_f32_e32 v24, v20, v19
	v_fma_f32 v25, -v0, v24, v20
	v_fmac_f32_e32 v24, v25, v19
	v_fma_f32 v0, -v0, v24, v20
	v_div_fmas_f32 v0, v0, v19, v24
	v_div_fixup_f32 v23, v0, v21, v23
	v_div_scale_f32 v0, s[44:45], v21, v21, v22
	v_rcp_f32_e32 v19, v0
	v_fma_f32 v20, -v0, v19, 1.0
	v_fmac_f32_e32 v19, v20, v19
	v_div_scale_f32 v20, vcc, v22, v21, v22
	v_mul_f32_e32 v24, v20, v19
	v_fma_f32 v25, -v0, v24, v20
	v_fmac_f32_e32 v24, v25, v19
	v_fma_f32 v0, -v0, v24, v20
	v_div_fmas_f32 v0, v0, v19, v24
	v_div_fixup_f32 v22, v0, v21, v22
	v_mov_b32_e32 v0, 0
	global_store_dwordx2 v[6:7], v[22:23], off
.LBB29_331:                             ;   in Loop: Header=BB29_14 Depth=1
	s_or_b64 exec, exec, s[42:43]
	v_cmp_gt_i32_e32 vcc, s89, v0
	s_mov_b64 s[42:43], -1
	s_and_saveexec_b64 s[44:45], vcc
; %bb.332:                              ;   in Loop: Header=BB29_14 Depth=1
	v_cmp_eq_u32_e32 vcc, 0, v0
	s_orn2_b64 s[42:43], vcc, exec
; %bb.333:                              ;   in Loop: Header=BB29_14 Depth=1
	s_or_b64 exec, exec, s[44:45]
	s_and_b64 exec, exec, s[42:43]
	s_cbranch_execz .LBB29_396
; %bb.334:                              ;   in Loop: Header=BB29_14 Depth=1
	buffer_load_dword v0, off, s[0:3], 0 offset:192 ; 4-byte Folded Reload
	s_waitcnt vmcnt(0)
	v_add_u32_e32 v6, s71, v0
	v_cmp_gt_i32_e32 vcc, s84, v6
	v_mov_b32_e32 v0, 0x47
	s_and_saveexec_b64 s[42:43], vcc
	s_cbranch_execz .LBB29_336
; %bb.335:                              ;   in Loop: Header=BB29_14 Depth=1
	buffer_load_dword v0, off, s[0:3], 0 offset:196 ; 4-byte Folded Reload
	buffer_load_dword v7, off, s[0:3], 0 offset:200 ; 4-byte Folded Reload
	v_readlane_b32 s34, v255, 1
	s_waitcnt vmcnt(1)
	v_add_u32_e32 v0, 0, v0
	ds_read2_b32 v[20:21], v0 offset0:64 offset1:65
	s_waitcnt vmcnt(0)
	ds_read2st64_b32 v[22:23], v7 offset1:17
	ds_read_b32 v0, v0 offset:4608
	v_mad_u64_u32 v[6:7], s[44:45], v6, s34, v[42:43]
	v_ashrrev_i32_e32 v7, 31, v6
	s_waitcnt lgkmcnt(1)
	v_cvt_f32_f16_sdwa v25, v22 dst_sel:DWORD dst_unused:UNUSED_PAD src0_sel:WORD_1
	v_cvt_f32_f16_e32 v24, v22
	v_cvt_f32_f16_sdwa v27, v23 dst_sel:DWORD dst_unused:UNUSED_PAD src0_sel:WORD_1
	v_cvt_f32_f16_e32 v26, v23
	v_lshlrev_b64 v[6:7], 3, v[6:7]
	v_readlane_b32 s34, v255, 18
	v_pk_fma_f32 v[24:25], v[20:21], v[24:25], 0 op_sel_hi:[0,1,0]
	v_add_co_u32_e32 v6, vcc, s34, v6
	v_readlane_b32 s34, v255, 19
	s_waitcnt lgkmcnt(0)
	v_pk_fma_f32 v[22:23], v[0:1], v[26:27], v[24:25] op_sel_hi:[0,1,1]
	v_mov_b32_e32 v19, s34
	v_div_scale_f32 v0, s[44:45], v21, v21, v23
	v_addc_co_u32_e32 v7, vcc, v19, v7, vcc
	v_rcp_f32_e32 v19, v0
	v_fma_f32 v20, -v0, v19, 1.0
	v_fmac_f32_e32 v19, v20, v19
	v_div_scale_f32 v20, vcc, v23, v21, v23
	v_mul_f32_e32 v24, v20, v19
	v_fma_f32 v25, -v0, v24, v20
	v_fmac_f32_e32 v24, v25, v19
	v_fma_f32 v0, -v0, v24, v20
	v_div_fmas_f32 v0, v0, v19, v24
	v_div_fixup_f32 v23, v0, v21, v23
	v_div_scale_f32 v0, s[44:45], v21, v21, v22
	v_rcp_f32_e32 v19, v0
	v_fma_f32 v20, -v0, v19, 1.0
	v_fmac_f32_e32 v19, v20, v19
	v_div_scale_f32 v20, vcc, v22, v21, v22
	v_mul_f32_e32 v24, v20, v19
	v_fma_f32 v25, -v0, v24, v20
	v_fmac_f32_e32 v24, v25, v19
	v_fma_f32 v0, -v0, v24, v20
	v_div_fmas_f32 v0, v0, v19, v24
	v_div_fixup_f32 v22, v0, v21, v22
	v_mov_b32_e32 v0, 0
	global_store_dwordx2 v[6:7], v[22:23], off
.LBB29_336:                             ;   in Loop: Header=BB29_14 Depth=1
	s_or_b64 exec, exec, s[42:43]
	v_cmp_gt_i32_e32 vcc, s89, v0
	s_mov_b64 s[42:43], -1
	s_and_saveexec_b64 s[44:45], vcc
; %bb.337:                              ;   in Loop: Header=BB29_14 Depth=1
	v_cmp_eq_u32_e32 vcc, 0, v0
	s_orn2_b64 s[42:43], vcc, exec
; %bb.338:                              ;   in Loop: Header=BB29_14 Depth=1
	s_or_b64 exec, exec, s[44:45]
	s_and_b64 exec, exec, s[42:43]
	s_cbranch_execz .LBB29_396
; %bb.339:                              ;   in Loop: Header=BB29_14 Depth=1
	buffer_load_dword v0, off, s[0:3], 0 offset:204 ; 4-byte Folded Reload
	s_waitcnt vmcnt(0)
	v_add_u32_e32 v6, s71, v0
	v_cmp_gt_i32_e32 vcc, s84, v6
	v_mov_b32_e32 v0, 0x47
	s_and_saveexec_b64 s[42:43], vcc
	s_cbranch_execz .LBB29_341
; %bb.340:                              ;   in Loop: Header=BB29_14 Depth=1
	buffer_load_dword v0, off, s[0:3], 0 offset:208 ; 4-byte Folded Reload
	buffer_load_dword v7, off, s[0:3], 0 offset:212 ; 4-byte Folded Reload
	v_readlane_b32 s34, v255, 1
	s_waitcnt vmcnt(1)
	v_add_u32_e32 v0, 0, v0
	ds_read2_b32 v[20:21], v0 offset0:64 offset1:65
	s_waitcnt vmcnt(0)
	ds_read2st64_b32 v[22:23], v7 offset1:17
	ds_read_b32 v0, v0 offset:4608
	v_mad_u64_u32 v[6:7], s[44:45], v6, s34, v[42:43]
	v_ashrrev_i32_e32 v7, 31, v6
	s_waitcnt lgkmcnt(1)
	v_cvt_f32_f16_sdwa v25, v22 dst_sel:DWORD dst_unused:UNUSED_PAD src0_sel:WORD_1
	v_cvt_f32_f16_e32 v24, v22
	v_cvt_f32_f16_sdwa v27, v23 dst_sel:DWORD dst_unused:UNUSED_PAD src0_sel:WORD_1
	v_cvt_f32_f16_e32 v26, v23
	v_lshlrev_b64 v[6:7], 3, v[6:7]
	v_readlane_b32 s34, v255, 18
	v_pk_fma_f32 v[24:25], v[20:21], v[24:25], 0 op_sel_hi:[0,1,0]
	v_add_co_u32_e32 v6, vcc, s34, v6
	v_readlane_b32 s34, v255, 19
	s_waitcnt lgkmcnt(0)
	v_pk_fma_f32 v[22:23], v[0:1], v[26:27], v[24:25] op_sel_hi:[0,1,1]
	v_mov_b32_e32 v19, s34
	v_div_scale_f32 v0, s[44:45], v21, v21, v23
	v_addc_co_u32_e32 v7, vcc, v19, v7, vcc
	v_rcp_f32_e32 v19, v0
	v_fma_f32 v20, -v0, v19, 1.0
	v_fmac_f32_e32 v19, v20, v19
	v_div_scale_f32 v20, vcc, v23, v21, v23
	v_mul_f32_e32 v24, v20, v19
	v_fma_f32 v25, -v0, v24, v20
	v_fmac_f32_e32 v24, v25, v19
	v_fma_f32 v0, -v0, v24, v20
	v_div_fmas_f32 v0, v0, v19, v24
	v_div_fixup_f32 v23, v0, v21, v23
	v_div_scale_f32 v0, s[44:45], v21, v21, v22
	v_rcp_f32_e32 v19, v0
	v_fma_f32 v20, -v0, v19, 1.0
	v_fmac_f32_e32 v19, v20, v19
	v_div_scale_f32 v20, vcc, v22, v21, v22
	v_mul_f32_e32 v24, v20, v19
	v_fma_f32 v25, -v0, v24, v20
	v_fmac_f32_e32 v24, v25, v19
	v_fma_f32 v0, -v0, v24, v20
	v_div_fmas_f32 v0, v0, v19, v24
	v_div_fixup_f32 v22, v0, v21, v22
	v_mov_b32_e32 v0, 0
	global_store_dwordx2 v[6:7], v[22:23], off
.LBB29_341:                             ;   in Loop: Header=BB29_14 Depth=1
	s_or_b64 exec, exec, s[42:43]
	v_cmp_gt_i32_e32 vcc, s89, v0
	s_mov_b64 s[42:43], -1
	s_and_saveexec_b64 s[44:45], vcc
; %bb.342:                              ;   in Loop: Header=BB29_14 Depth=1
	v_cmp_eq_u32_e32 vcc, 0, v0
	s_orn2_b64 s[42:43], vcc, exec
; %bb.343:                              ;   in Loop: Header=BB29_14 Depth=1
	s_or_b64 exec, exec, s[44:45]
	s_and_b64 exec, exec, s[42:43]
	s_cbranch_execz .LBB29_396
; %bb.344:                              ;   in Loop: Header=BB29_14 Depth=1
	buffer_load_dword v0, off, s[0:3], 0 offset:216 ; 4-byte Folded Reload
	s_waitcnt vmcnt(0)
	v_add_u32_e32 v6, s71, v0
	v_cmp_gt_i32_e32 vcc, s84, v6
	v_mov_b32_e32 v0, 0x47
	s_and_saveexec_b64 s[42:43], vcc
	s_cbranch_execz .LBB29_346
; %bb.345:                              ;   in Loop: Header=BB29_14 Depth=1
	buffer_load_dword v0, off, s[0:3], 0 offset:236 ; 4-byte Folded Reload
	buffer_load_dword v7, off, s[0:3], 0 offset:240 ; 4-byte Folded Reload
	v_readlane_b32 s34, v255, 1
	s_waitcnt vmcnt(1)
	v_add_u32_e32 v0, 0, v0
	ds_read2_b32 v[20:21], v0 offset0:64 offset1:65
	s_waitcnt vmcnt(0)
	ds_read2st64_b32 v[22:23], v7 offset1:17
	ds_read_b32 v0, v0 offset:4608
	v_mad_u64_u32 v[6:7], s[44:45], v6, s34, v[42:43]
	v_ashrrev_i32_e32 v7, 31, v6
	s_waitcnt lgkmcnt(1)
	v_cvt_f32_f16_sdwa v25, v22 dst_sel:DWORD dst_unused:UNUSED_PAD src0_sel:WORD_1
	v_cvt_f32_f16_e32 v24, v22
	v_cvt_f32_f16_sdwa v27, v23 dst_sel:DWORD dst_unused:UNUSED_PAD src0_sel:WORD_1
	v_cvt_f32_f16_e32 v26, v23
	v_lshlrev_b64 v[6:7], 3, v[6:7]
	v_readlane_b32 s34, v255, 18
	v_pk_fma_f32 v[24:25], v[20:21], v[24:25], 0 op_sel_hi:[0,1,0]
	v_add_co_u32_e32 v6, vcc, s34, v6
	v_readlane_b32 s34, v255, 19
	s_waitcnt lgkmcnt(0)
	v_pk_fma_f32 v[22:23], v[0:1], v[26:27], v[24:25] op_sel_hi:[0,1,1]
	v_mov_b32_e32 v19, s34
	v_div_scale_f32 v0, s[44:45], v21, v21, v23
	v_addc_co_u32_e32 v7, vcc, v19, v7, vcc
	v_rcp_f32_e32 v19, v0
	v_fma_f32 v20, -v0, v19, 1.0
	v_fmac_f32_e32 v19, v20, v19
	v_div_scale_f32 v20, vcc, v23, v21, v23
	v_mul_f32_e32 v24, v20, v19
	v_fma_f32 v25, -v0, v24, v20
	v_fmac_f32_e32 v24, v25, v19
	v_fma_f32 v0, -v0, v24, v20
	v_div_fmas_f32 v0, v0, v19, v24
	v_div_fixup_f32 v23, v0, v21, v23
	v_div_scale_f32 v0, s[44:45], v21, v21, v22
	v_rcp_f32_e32 v19, v0
	v_fma_f32 v20, -v0, v19, 1.0
	v_fmac_f32_e32 v19, v20, v19
	v_div_scale_f32 v20, vcc, v22, v21, v22
	v_mul_f32_e32 v24, v20, v19
	v_fma_f32 v25, -v0, v24, v20
	v_fmac_f32_e32 v24, v25, v19
	v_fma_f32 v0, -v0, v24, v20
	v_div_fmas_f32 v0, v0, v19, v24
	v_div_fixup_f32 v22, v0, v21, v22
	v_mov_b32_e32 v0, 0
	global_store_dwordx2 v[6:7], v[22:23], off
.LBB29_346:                             ;   in Loop: Header=BB29_14 Depth=1
	s_or_b64 exec, exec, s[42:43]
	v_cmp_gt_i32_e32 vcc, s89, v0
	s_mov_b64 s[42:43], -1
	s_and_saveexec_b64 s[44:45], vcc
; %bb.347:                              ;   in Loop: Header=BB29_14 Depth=1
	v_cmp_eq_u32_e32 vcc, 0, v0
	s_orn2_b64 s[42:43], vcc, exec
; %bb.348:                              ;   in Loop: Header=BB29_14 Depth=1
	s_or_b64 exec, exec, s[44:45]
	s_and_b64 exec, exec, s[42:43]
	s_cbranch_execz .LBB29_396
; %bb.349:                              ;   in Loop: Header=BB29_14 Depth=1
	buffer_load_dword v0, off, s[0:3], 0 offset:244 ; 4-byte Folded Reload
	s_waitcnt vmcnt(0)
	v_add_u32_e32 v6, s71, v0
	v_cmp_gt_i32_e32 vcc, s84, v6
	v_mov_b32_e32 v0, 0x47
	s_and_saveexec_b64 s[42:43], vcc
	s_cbranch_execz .LBB29_351
; %bb.350:                              ;   in Loop: Header=BB29_14 Depth=1
	buffer_load_dword v0, off, s[0:3], 0 offset:248 ; 4-byte Folded Reload
	buffer_load_dword v7, off, s[0:3], 0 offset:252 ; 4-byte Folded Reload
	v_readlane_b32 s34, v255, 1
	s_waitcnt vmcnt(1)
	v_add_u32_e32 v0, 0, v0
	ds_read2_b32 v[20:21], v0 offset0:64 offset1:65
	s_waitcnt vmcnt(0)
	ds_read2st64_b32 v[22:23], v7 offset1:17
	ds_read_b32 v0, v0 offset:4608
	v_mad_u64_u32 v[6:7], s[44:45], v6, s34, v[42:43]
	v_ashrrev_i32_e32 v7, 31, v6
	s_waitcnt lgkmcnt(1)
	v_cvt_f32_f16_sdwa v25, v22 dst_sel:DWORD dst_unused:UNUSED_PAD src0_sel:WORD_1
	v_cvt_f32_f16_e32 v24, v22
	v_cvt_f32_f16_sdwa v27, v23 dst_sel:DWORD dst_unused:UNUSED_PAD src0_sel:WORD_1
	v_cvt_f32_f16_e32 v26, v23
	v_lshlrev_b64 v[6:7], 3, v[6:7]
	v_readlane_b32 s34, v255, 18
	v_pk_fma_f32 v[24:25], v[20:21], v[24:25], 0 op_sel_hi:[0,1,0]
	v_add_co_u32_e32 v6, vcc, s34, v6
	v_readlane_b32 s34, v255, 19
	s_waitcnt lgkmcnt(0)
	v_pk_fma_f32 v[22:23], v[0:1], v[26:27], v[24:25] op_sel_hi:[0,1,1]
	v_mov_b32_e32 v19, s34
	v_div_scale_f32 v0, s[44:45], v21, v21, v23
	v_addc_co_u32_e32 v7, vcc, v19, v7, vcc
	v_rcp_f32_e32 v19, v0
	v_fma_f32 v20, -v0, v19, 1.0
	v_fmac_f32_e32 v19, v20, v19
	v_div_scale_f32 v20, vcc, v23, v21, v23
	v_mul_f32_e32 v24, v20, v19
	v_fma_f32 v25, -v0, v24, v20
	v_fmac_f32_e32 v24, v25, v19
	v_fma_f32 v0, -v0, v24, v20
	v_div_fmas_f32 v0, v0, v19, v24
	v_div_fixup_f32 v23, v0, v21, v23
	v_div_scale_f32 v0, s[44:45], v21, v21, v22
	v_rcp_f32_e32 v19, v0
	v_fma_f32 v20, -v0, v19, 1.0
	v_fmac_f32_e32 v19, v20, v19
	v_div_scale_f32 v20, vcc, v22, v21, v22
	v_mul_f32_e32 v24, v20, v19
	v_fma_f32 v25, -v0, v24, v20
	v_fmac_f32_e32 v24, v25, v19
	v_fma_f32 v0, -v0, v24, v20
	v_div_fmas_f32 v0, v0, v19, v24
	v_div_fixup_f32 v22, v0, v21, v22
	v_mov_b32_e32 v0, 0
	global_store_dwordx2 v[6:7], v[22:23], off
.LBB29_351:                             ;   in Loop: Header=BB29_14 Depth=1
	s_or_b64 exec, exec, s[42:43]
	v_cmp_gt_i32_e32 vcc, s89, v0
	s_mov_b64 s[42:43], -1
	s_and_saveexec_b64 s[44:45], vcc
; %bb.352:                              ;   in Loop: Header=BB29_14 Depth=1
	v_cmp_eq_u32_e32 vcc, 0, v0
	s_orn2_b64 s[42:43], vcc, exec
; %bb.353:                              ;   in Loop: Header=BB29_14 Depth=1
	s_or_b64 exec, exec, s[44:45]
	s_and_b64 exec, exec, s[42:43]
	s_cbranch_execz .LBB29_396
; %bb.354:                              ;   in Loop: Header=BB29_14 Depth=1
	buffer_load_dword v0, off, s[0:3], 0 offset:256 ; 4-byte Folded Reload
	s_waitcnt vmcnt(0)
	v_add_u32_e32 v6, s71, v0
	v_cmp_gt_i32_e32 vcc, s84, v6
	v_mov_b32_e32 v0, 0x47
	s_and_saveexec_b64 s[42:43], vcc
	s_cbranch_execz .LBB29_356
; %bb.355:                              ;   in Loop: Header=BB29_14 Depth=1
	buffer_load_dword v0, off, s[0:3], 0 offset:260 ; 4-byte Folded Reload
	buffer_load_dword v7, off, s[0:3], 0 offset:264 ; 4-byte Folded Reload
	v_readlane_b32 s34, v255, 1
	s_waitcnt vmcnt(1)
	v_add_u32_e32 v0, 0, v0
	ds_read2_b32 v[20:21], v0 offset0:64 offset1:65
	s_waitcnt vmcnt(0)
	ds_read2st64_b32 v[22:23], v7 offset1:17
	ds_read_b32 v0, v0 offset:4608
	v_mad_u64_u32 v[6:7], s[44:45], v6, s34, v[42:43]
	v_ashrrev_i32_e32 v7, 31, v6
	s_waitcnt lgkmcnt(1)
	v_cvt_f32_f16_sdwa v25, v22 dst_sel:DWORD dst_unused:UNUSED_PAD src0_sel:WORD_1
	v_cvt_f32_f16_e32 v24, v22
	v_cvt_f32_f16_sdwa v27, v23 dst_sel:DWORD dst_unused:UNUSED_PAD src0_sel:WORD_1
	v_cvt_f32_f16_e32 v26, v23
	v_lshlrev_b64 v[6:7], 3, v[6:7]
	v_readlane_b32 s34, v255, 18
	v_pk_fma_f32 v[24:25], v[20:21], v[24:25], 0 op_sel_hi:[0,1,0]
	v_add_co_u32_e32 v6, vcc, s34, v6
	v_readlane_b32 s34, v255, 19
	s_waitcnt lgkmcnt(0)
	v_pk_fma_f32 v[22:23], v[0:1], v[26:27], v[24:25] op_sel_hi:[0,1,1]
	v_mov_b32_e32 v19, s34
	v_div_scale_f32 v0, s[44:45], v21, v21, v23
	v_addc_co_u32_e32 v7, vcc, v19, v7, vcc
	v_rcp_f32_e32 v19, v0
	v_fma_f32 v20, -v0, v19, 1.0
	v_fmac_f32_e32 v19, v20, v19
	v_div_scale_f32 v20, vcc, v23, v21, v23
	v_mul_f32_e32 v24, v20, v19
	v_fma_f32 v25, -v0, v24, v20
	v_fmac_f32_e32 v24, v25, v19
	v_fma_f32 v0, -v0, v24, v20
	v_div_fmas_f32 v0, v0, v19, v24
	v_div_fixup_f32 v23, v0, v21, v23
	v_div_scale_f32 v0, s[44:45], v21, v21, v22
	v_rcp_f32_e32 v19, v0
	v_fma_f32 v20, -v0, v19, 1.0
	v_fmac_f32_e32 v19, v20, v19
	v_div_scale_f32 v20, vcc, v22, v21, v22
	v_mul_f32_e32 v24, v20, v19
	v_fma_f32 v25, -v0, v24, v20
	v_fmac_f32_e32 v24, v25, v19
	v_fma_f32 v0, -v0, v24, v20
	v_div_fmas_f32 v0, v0, v19, v24
	v_div_fixup_f32 v22, v0, v21, v22
	v_mov_b32_e32 v0, 0
	global_store_dwordx2 v[6:7], v[22:23], off
.LBB29_356:                             ;   in Loop: Header=BB29_14 Depth=1
	s_or_b64 exec, exec, s[42:43]
	v_cmp_gt_i32_e32 vcc, s89, v0
	s_mov_b64 s[42:43], -1
	s_and_saveexec_b64 s[44:45], vcc
; %bb.357:                              ;   in Loop: Header=BB29_14 Depth=1
	v_cmp_eq_u32_e32 vcc, 0, v0
	s_orn2_b64 s[42:43], vcc, exec
; %bb.358:                              ;   in Loop: Header=BB29_14 Depth=1
	s_or_b64 exec, exec, s[44:45]
	s_and_b64 exec, exec, s[42:43]
	s_cbranch_execz .LBB29_396
; %bb.359:                              ;   in Loop: Header=BB29_14 Depth=1
	buffer_load_dword v0, off, s[0:3], 0 offset:268 ; 4-byte Folded Reload
	s_waitcnt vmcnt(0)
	v_add_u32_e32 v6, s71, v0
	v_cmp_gt_i32_e32 vcc, s84, v6
	v_mov_b32_e32 v0, 0x47
	s_and_saveexec_b64 s[42:43], vcc
	s_cbranch_execz .LBB29_361
; %bb.360:                              ;   in Loop: Header=BB29_14 Depth=1
	buffer_load_dword v0, off, s[0:3], 0 offset:272 ; 4-byte Folded Reload
	buffer_load_dword v7, off, s[0:3], 0 offset:276 ; 4-byte Folded Reload
	v_readlane_b32 s34, v255, 1
	s_waitcnt vmcnt(1)
	v_add_u32_e32 v0, 0, v0
	ds_read2_b32 v[20:21], v0 offset0:64 offset1:65
	s_waitcnt vmcnt(0)
	ds_read2st64_b32 v[22:23], v7 offset1:17
	ds_read_b32 v0, v0 offset:4608
	v_mad_u64_u32 v[6:7], s[44:45], v6, s34, v[42:43]
	v_ashrrev_i32_e32 v7, 31, v6
	s_waitcnt lgkmcnt(1)
	v_cvt_f32_f16_sdwa v25, v22 dst_sel:DWORD dst_unused:UNUSED_PAD src0_sel:WORD_1
	v_cvt_f32_f16_e32 v24, v22
	v_cvt_f32_f16_sdwa v27, v23 dst_sel:DWORD dst_unused:UNUSED_PAD src0_sel:WORD_1
	v_cvt_f32_f16_e32 v26, v23
	v_lshlrev_b64 v[6:7], 3, v[6:7]
	v_readlane_b32 s34, v255, 18
	v_pk_fma_f32 v[24:25], v[20:21], v[24:25], 0 op_sel_hi:[0,1,0]
	v_add_co_u32_e32 v6, vcc, s34, v6
	v_readlane_b32 s34, v255, 19
	s_waitcnt lgkmcnt(0)
	v_pk_fma_f32 v[22:23], v[0:1], v[26:27], v[24:25] op_sel_hi:[0,1,1]
	v_mov_b32_e32 v19, s34
	v_div_scale_f32 v0, s[44:45], v21, v21, v23
	v_addc_co_u32_e32 v7, vcc, v19, v7, vcc
	v_rcp_f32_e32 v19, v0
	v_fma_f32 v20, -v0, v19, 1.0
	v_fmac_f32_e32 v19, v20, v19
	v_div_scale_f32 v20, vcc, v23, v21, v23
	v_mul_f32_e32 v24, v20, v19
	v_fma_f32 v25, -v0, v24, v20
	v_fmac_f32_e32 v24, v25, v19
	v_fma_f32 v0, -v0, v24, v20
	v_div_fmas_f32 v0, v0, v19, v24
	v_div_fixup_f32 v23, v0, v21, v23
	v_div_scale_f32 v0, s[44:45], v21, v21, v22
	v_rcp_f32_e32 v19, v0
	v_fma_f32 v20, -v0, v19, 1.0
	v_fmac_f32_e32 v19, v20, v19
	v_div_scale_f32 v20, vcc, v22, v21, v22
	v_mul_f32_e32 v24, v20, v19
	v_fma_f32 v25, -v0, v24, v20
	v_fmac_f32_e32 v24, v25, v19
	v_fma_f32 v0, -v0, v24, v20
	v_div_fmas_f32 v0, v0, v19, v24
	v_div_fixup_f32 v22, v0, v21, v22
	v_mov_b32_e32 v0, 0
	global_store_dwordx2 v[6:7], v[22:23], off
.LBB29_361:                             ;   in Loop: Header=BB29_14 Depth=1
	s_or_b64 exec, exec, s[42:43]
	v_cmp_gt_i32_e32 vcc, s89, v0
	s_mov_b64 s[42:43], -1
	s_and_saveexec_b64 s[44:45], vcc
; %bb.362:                              ;   in Loop: Header=BB29_14 Depth=1
	v_cmp_eq_u32_e32 vcc, 0, v0
	s_orn2_b64 s[42:43], vcc, exec
; %bb.363:                              ;   in Loop: Header=BB29_14 Depth=1
	s_or_b64 exec, exec, s[44:45]
	s_and_b64 exec, exec, s[42:43]
	s_cbranch_execz .LBB29_396
; %bb.364:                              ;   in Loop: Header=BB29_14 Depth=1
	buffer_load_dword v0, off, s[0:3], 0 offset:280 ; 4-byte Folded Reload
	s_waitcnt vmcnt(0)
	v_add_u32_e32 v6, s71, v0
	v_cmp_gt_i32_e32 vcc, s84, v6
	v_mov_b32_e32 v0, 0x47
	s_and_saveexec_b64 s[42:43], vcc
	s_cbranch_execz .LBB29_366
; %bb.365:                              ;   in Loop: Header=BB29_14 Depth=1
	buffer_load_dword v0, off, s[0:3], 0 offset:284 ; 4-byte Folded Reload
	buffer_load_dword v7, off, s[0:3], 0 offset:288 ; 4-byte Folded Reload
	v_readlane_b32 s34, v255, 1
	s_waitcnt vmcnt(1)
	v_add_u32_e32 v0, 0, v0
	ds_read2_b32 v[20:21], v0 offset0:64 offset1:65
	s_waitcnt vmcnt(0)
	ds_read2st64_b32 v[22:23], v7 offset1:17
	ds_read_b32 v0, v0 offset:4608
	v_mad_u64_u32 v[6:7], s[44:45], v6, s34, v[42:43]
	v_ashrrev_i32_e32 v7, 31, v6
	s_waitcnt lgkmcnt(1)
	v_cvt_f32_f16_sdwa v25, v22 dst_sel:DWORD dst_unused:UNUSED_PAD src0_sel:WORD_1
	v_cvt_f32_f16_e32 v24, v22
	v_cvt_f32_f16_sdwa v27, v23 dst_sel:DWORD dst_unused:UNUSED_PAD src0_sel:WORD_1
	v_cvt_f32_f16_e32 v26, v23
	v_lshlrev_b64 v[6:7], 3, v[6:7]
	v_readlane_b32 s34, v255, 18
	v_pk_fma_f32 v[24:25], v[20:21], v[24:25], 0 op_sel_hi:[0,1,0]
	v_add_co_u32_e32 v6, vcc, s34, v6
	v_readlane_b32 s34, v255, 19
	s_waitcnt lgkmcnt(0)
	v_pk_fma_f32 v[22:23], v[0:1], v[26:27], v[24:25] op_sel_hi:[0,1,1]
	v_mov_b32_e32 v19, s34
	v_div_scale_f32 v0, s[44:45], v21, v21, v23
	v_addc_co_u32_e32 v7, vcc, v19, v7, vcc
	v_rcp_f32_e32 v19, v0
	v_fma_f32 v20, -v0, v19, 1.0
	v_fmac_f32_e32 v19, v20, v19
	v_div_scale_f32 v20, vcc, v23, v21, v23
	v_mul_f32_e32 v24, v20, v19
	v_fma_f32 v25, -v0, v24, v20
	v_fmac_f32_e32 v24, v25, v19
	v_fma_f32 v0, -v0, v24, v20
	v_div_fmas_f32 v0, v0, v19, v24
	v_div_fixup_f32 v23, v0, v21, v23
	v_div_scale_f32 v0, s[44:45], v21, v21, v22
	v_rcp_f32_e32 v19, v0
	v_fma_f32 v20, -v0, v19, 1.0
	v_fmac_f32_e32 v19, v20, v19
	v_div_scale_f32 v20, vcc, v22, v21, v22
	v_mul_f32_e32 v24, v20, v19
	v_fma_f32 v25, -v0, v24, v20
	v_fmac_f32_e32 v24, v25, v19
	v_fma_f32 v0, -v0, v24, v20
	v_div_fmas_f32 v0, v0, v19, v24
	v_div_fixup_f32 v22, v0, v21, v22
	v_mov_b32_e32 v0, 0
	global_store_dwordx2 v[6:7], v[22:23], off
.LBB29_366:                             ;   in Loop: Header=BB29_14 Depth=1
	s_or_b64 exec, exec, s[42:43]
	v_cmp_gt_i32_e32 vcc, s89, v0
	s_mov_b64 s[42:43], -1
	s_and_saveexec_b64 s[44:45], vcc
; %bb.367:                              ;   in Loop: Header=BB29_14 Depth=1
	v_cmp_eq_u32_e32 vcc, 0, v0
	s_orn2_b64 s[42:43], vcc, exec
; %bb.368:                              ;   in Loop: Header=BB29_14 Depth=1
	s_or_b64 exec, exec, s[44:45]
	s_and_b64 exec, exec, s[42:43]
	s_cbranch_execz .LBB29_396
; %bb.369:                              ;   in Loop: Header=BB29_14 Depth=1
	buffer_load_dword v0, off, s[0:3], 0 offset:292 ; 4-byte Folded Reload
	s_waitcnt vmcnt(0)
	v_add_u32_e32 v6, s71, v0
	v_cmp_gt_i32_e32 vcc, s84, v6
	v_mov_b32_e32 v0, 0x47
	s_and_saveexec_b64 s[42:43], vcc
	s_cbranch_execz .LBB29_371
; %bb.370:                              ;   in Loop: Header=BB29_14 Depth=1
	buffer_load_dword v0, off, s[0:3], 0 offset:296 ; 4-byte Folded Reload
	buffer_load_dword v7, off, s[0:3], 0 offset:300 ; 4-byte Folded Reload
	v_readlane_b32 s34, v255, 1
	s_waitcnt vmcnt(1)
	v_add_u32_e32 v0, 0, v0
	ds_read2_b32 v[20:21], v0 offset0:64 offset1:65
	s_waitcnt vmcnt(0)
	ds_read2st64_b32 v[22:23], v7 offset1:17
	ds_read_b32 v0, v0 offset:4608
	v_mad_u64_u32 v[6:7], s[44:45], v6, s34, v[42:43]
	v_ashrrev_i32_e32 v7, 31, v6
	s_waitcnt lgkmcnt(1)
	v_cvt_f32_f16_sdwa v25, v22 dst_sel:DWORD dst_unused:UNUSED_PAD src0_sel:WORD_1
	v_cvt_f32_f16_e32 v24, v22
	v_cvt_f32_f16_sdwa v27, v23 dst_sel:DWORD dst_unused:UNUSED_PAD src0_sel:WORD_1
	v_cvt_f32_f16_e32 v26, v23
	v_lshlrev_b64 v[6:7], 3, v[6:7]
	v_readlane_b32 s34, v255, 18
	v_pk_fma_f32 v[24:25], v[20:21], v[24:25], 0 op_sel_hi:[0,1,0]
	v_add_co_u32_e32 v6, vcc, s34, v6
	v_readlane_b32 s34, v255, 19
	s_waitcnt lgkmcnt(0)
	v_pk_fma_f32 v[22:23], v[0:1], v[26:27], v[24:25] op_sel_hi:[0,1,1]
	v_mov_b32_e32 v19, s34
	v_div_scale_f32 v0, s[44:45], v21, v21, v23
	v_addc_co_u32_e32 v7, vcc, v19, v7, vcc
	v_rcp_f32_e32 v19, v0
	v_fma_f32 v20, -v0, v19, 1.0
	v_fmac_f32_e32 v19, v20, v19
	v_div_scale_f32 v20, vcc, v23, v21, v23
	v_mul_f32_e32 v24, v20, v19
	v_fma_f32 v25, -v0, v24, v20
	v_fmac_f32_e32 v24, v25, v19
	v_fma_f32 v0, -v0, v24, v20
	v_div_fmas_f32 v0, v0, v19, v24
	v_div_fixup_f32 v23, v0, v21, v23
	v_div_scale_f32 v0, s[44:45], v21, v21, v22
	v_rcp_f32_e32 v19, v0
	v_fma_f32 v20, -v0, v19, 1.0
	v_fmac_f32_e32 v19, v20, v19
	v_div_scale_f32 v20, vcc, v22, v21, v22
	v_mul_f32_e32 v24, v20, v19
	v_fma_f32 v25, -v0, v24, v20
	v_fmac_f32_e32 v24, v25, v19
	v_fma_f32 v0, -v0, v24, v20
	v_div_fmas_f32 v0, v0, v19, v24
	v_div_fixup_f32 v22, v0, v21, v22
	v_mov_b32_e32 v0, 0
	global_store_dwordx2 v[6:7], v[22:23], off
.LBB29_371:                             ;   in Loop: Header=BB29_14 Depth=1
	s_or_b64 exec, exec, s[42:43]
	v_cmp_gt_i32_e32 vcc, s89, v0
	s_mov_b64 s[42:43], -1
	s_and_saveexec_b64 s[44:45], vcc
; %bb.372:                              ;   in Loop: Header=BB29_14 Depth=1
	v_cmp_eq_u32_e32 vcc, 0, v0
	s_orn2_b64 s[42:43], vcc, exec
; %bb.373:                              ;   in Loop: Header=BB29_14 Depth=1
	s_or_b64 exec, exec, s[44:45]
	s_and_b64 exec, exec, s[42:43]
	s_cbranch_execz .LBB29_396
; %bb.374:                              ;   in Loop: Header=BB29_14 Depth=1
	buffer_load_dword v0, off, s[0:3], 0 offset:304 ; 4-byte Folded Reload
	s_waitcnt vmcnt(0)
	v_add_u32_e32 v6, s71, v0
	v_cmp_gt_i32_e32 vcc, s84, v6
	v_mov_b32_e32 v0, 0x47
	s_and_saveexec_b64 s[42:43], vcc
	s_cbranch_execz .LBB29_376
; %bb.375:                              ;   in Loop: Header=BB29_14 Depth=1
	buffer_load_dword v0, off, s[0:3], 0 offset:308 ; 4-byte Folded Reload
	buffer_load_dword v7, off, s[0:3], 0 offset:312 ; 4-byte Folded Reload
	v_readlane_b32 s34, v255, 1
	s_waitcnt vmcnt(1)
	v_add_u32_e32 v0, 0, v0
	ds_read2_b32 v[20:21], v0 offset0:64 offset1:65
	s_waitcnt vmcnt(0)
	ds_read2st64_b32 v[22:23], v7 offset1:17
	ds_read_b32 v0, v0 offset:4608
	v_mad_u64_u32 v[6:7], s[44:45], v6, s34, v[42:43]
	v_ashrrev_i32_e32 v7, 31, v6
	s_waitcnt lgkmcnt(1)
	v_cvt_f32_f16_sdwa v25, v22 dst_sel:DWORD dst_unused:UNUSED_PAD src0_sel:WORD_1
	v_cvt_f32_f16_e32 v24, v22
	v_cvt_f32_f16_sdwa v27, v23 dst_sel:DWORD dst_unused:UNUSED_PAD src0_sel:WORD_1
	v_cvt_f32_f16_e32 v26, v23
	v_lshlrev_b64 v[6:7], 3, v[6:7]
	v_readlane_b32 s34, v255, 18
	v_pk_fma_f32 v[24:25], v[20:21], v[24:25], 0 op_sel_hi:[0,1,0]
	v_add_co_u32_e32 v6, vcc, s34, v6
	v_readlane_b32 s34, v255, 19
	s_waitcnt lgkmcnt(0)
	v_pk_fma_f32 v[22:23], v[0:1], v[26:27], v[24:25] op_sel_hi:[0,1,1]
	v_mov_b32_e32 v19, s34
	v_div_scale_f32 v0, s[44:45], v21, v21, v23
	v_addc_co_u32_e32 v7, vcc, v19, v7, vcc
	v_rcp_f32_e32 v19, v0
	v_fma_f32 v20, -v0, v19, 1.0
	v_fmac_f32_e32 v19, v20, v19
	v_div_scale_f32 v20, vcc, v23, v21, v23
	v_mul_f32_e32 v24, v20, v19
	v_fma_f32 v25, -v0, v24, v20
	v_fmac_f32_e32 v24, v25, v19
	v_fma_f32 v0, -v0, v24, v20
	v_div_fmas_f32 v0, v0, v19, v24
	v_div_fixup_f32 v23, v0, v21, v23
	v_div_scale_f32 v0, s[44:45], v21, v21, v22
	v_rcp_f32_e32 v19, v0
	v_fma_f32 v20, -v0, v19, 1.0
	v_fmac_f32_e32 v19, v20, v19
	v_div_scale_f32 v20, vcc, v22, v21, v22
	v_mul_f32_e32 v24, v20, v19
	v_fma_f32 v25, -v0, v24, v20
	v_fmac_f32_e32 v24, v25, v19
	v_fma_f32 v0, -v0, v24, v20
	v_div_fmas_f32 v0, v0, v19, v24
	v_div_fixup_f32 v22, v0, v21, v22
	v_mov_b32_e32 v0, 0
	global_store_dwordx2 v[6:7], v[22:23], off
.LBB29_376:                             ;   in Loop: Header=BB29_14 Depth=1
	s_or_b64 exec, exec, s[42:43]
	v_cmp_gt_i32_e32 vcc, s89, v0
	s_mov_b64 s[42:43], -1
	s_and_saveexec_b64 s[44:45], vcc
; %bb.377:                              ;   in Loop: Header=BB29_14 Depth=1
	v_cmp_eq_u32_e32 vcc, 0, v0
	s_orn2_b64 s[42:43], vcc, exec
; %bb.378:                              ;   in Loop: Header=BB29_14 Depth=1
	s_or_b64 exec, exec, s[44:45]
	s_and_b64 exec, exec, s[42:43]
	s_cbranch_execz .LBB29_396
; %bb.379:                              ;   in Loop: Header=BB29_14 Depth=1
	buffer_load_dword v0, off, s[0:3], 0 offset:316 ; 4-byte Folded Reload
	s_waitcnt vmcnt(0)
	v_add_u32_e32 v6, s71, v0
	v_cmp_gt_i32_e32 vcc, s84, v6
	v_mov_b32_e32 v0, 0x47
	s_and_saveexec_b64 s[42:43], vcc
	s_cbranch_execz .LBB29_381
; %bb.380:                              ;   in Loop: Header=BB29_14 Depth=1
	buffer_load_dword v0, off, s[0:3], 0 offset:320 ; 4-byte Folded Reload
	buffer_load_dword v7, off, s[0:3], 0 offset:324 ; 4-byte Folded Reload
	v_readlane_b32 s34, v255, 1
	s_waitcnt vmcnt(1)
	v_add_u32_e32 v0, 0, v0
	ds_read2_b32 v[20:21], v0 offset0:64 offset1:65
	s_waitcnt vmcnt(0)
	ds_read2st64_b32 v[22:23], v7 offset1:17
	ds_read_b32 v0, v0 offset:4608
	v_mad_u64_u32 v[6:7], s[44:45], v6, s34, v[42:43]
	v_ashrrev_i32_e32 v7, 31, v6
	s_waitcnt lgkmcnt(1)
	v_cvt_f32_f16_sdwa v25, v22 dst_sel:DWORD dst_unused:UNUSED_PAD src0_sel:WORD_1
	v_cvt_f32_f16_e32 v24, v22
	v_cvt_f32_f16_sdwa v27, v23 dst_sel:DWORD dst_unused:UNUSED_PAD src0_sel:WORD_1
	v_cvt_f32_f16_e32 v26, v23
	v_lshlrev_b64 v[6:7], 3, v[6:7]
	v_readlane_b32 s34, v255, 18
	v_pk_fma_f32 v[24:25], v[20:21], v[24:25], 0 op_sel_hi:[0,1,0]
	v_add_co_u32_e32 v6, vcc, s34, v6
	v_readlane_b32 s34, v255, 19
	s_waitcnt lgkmcnt(0)
	v_pk_fma_f32 v[22:23], v[0:1], v[26:27], v[24:25] op_sel_hi:[0,1,1]
	v_mov_b32_e32 v19, s34
	v_div_scale_f32 v0, s[44:45], v21, v21, v23
	v_addc_co_u32_e32 v7, vcc, v19, v7, vcc
	v_rcp_f32_e32 v19, v0
	v_fma_f32 v20, -v0, v19, 1.0
	v_fmac_f32_e32 v19, v20, v19
	v_div_scale_f32 v20, vcc, v23, v21, v23
	v_mul_f32_e32 v24, v20, v19
	v_fma_f32 v25, -v0, v24, v20
	v_fmac_f32_e32 v24, v25, v19
	v_fma_f32 v0, -v0, v24, v20
	v_div_fmas_f32 v0, v0, v19, v24
	v_div_fixup_f32 v23, v0, v21, v23
	v_div_scale_f32 v0, s[44:45], v21, v21, v22
	v_rcp_f32_e32 v19, v0
	v_fma_f32 v20, -v0, v19, 1.0
	v_fmac_f32_e32 v19, v20, v19
	v_div_scale_f32 v20, vcc, v22, v21, v22
	v_mul_f32_e32 v24, v20, v19
	v_fma_f32 v25, -v0, v24, v20
	v_fmac_f32_e32 v24, v25, v19
	v_fma_f32 v0, -v0, v24, v20
	v_div_fmas_f32 v0, v0, v19, v24
	v_div_fixup_f32 v22, v0, v21, v22
	v_mov_b32_e32 v0, 0
	global_store_dwordx2 v[6:7], v[22:23], off
.LBB29_381:                             ;   in Loop: Header=BB29_14 Depth=1
	s_or_b64 exec, exec, s[42:43]
	v_cmp_gt_i32_e32 vcc, s89, v0
	s_mov_b64 s[42:43], -1
	s_and_saveexec_b64 s[44:45], vcc
; %bb.382:                              ;   in Loop: Header=BB29_14 Depth=1
	v_cmp_eq_u32_e32 vcc, 0, v0
	s_orn2_b64 s[42:43], vcc, exec
; %bb.383:                              ;   in Loop: Header=BB29_14 Depth=1
	s_or_b64 exec, exec, s[44:45]
	s_and_b64 exec, exec, s[42:43]
	s_cbranch_execz .LBB29_396
; %bb.384:                              ;   in Loop: Header=BB29_14 Depth=1
	buffer_load_dword v0, off, s[0:3], 0 offset:328 ; 4-byte Folded Reload
	s_waitcnt vmcnt(0)
	v_add_u32_e32 v6, s71, v0
	v_cmp_gt_i32_e32 vcc, s84, v6
	v_mov_b32_e32 v0, 0x47
	s_and_saveexec_b64 s[42:43], vcc
	s_cbranch_execz .LBB29_386
; %bb.385:                              ;   in Loop: Header=BB29_14 Depth=1
	buffer_load_dword v0, off, s[0:3], 0 offset:332 ; 4-byte Folded Reload
	buffer_load_dword v7, off, s[0:3], 0 offset:336 ; 4-byte Folded Reload
	v_readlane_b32 s34, v255, 1
	s_waitcnt vmcnt(1)
	v_add_u32_e32 v0, 0, v0
	ds_read2_b32 v[20:21], v0 offset0:64 offset1:65
	s_waitcnt vmcnt(0)
	ds_read2st64_b32 v[22:23], v7 offset1:17
	ds_read_b32 v0, v0 offset:4608
	v_mad_u64_u32 v[6:7], s[44:45], v6, s34, v[42:43]
	v_ashrrev_i32_e32 v7, 31, v6
	s_waitcnt lgkmcnt(1)
	v_cvt_f32_f16_sdwa v25, v22 dst_sel:DWORD dst_unused:UNUSED_PAD src0_sel:WORD_1
	v_cvt_f32_f16_e32 v24, v22
	v_cvt_f32_f16_sdwa v27, v23 dst_sel:DWORD dst_unused:UNUSED_PAD src0_sel:WORD_1
	v_cvt_f32_f16_e32 v26, v23
	v_lshlrev_b64 v[6:7], 3, v[6:7]
	v_readlane_b32 s34, v255, 18
	v_pk_fma_f32 v[24:25], v[20:21], v[24:25], 0 op_sel_hi:[0,1,0]
	v_add_co_u32_e32 v6, vcc, s34, v6
	v_readlane_b32 s34, v255, 19
	s_waitcnt lgkmcnt(0)
	v_pk_fma_f32 v[22:23], v[0:1], v[26:27], v[24:25] op_sel_hi:[0,1,1]
	v_mov_b32_e32 v19, s34
	v_div_scale_f32 v0, s[44:45], v21, v21, v23
	v_addc_co_u32_e32 v7, vcc, v19, v7, vcc
	v_rcp_f32_e32 v19, v0
	v_fma_f32 v20, -v0, v19, 1.0
	v_fmac_f32_e32 v19, v20, v19
	v_div_scale_f32 v20, vcc, v23, v21, v23
	v_mul_f32_e32 v24, v20, v19
	v_fma_f32 v25, -v0, v24, v20
	v_fmac_f32_e32 v24, v25, v19
	v_fma_f32 v0, -v0, v24, v20
	v_div_fmas_f32 v0, v0, v19, v24
	v_div_fixup_f32 v23, v0, v21, v23
	v_div_scale_f32 v0, s[44:45], v21, v21, v22
	v_rcp_f32_e32 v19, v0
	v_fma_f32 v20, -v0, v19, 1.0
	v_fmac_f32_e32 v19, v20, v19
	v_div_scale_f32 v20, vcc, v22, v21, v22
	v_mul_f32_e32 v24, v20, v19
	v_fma_f32 v25, -v0, v24, v20
	v_fmac_f32_e32 v24, v25, v19
	v_fma_f32 v0, -v0, v24, v20
	v_div_fmas_f32 v0, v0, v19, v24
	v_div_fixup_f32 v22, v0, v21, v22
	v_mov_b32_e32 v0, 0
	global_store_dwordx2 v[6:7], v[22:23], off
.LBB29_386:                             ;   in Loop: Header=BB29_14 Depth=1
	s_or_b64 exec, exec, s[42:43]
	v_cmp_gt_i32_e32 vcc, s89, v0
	s_mov_b64 s[42:43], -1
	s_and_saveexec_b64 s[44:45], vcc
; %bb.387:                              ;   in Loop: Header=BB29_14 Depth=1
	v_cmp_eq_u32_e32 vcc, 0, v0
	s_orn2_b64 s[42:43], vcc, exec
; %bb.388:                              ;   in Loop: Header=BB29_14 Depth=1
	s_or_b64 exec, exec, s[44:45]
	s_and_b64 exec, exec, s[42:43]
	s_cbranch_execz .LBB29_396
; %bb.389:                              ;   in Loop: Header=BB29_14 Depth=1
	buffer_load_dword v0, off, s[0:3], 0 offset:340 ; 4-byte Folded Reload
	s_waitcnt vmcnt(0)
	v_add_u32_e32 v6, s71, v0
	v_cmp_gt_i32_e32 vcc, s84, v6
	v_mov_b32_e32 v0, 0x47
	s_and_saveexec_b64 s[42:43], vcc
	s_cbranch_execz .LBB29_391
; %bb.390:                              ;   in Loop: Header=BB29_14 Depth=1
	buffer_load_dword v0, off, s[0:3], 0 offset:344 ; 4-byte Folded Reload
	buffer_load_dword v7, off, s[0:3], 0 offset:348 ; 4-byte Folded Reload
	v_readlane_b32 s34, v255, 1
	s_waitcnt vmcnt(1)
	v_add_u32_e32 v0, 0, v0
	ds_read2_b32 v[20:21], v0 offset0:64 offset1:65
	s_waitcnt vmcnt(0)
	ds_read2st64_b32 v[22:23], v7 offset1:17
	ds_read_b32 v0, v0 offset:4608
	v_mad_u64_u32 v[6:7], s[44:45], v6, s34, v[42:43]
	v_ashrrev_i32_e32 v7, 31, v6
	s_waitcnt lgkmcnt(1)
	v_cvt_f32_f16_sdwa v25, v22 dst_sel:DWORD dst_unused:UNUSED_PAD src0_sel:WORD_1
	v_cvt_f32_f16_e32 v24, v22
	v_cvt_f32_f16_sdwa v27, v23 dst_sel:DWORD dst_unused:UNUSED_PAD src0_sel:WORD_1
	v_cvt_f32_f16_e32 v26, v23
	v_lshlrev_b64 v[6:7], 3, v[6:7]
	v_readlane_b32 s34, v255, 18
	v_pk_fma_f32 v[24:25], v[20:21], v[24:25], 0 op_sel_hi:[0,1,0]
	v_add_co_u32_e32 v6, vcc, s34, v6
	v_readlane_b32 s34, v255, 19
	s_waitcnt lgkmcnt(0)
	v_pk_fma_f32 v[22:23], v[0:1], v[26:27], v[24:25] op_sel_hi:[0,1,1]
	v_mov_b32_e32 v19, s34
	v_div_scale_f32 v0, s[44:45], v21, v21, v23
	v_addc_co_u32_e32 v7, vcc, v19, v7, vcc
	v_rcp_f32_e32 v19, v0
	v_fma_f32 v20, -v0, v19, 1.0
	v_fmac_f32_e32 v19, v20, v19
	v_div_scale_f32 v20, vcc, v23, v21, v23
	v_mul_f32_e32 v24, v20, v19
	v_fma_f32 v25, -v0, v24, v20
	v_fmac_f32_e32 v24, v25, v19
	v_fma_f32 v0, -v0, v24, v20
	v_div_fmas_f32 v0, v0, v19, v24
	v_div_fixup_f32 v23, v0, v21, v23
	v_div_scale_f32 v0, s[44:45], v21, v21, v22
	v_rcp_f32_e32 v19, v0
	v_fma_f32 v20, -v0, v19, 1.0
	v_fmac_f32_e32 v19, v20, v19
	v_div_scale_f32 v20, vcc, v22, v21, v22
	v_mul_f32_e32 v24, v20, v19
	v_fma_f32 v25, -v0, v24, v20
	v_fmac_f32_e32 v24, v25, v19
	v_fma_f32 v0, -v0, v24, v20
	v_div_fmas_f32 v0, v0, v19, v24
	v_div_fixup_f32 v22, v0, v21, v22
	v_mov_b32_e32 v0, 0
	global_store_dwordx2 v[6:7], v[22:23], off
.LBB29_391:                             ;   in Loop: Header=BB29_14 Depth=1
	s_or_b64 exec, exec, s[42:43]
	v_cmp_gt_i32_e32 vcc, s89, v0
	s_mov_b64 s[42:43], -1
	s_and_saveexec_b64 s[44:45], vcc
; %bb.392:                              ;   in Loop: Header=BB29_14 Depth=1
	v_cmp_eq_u32_e32 vcc, 0, v0
	s_orn2_b64 s[42:43], vcc, exec
; %bb.393:                              ;   in Loop: Header=BB29_14 Depth=1
	s_or_b64 exec, exec, s[44:45]
	s_and_b64 exec, exec, s[42:43]
	s_cbranch_execz .LBB29_396
; %bb.394:                              ;   in Loop: Header=BB29_14 Depth=1
	buffer_load_dword v0, off, s[0:3], 0 offset:352 ; 4-byte Folded Reload
	s_waitcnt vmcnt(0)
	v_add_u32_e32 v0, s71, v0
	v_cmp_gt_i32_e32 vcc, s84, v0
	s_and_b64 exec, exec, vcc
	s_cbranch_execz .LBB29_396
; %bb.395:                              ;   in Loop: Header=BB29_14 Depth=1
	buffer_load_dword v6, off, s[0:3], 0 offset:356 ; 4-byte Folded Reload
	buffer_load_dword v20, off, s[0:3], 0 offset:360 ; 4-byte Folded Reload
	v_readlane_b32 s34, v255, 1
	v_mad_u64_u32 v[24:25], s[42:43], v0, s34, v[42:43]
	v_ashrrev_i32_e32 v25, 31, v24
	v_lshlrev_b64 v[24:25], 3, v[24:25]
	v_readlane_b32 s34, v255, 18
	v_add_co_u32_e32 v24, vcc, s34, v24
	v_readlane_b32 s34, v255, 19
	v_mov_b32_e32 v0, s34
	v_addc_co_u32_e32 v25, vcc, v0, v25, vcc
	s_waitcnt vmcnt(1)
	v_add_u32_e32 v19, 0, v6
	ds_read2_b32 v[6:7], v19 offset0:64 offset1:65
	s_waitcnt vmcnt(0)
	ds_read2st64_b32 v[20:21], v20 offset1:17
	ds_read_b32 v22, v19 offset:4608
	s_waitcnt lgkmcnt(1)
	v_cvt_f32_f16_sdwa v27, v20 dst_sel:DWORD dst_unused:UNUSED_PAD src0_sel:WORD_1
	v_cvt_f32_f16_e32 v26, v20
	v_cvt_f32_f16_sdwa v29, v21 dst_sel:DWORD dst_unused:UNUSED_PAD src0_sel:WORD_1
	v_cvt_f32_f16_e32 v28, v21
	v_pk_fma_f32 v[26:27], v[6:7], v[26:27], 0 op_sel_hi:[0,1,0]
	s_waitcnt lgkmcnt(0)
	v_pk_fma_f32 v[20:21], v[22:23], v[28:29], v[26:27] op_sel_hi:[0,1,1]
	v_div_scale_f32 v0, s[42:43], v7, v7, v21
	v_rcp_f32_e32 v6, v0
	v_fma_f32 v19, -v0, v6, 1.0
	v_fmac_f32_e32 v6, v19, v6
	v_div_scale_f32 v19, vcc, v21, v7, v21
	v_mul_f32_e32 v22, v19, v6
	v_fma_f32 v23, -v0, v22, v19
	v_fmac_f32_e32 v22, v23, v6
	v_fma_f32 v0, -v0, v22, v19
	v_div_fmas_f32 v0, v0, v6, v22
	v_div_fixup_f32 v21, v0, v7, v21
	v_div_scale_f32 v0, s[42:43], v7, v7, v20
	v_rcp_f32_e32 v6, v0
	v_fma_f32 v19, -v0, v6, 1.0
	v_fmac_f32_e32 v6, v19, v6
	v_div_scale_f32 v19, vcc, v20, v7, v20
	v_mul_f32_e32 v22, v19, v6
	v_fma_f32 v23, -v0, v22, v19
	v_fmac_f32_e32 v22, v23, v6
	v_fma_f32 v0, -v0, v22, v19
	v_div_fmas_f32 v0, v0, v6, v22
	v_div_fixup_f32 v20, v0, v7, v20
	global_store_dwordx2 v[24:25], v[20:21], off
.LBB29_396:                             ;   in Loop: Header=BB29_14 Depth=1
	s_or_b64 exec, exec, s[40:41]
	s_barrier
	ds_write2_b32 v226, v2, v1 offset1:1
	ds_write2_b32 v226, v4, v3 offset0:8 offset1:9
	ds_write2_b32 v226, v8, v5 offset0:16 offset1:17
	;; [unrolled: 1-line block ×7, first 2 shown]
	s_waitcnt lgkmcnt(0)
	s_barrier
	s_and_saveexec_b64 s[40:41], s[48:49]
	s_cbranch_execz .LBB29_12
; %bb.397:                              ;   in Loop: Header=BB29_14 Depth=1
	v_add_u32_e32 v1, s71, v243
	v_cmp_gt_i32_e32 vcc, s84, v1
	v_mov_b32_e32 v0, 0x47
	s_and_saveexec_b64 s[42:43], vcc
	s_cbranch_execz .LBB29_399
; %bb.398:                              ;   in Loop: Header=BB29_14 Depth=1
	buffer_load_dword v0, off, s[0:3], 0 offset:76 ; 4-byte Folded Reload
	buffer_load_dword v4, off, s[0:3], 0 offset:80 ; 4-byte Folded Reload
	v_readlane_b32 s34, v255, 1
	v_add_u32_e32 v6, 64, v42
	v_mad_u64_u32 v[6:7], s[44:45], v1, s34, v[6:7]
	v_ashrrev_i32_e32 v7, 31, v6
	v_lshlrev_b64 v[6:7], 3, v[6:7]
	v_readlane_b32 s34, v255, 18
	v_add_co_u32_e32 v6, vcc, s34, v6
	v_readlane_b32 s34, v255, 19
	v_mov_b32_e32 v1, s34
	v_addc_co_u32_e32 v7, vcc, v1, v7, vcc
	s_waitcnt vmcnt(1)
	v_add_u32_e32 v0, 0, v0
	ds_read2_b32 v[2:3], v0 offset0:64 offset1:65
	s_waitcnt vmcnt(0)
	ds_read2st64_b32 v[4:5], v4 offset1:17
	ds_read_b32 v0, v0 offset:4608
	s_waitcnt lgkmcnt(1)
	v_cvt_f32_f16_sdwa v9, v4 dst_sel:DWORD dst_unused:UNUSED_PAD src0_sel:WORD_1
	v_cvt_f32_f16_e32 v8, v4
	v_cvt_f32_f16_sdwa v11, v5 dst_sel:DWORD dst_unused:UNUSED_PAD src0_sel:WORD_1
	v_cvt_f32_f16_e32 v10, v5
	v_pk_fma_f32 v[8:9], v[2:3], v[8:9], 0 op_sel_hi:[0,1,0]
	s_waitcnt lgkmcnt(0)
	v_pk_fma_f32 v[0:1], v[0:1], v[10:11], v[8:9] op_sel_hi:[0,1,1]
	v_div_scale_f32 v2, s[44:45], v3, v3, v1
	v_rcp_f32_e32 v4, v2
	v_fma_f32 v5, -v2, v4, 1.0
	v_fmac_f32_e32 v4, v5, v4
	v_div_scale_f32 v5, vcc, v1, v3, v1
	v_mul_f32_e32 v8, v5, v4
	v_fma_f32 v9, -v2, v8, v5
	v_fmac_f32_e32 v8, v9, v4
	v_fma_f32 v2, -v2, v8, v5
	v_div_fmas_f32 v2, v2, v4, v8
	v_div_fixup_f32 v1, v2, v3, v1
	v_div_scale_f32 v2, s[44:45], v3, v3, v0
	v_rcp_f32_e32 v4, v2
	v_fma_f32 v5, -v2, v4, 1.0
	v_fmac_f32_e32 v4, v5, v4
	v_div_scale_f32 v5, vcc, v0, v3, v0
	v_mul_f32_e32 v8, v5, v4
	v_fma_f32 v9, -v2, v8, v5
	v_fmac_f32_e32 v8, v9, v4
	v_fma_f32 v2, -v2, v8, v5
	v_div_fmas_f32 v2, v2, v4, v8
	v_div_fixup_f32 v0, v2, v3, v0
	global_store_dwordx2 v[6:7], v[0:1], off
	v_mov_b32_e32 v0, 0
.LBB29_399:                             ;   in Loop: Header=BB29_14 Depth=1
	s_or_b64 exec, exec, s[42:43]
	v_cmp_gt_i32_e32 vcc, s89, v0
	s_mov_b64 s[42:43], -1
	s_and_saveexec_b64 s[44:45], vcc
; %bb.400:                              ;   in Loop: Header=BB29_14 Depth=1
	v_cmp_eq_u32_e32 vcc, 0, v0
	s_orn2_b64 s[42:43], vcc, exec
; %bb.401:                              ;   in Loop: Header=BB29_14 Depth=1
	s_or_b64 exec, exec, s[44:45]
	s_and_b64 exec, exec, s[42:43]
	s_cbranch_execz .LBB29_12
; %bb.402:                              ;   in Loop: Header=BB29_14 Depth=1
	buffer_load_dword v0, off, s[0:3], 0 offset:84 ; 4-byte Folded Reload
	s_waitcnt vmcnt(0)
	v_add_u32_e32 v1, s71, v0
	v_cmp_gt_i32_e32 vcc, s84, v1
	v_mov_b32_e32 v0, 0x47
	s_and_saveexec_b64 s[42:43], vcc
	s_cbranch_execz .LBB29_404
; %bb.403:                              ;   in Loop: Header=BB29_14 Depth=1
	buffer_load_dword v0, off, s[0:3], 0 offset:100 ; 4-byte Folded Reload
	buffer_load_dword v4, off, s[0:3], 0 offset:104 ; 4-byte Folded Reload
	v_readlane_b32 s34, v255, 1
	v_add_u32_e32 v6, 64, v42
	v_mad_u64_u32 v[6:7], s[44:45], v1, s34, v[6:7]
	v_ashrrev_i32_e32 v7, 31, v6
	v_lshlrev_b64 v[6:7], 3, v[6:7]
	v_readlane_b32 s34, v255, 18
	v_add_co_u32_e32 v6, vcc, s34, v6
	v_readlane_b32 s34, v255, 19
	v_mov_b32_e32 v1, s34
	v_addc_co_u32_e32 v7, vcc, v1, v7, vcc
	s_waitcnt vmcnt(1)
	v_add_u32_e32 v0, 0, v0
	ds_read2_b32 v[2:3], v0 offset0:64 offset1:65
	s_waitcnt vmcnt(0)
	ds_read2st64_b32 v[4:5], v4 offset1:17
	ds_read_b32 v0, v0 offset:4608
	s_waitcnt lgkmcnt(1)
	v_cvt_f32_f16_sdwa v9, v4 dst_sel:DWORD dst_unused:UNUSED_PAD src0_sel:WORD_1
	v_cvt_f32_f16_e32 v8, v4
	v_cvt_f32_f16_sdwa v11, v5 dst_sel:DWORD dst_unused:UNUSED_PAD src0_sel:WORD_1
	v_cvt_f32_f16_e32 v10, v5
	v_pk_fma_f32 v[8:9], v[2:3], v[8:9], 0 op_sel_hi:[0,1,0]
	s_waitcnt lgkmcnt(0)
	v_pk_fma_f32 v[0:1], v[0:1], v[10:11], v[8:9] op_sel_hi:[0,1,1]
	v_div_scale_f32 v2, s[44:45], v3, v3, v1
	v_rcp_f32_e32 v4, v2
	v_fma_f32 v5, -v2, v4, 1.0
	v_fmac_f32_e32 v4, v5, v4
	v_div_scale_f32 v5, vcc, v1, v3, v1
	v_mul_f32_e32 v8, v5, v4
	v_fma_f32 v9, -v2, v8, v5
	v_fmac_f32_e32 v8, v9, v4
	v_fma_f32 v2, -v2, v8, v5
	v_div_fmas_f32 v2, v2, v4, v8
	v_div_fixup_f32 v1, v2, v3, v1
	v_div_scale_f32 v2, s[44:45], v3, v3, v0
	v_rcp_f32_e32 v4, v2
	v_fma_f32 v5, -v2, v4, 1.0
	v_fmac_f32_e32 v4, v5, v4
	v_div_scale_f32 v5, vcc, v0, v3, v0
	v_mul_f32_e32 v8, v5, v4
	v_fma_f32 v9, -v2, v8, v5
	v_fmac_f32_e32 v8, v9, v4
	v_fma_f32 v2, -v2, v8, v5
	v_div_fmas_f32 v2, v2, v4, v8
	v_div_fixup_f32 v0, v2, v3, v0
	global_store_dwordx2 v[6:7], v[0:1], off
	v_mov_b32_e32 v0, 0
.LBB29_404:                             ;   in Loop: Header=BB29_14 Depth=1
	s_or_b64 exec, exec, s[42:43]
	v_cmp_gt_i32_e32 vcc, s89, v0
	s_mov_b64 s[42:43], -1
	s_and_saveexec_b64 s[44:45], vcc
; %bb.405:                              ;   in Loop: Header=BB29_14 Depth=1
	v_cmp_eq_u32_e32 vcc, 0, v0
	s_orn2_b64 s[42:43], vcc, exec
; %bb.406:                              ;   in Loop: Header=BB29_14 Depth=1
	s_or_b64 exec, exec, s[44:45]
	s_and_b64 exec, exec, s[42:43]
	s_cbranch_execz .LBB29_12
; %bb.407:                              ;   in Loop: Header=BB29_14 Depth=1
	buffer_load_dword v0, off, s[0:3], 0 offset:108 ; 4-byte Folded Reload
	s_waitcnt vmcnt(0)
	v_add_u32_e32 v1, s71, v0
	v_cmp_gt_i32_e32 vcc, s84, v1
	v_mov_b32_e32 v0, 0x47
	s_and_saveexec_b64 s[42:43], vcc
	s_cbranch_execz .LBB29_409
; %bb.408:                              ;   in Loop: Header=BB29_14 Depth=1
	buffer_load_dword v0, off, s[0:3], 0 offset:184 ; 4-byte Folded Reload
	buffer_load_dword v4, off, s[0:3], 0 offset:188 ; 4-byte Folded Reload
	v_readlane_b32 s34, v255, 1
	v_add_u32_e32 v6, 64, v42
	v_mad_u64_u32 v[6:7], s[44:45], v1, s34, v[6:7]
	v_ashrrev_i32_e32 v7, 31, v6
	v_lshlrev_b64 v[6:7], 3, v[6:7]
	v_readlane_b32 s34, v255, 18
	v_add_co_u32_e32 v6, vcc, s34, v6
	v_readlane_b32 s34, v255, 19
	v_mov_b32_e32 v1, s34
	v_addc_co_u32_e32 v7, vcc, v1, v7, vcc
	s_waitcnt vmcnt(1)
	v_add_u32_e32 v0, 0, v0
	ds_read2_b32 v[2:3], v0 offset0:64 offset1:65
	s_waitcnt vmcnt(0)
	ds_read2st64_b32 v[4:5], v4 offset1:17
	ds_read_b32 v0, v0 offset:4608
	s_waitcnt lgkmcnt(1)
	v_cvt_f32_f16_sdwa v9, v4 dst_sel:DWORD dst_unused:UNUSED_PAD src0_sel:WORD_1
	v_cvt_f32_f16_e32 v8, v4
	v_cvt_f32_f16_sdwa v11, v5 dst_sel:DWORD dst_unused:UNUSED_PAD src0_sel:WORD_1
	v_cvt_f32_f16_e32 v10, v5
	v_pk_fma_f32 v[8:9], v[2:3], v[8:9], 0 op_sel_hi:[0,1,0]
	s_waitcnt lgkmcnt(0)
	v_pk_fma_f32 v[0:1], v[0:1], v[10:11], v[8:9] op_sel_hi:[0,1,1]
	v_div_scale_f32 v2, s[44:45], v3, v3, v1
	v_rcp_f32_e32 v4, v2
	v_fma_f32 v5, -v2, v4, 1.0
	v_fmac_f32_e32 v4, v5, v4
	v_div_scale_f32 v5, vcc, v1, v3, v1
	v_mul_f32_e32 v8, v5, v4
	v_fma_f32 v9, -v2, v8, v5
	v_fmac_f32_e32 v8, v9, v4
	v_fma_f32 v2, -v2, v8, v5
	v_div_fmas_f32 v2, v2, v4, v8
	v_div_fixup_f32 v1, v2, v3, v1
	v_div_scale_f32 v2, s[44:45], v3, v3, v0
	v_rcp_f32_e32 v4, v2
	v_fma_f32 v5, -v2, v4, 1.0
	v_fmac_f32_e32 v4, v5, v4
	v_div_scale_f32 v5, vcc, v0, v3, v0
	v_mul_f32_e32 v8, v5, v4
	v_fma_f32 v9, -v2, v8, v5
	v_fmac_f32_e32 v8, v9, v4
	v_fma_f32 v2, -v2, v8, v5
	v_div_fmas_f32 v2, v2, v4, v8
	v_div_fixup_f32 v0, v2, v3, v0
	global_store_dwordx2 v[6:7], v[0:1], off
	v_mov_b32_e32 v0, 0
.LBB29_409:                             ;   in Loop: Header=BB29_14 Depth=1
	s_or_b64 exec, exec, s[42:43]
	v_cmp_gt_i32_e32 vcc, s89, v0
	s_mov_b64 s[42:43], -1
	s_and_saveexec_b64 s[44:45], vcc
; %bb.410:                              ;   in Loop: Header=BB29_14 Depth=1
	v_cmp_eq_u32_e32 vcc, 0, v0
	s_orn2_b64 s[42:43], vcc, exec
; %bb.411:                              ;   in Loop: Header=BB29_14 Depth=1
	s_or_b64 exec, exec, s[44:45]
	s_and_b64 exec, exec, s[42:43]
	s_cbranch_execz .LBB29_12
; %bb.412:                              ;   in Loop: Header=BB29_14 Depth=1
	buffer_load_dword v0, off, s[0:3], 0 offset:192 ; 4-byte Folded Reload
	s_waitcnt vmcnt(0)
	v_add_u32_e32 v1, s71, v0
	v_cmp_gt_i32_e32 vcc, s84, v1
	v_mov_b32_e32 v0, 0x47
	s_and_saveexec_b64 s[42:43], vcc
	s_cbranch_execz .LBB29_414
; %bb.413:                              ;   in Loop: Header=BB29_14 Depth=1
	buffer_load_dword v0, off, s[0:3], 0 offset:196 ; 4-byte Folded Reload
	buffer_load_dword v4, off, s[0:3], 0 offset:200 ; 4-byte Folded Reload
	v_readlane_b32 s34, v255, 1
	v_add_u32_e32 v6, 64, v42
	v_mad_u64_u32 v[6:7], s[44:45], v1, s34, v[6:7]
	v_ashrrev_i32_e32 v7, 31, v6
	v_lshlrev_b64 v[6:7], 3, v[6:7]
	v_readlane_b32 s34, v255, 18
	v_add_co_u32_e32 v6, vcc, s34, v6
	v_readlane_b32 s34, v255, 19
	v_mov_b32_e32 v1, s34
	v_addc_co_u32_e32 v7, vcc, v1, v7, vcc
	s_waitcnt vmcnt(1)
	v_add_u32_e32 v0, 0, v0
	ds_read2_b32 v[2:3], v0 offset0:64 offset1:65
	s_waitcnt vmcnt(0)
	ds_read2st64_b32 v[4:5], v4 offset1:17
	ds_read_b32 v0, v0 offset:4608
	s_waitcnt lgkmcnt(1)
	v_cvt_f32_f16_sdwa v9, v4 dst_sel:DWORD dst_unused:UNUSED_PAD src0_sel:WORD_1
	v_cvt_f32_f16_e32 v8, v4
	v_cvt_f32_f16_sdwa v11, v5 dst_sel:DWORD dst_unused:UNUSED_PAD src0_sel:WORD_1
	v_cvt_f32_f16_e32 v10, v5
	v_pk_fma_f32 v[8:9], v[2:3], v[8:9], 0 op_sel_hi:[0,1,0]
	s_waitcnt lgkmcnt(0)
	v_pk_fma_f32 v[0:1], v[0:1], v[10:11], v[8:9] op_sel_hi:[0,1,1]
	v_div_scale_f32 v2, s[44:45], v3, v3, v1
	v_rcp_f32_e32 v4, v2
	v_fma_f32 v5, -v2, v4, 1.0
	v_fmac_f32_e32 v4, v5, v4
	v_div_scale_f32 v5, vcc, v1, v3, v1
	v_mul_f32_e32 v8, v5, v4
	v_fma_f32 v9, -v2, v8, v5
	v_fmac_f32_e32 v8, v9, v4
	v_fma_f32 v2, -v2, v8, v5
	v_div_fmas_f32 v2, v2, v4, v8
	v_div_fixup_f32 v1, v2, v3, v1
	v_div_scale_f32 v2, s[44:45], v3, v3, v0
	v_rcp_f32_e32 v4, v2
	v_fma_f32 v5, -v2, v4, 1.0
	v_fmac_f32_e32 v4, v5, v4
	v_div_scale_f32 v5, vcc, v0, v3, v0
	v_mul_f32_e32 v8, v5, v4
	v_fma_f32 v9, -v2, v8, v5
	v_fmac_f32_e32 v8, v9, v4
	v_fma_f32 v2, -v2, v8, v5
	v_div_fmas_f32 v2, v2, v4, v8
	v_div_fixup_f32 v0, v2, v3, v0
	global_store_dwordx2 v[6:7], v[0:1], off
	v_mov_b32_e32 v0, 0
.LBB29_414:                             ;   in Loop: Header=BB29_14 Depth=1
	s_or_b64 exec, exec, s[42:43]
	v_cmp_gt_i32_e32 vcc, s89, v0
	s_mov_b64 s[42:43], -1
	s_and_saveexec_b64 s[44:45], vcc
; %bb.415:                              ;   in Loop: Header=BB29_14 Depth=1
	v_cmp_eq_u32_e32 vcc, 0, v0
	s_orn2_b64 s[42:43], vcc, exec
; %bb.416:                              ;   in Loop: Header=BB29_14 Depth=1
	s_or_b64 exec, exec, s[44:45]
	s_and_b64 exec, exec, s[42:43]
	s_cbranch_execz .LBB29_12
; %bb.417:                              ;   in Loop: Header=BB29_14 Depth=1
	buffer_load_dword v0, off, s[0:3], 0 offset:204 ; 4-byte Folded Reload
	s_waitcnt vmcnt(0)
	v_add_u32_e32 v1, s71, v0
	v_cmp_gt_i32_e32 vcc, s84, v1
	v_mov_b32_e32 v0, 0x47
	s_and_saveexec_b64 s[42:43], vcc
	s_cbranch_execz .LBB29_419
; %bb.418:                              ;   in Loop: Header=BB29_14 Depth=1
	buffer_load_dword v0, off, s[0:3], 0 offset:208 ; 4-byte Folded Reload
	buffer_load_dword v4, off, s[0:3], 0 offset:212 ; 4-byte Folded Reload
	v_readlane_b32 s34, v255, 1
	v_add_u32_e32 v6, 64, v42
	v_mad_u64_u32 v[6:7], s[44:45], v1, s34, v[6:7]
	v_ashrrev_i32_e32 v7, 31, v6
	v_lshlrev_b64 v[6:7], 3, v[6:7]
	v_readlane_b32 s34, v255, 18
	v_add_co_u32_e32 v6, vcc, s34, v6
	v_readlane_b32 s34, v255, 19
	v_mov_b32_e32 v1, s34
	v_addc_co_u32_e32 v7, vcc, v1, v7, vcc
	s_waitcnt vmcnt(1)
	v_add_u32_e32 v0, 0, v0
	ds_read2_b32 v[2:3], v0 offset0:64 offset1:65
	s_waitcnt vmcnt(0)
	ds_read2st64_b32 v[4:5], v4 offset1:17
	ds_read_b32 v0, v0 offset:4608
	s_waitcnt lgkmcnt(1)
	v_cvt_f32_f16_sdwa v9, v4 dst_sel:DWORD dst_unused:UNUSED_PAD src0_sel:WORD_1
	v_cvt_f32_f16_e32 v8, v4
	v_cvt_f32_f16_sdwa v11, v5 dst_sel:DWORD dst_unused:UNUSED_PAD src0_sel:WORD_1
	v_cvt_f32_f16_e32 v10, v5
	v_pk_fma_f32 v[8:9], v[2:3], v[8:9], 0 op_sel_hi:[0,1,0]
	s_waitcnt lgkmcnt(0)
	v_pk_fma_f32 v[0:1], v[0:1], v[10:11], v[8:9] op_sel_hi:[0,1,1]
	v_div_scale_f32 v2, s[44:45], v3, v3, v1
	v_rcp_f32_e32 v4, v2
	v_fma_f32 v5, -v2, v4, 1.0
	v_fmac_f32_e32 v4, v5, v4
	v_div_scale_f32 v5, vcc, v1, v3, v1
	v_mul_f32_e32 v8, v5, v4
	v_fma_f32 v9, -v2, v8, v5
	v_fmac_f32_e32 v8, v9, v4
	v_fma_f32 v2, -v2, v8, v5
	v_div_fmas_f32 v2, v2, v4, v8
	v_div_fixup_f32 v1, v2, v3, v1
	v_div_scale_f32 v2, s[44:45], v3, v3, v0
	v_rcp_f32_e32 v4, v2
	v_fma_f32 v5, -v2, v4, 1.0
	v_fmac_f32_e32 v4, v5, v4
	v_div_scale_f32 v5, vcc, v0, v3, v0
	v_mul_f32_e32 v8, v5, v4
	v_fma_f32 v9, -v2, v8, v5
	v_fmac_f32_e32 v8, v9, v4
	v_fma_f32 v2, -v2, v8, v5
	v_div_fmas_f32 v2, v2, v4, v8
	v_div_fixup_f32 v0, v2, v3, v0
	global_store_dwordx2 v[6:7], v[0:1], off
	v_mov_b32_e32 v0, 0
.LBB29_419:                             ;   in Loop: Header=BB29_14 Depth=1
	s_or_b64 exec, exec, s[42:43]
	v_cmp_gt_i32_e32 vcc, s89, v0
	s_mov_b64 s[42:43], -1
	s_and_saveexec_b64 s[44:45], vcc
; %bb.420:                              ;   in Loop: Header=BB29_14 Depth=1
	v_cmp_eq_u32_e32 vcc, 0, v0
	s_orn2_b64 s[42:43], vcc, exec
; %bb.421:                              ;   in Loop: Header=BB29_14 Depth=1
	s_or_b64 exec, exec, s[44:45]
	s_and_b64 exec, exec, s[42:43]
	s_cbranch_execz .LBB29_12
; %bb.422:                              ;   in Loop: Header=BB29_14 Depth=1
	buffer_load_dword v0, off, s[0:3], 0 offset:216 ; 4-byte Folded Reload
	s_waitcnt vmcnt(0)
	v_add_u32_e32 v1, s71, v0
	v_cmp_gt_i32_e32 vcc, s84, v1
	v_mov_b32_e32 v0, 0x47
	s_and_saveexec_b64 s[42:43], vcc
	s_cbranch_execz .LBB29_424
; %bb.423:                              ;   in Loop: Header=BB29_14 Depth=1
	buffer_load_dword v0, off, s[0:3], 0 offset:236 ; 4-byte Folded Reload
	buffer_load_dword v4, off, s[0:3], 0 offset:240 ; 4-byte Folded Reload
	v_readlane_b32 s34, v255, 1
	v_add_u32_e32 v6, 64, v42
	v_mad_u64_u32 v[6:7], s[44:45], v1, s34, v[6:7]
	v_ashrrev_i32_e32 v7, 31, v6
	v_lshlrev_b64 v[6:7], 3, v[6:7]
	v_readlane_b32 s34, v255, 18
	v_add_co_u32_e32 v6, vcc, s34, v6
	v_readlane_b32 s34, v255, 19
	v_mov_b32_e32 v1, s34
	v_addc_co_u32_e32 v7, vcc, v1, v7, vcc
	s_waitcnt vmcnt(1)
	v_add_u32_e32 v0, 0, v0
	ds_read2_b32 v[2:3], v0 offset0:64 offset1:65
	s_waitcnt vmcnt(0)
	ds_read2st64_b32 v[4:5], v4 offset1:17
	ds_read_b32 v0, v0 offset:4608
	s_waitcnt lgkmcnt(1)
	v_cvt_f32_f16_sdwa v9, v4 dst_sel:DWORD dst_unused:UNUSED_PAD src0_sel:WORD_1
	v_cvt_f32_f16_e32 v8, v4
	v_cvt_f32_f16_sdwa v11, v5 dst_sel:DWORD dst_unused:UNUSED_PAD src0_sel:WORD_1
	v_cvt_f32_f16_e32 v10, v5
	v_pk_fma_f32 v[8:9], v[2:3], v[8:9], 0 op_sel_hi:[0,1,0]
	s_waitcnt lgkmcnt(0)
	v_pk_fma_f32 v[0:1], v[0:1], v[10:11], v[8:9] op_sel_hi:[0,1,1]
	v_div_scale_f32 v2, s[44:45], v3, v3, v1
	v_rcp_f32_e32 v4, v2
	v_fma_f32 v5, -v2, v4, 1.0
	v_fmac_f32_e32 v4, v5, v4
	v_div_scale_f32 v5, vcc, v1, v3, v1
	v_mul_f32_e32 v8, v5, v4
	v_fma_f32 v9, -v2, v8, v5
	v_fmac_f32_e32 v8, v9, v4
	v_fma_f32 v2, -v2, v8, v5
	v_div_fmas_f32 v2, v2, v4, v8
	v_div_fixup_f32 v1, v2, v3, v1
	v_div_scale_f32 v2, s[44:45], v3, v3, v0
	v_rcp_f32_e32 v4, v2
	v_fma_f32 v5, -v2, v4, 1.0
	v_fmac_f32_e32 v4, v5, v4
	v_div_scale_f32 v5, vcc, v0, v3, v0
	v_mul_f32_e32 v8, v5, v4
	v_fma_f32 v9, -v2, v8, v5
	v_fmac_f32_e32 v8, v9, v4
	v_fma_f32 v2, -v2, v8, v5
	v_div_fmas_f32 v2, v2, v4, v8
	v_div_fixup_f32 v0, v2, v3, v0
	global_store_dwordx2 v[6:7], v[0:1], off
	v_mov_b32_e32 v0, 0
.LBB29_424:                             ;   in Loop: Header=BB29_14 Depth=1
	s_or_b64 exec, exec, s[42:43]
	v_cmp_gt_i32_e32 vcc, s89, v0
	s_mov_b64 s[42:43], -1
	s_and_saveexec_b64 s[44:45], vcc
; %bb.425:                              ;   in Loop: Header=BB29_14 Depth=1
	v_cmp_eq_u32_e32 vcc, 0, v0
	s_orn2_b64 s[42:43], vcc, exec
; %bb.426:                              ;   in Loop: Header=BB29_14 Depth=1
	s_or_b64 exec, exec, s[44:45]
	s_and_b64 exec, exec, s[42:43]
	s_cbranch_execz .LBB29_12
; %bb.427:                              ;   in Loop: Header=BB29_14 Depth=1
	buffer_load_dword v0, off, s[0:3], 0 offset:244 ; 4-byte Folded Reload
	s_waitcnt vmcnt(0)
	v_add_u32_e32 v1, s71, v0
	v_cmp_gt_i32_e32 vcc, s84, v1
	v_mov_b32_e32 v0, 0x47
	s_and_saveexec_b64 s[42:43], vcc
	s_cbranch_execz .LBB29_429
; %bb.428:                              ;   in Loop: Header=BB29_14 Depth=1
	buffer_load_dword v0, off, s[0:3], 0 offset:248 ; 4-byte Folded Reload
	buffer_load_dword v4, off, s[0:3], 0 offset:252 ; 4-byte Folded Reload
	v_readlane_b32 s34, v255, 1
	v_add_u32_e32 v6, 64, v42
	v_mad_u64_u32 v[6:7], s[44:45], v1, s34, v[6:7]
	v_ashrrev_i32_e32 v7, 31, v6
	v_lshlrev_b64 v[6:7], 3, v[6:7]
	v_readlane_b32 s34, v255, 18
	v_add_co_u32_e32 v6, vcc, s34, v6
	v_readlane_b32 s34, v255, 19
	v_mov_b32_e32 v1, s34
	v_addc_co_u32_e32 v7, vcc, v1, v7, vcc
	s_waitcnt vmcnt(1)
	v_add_u32_e32 v0, 0, v0
	ds_read2_b32 v[2:3], v0 offset0:64 offset1:65
	s_waitcnt vmcnt(0)
	ds_read2st64_b32 v[4:5], v4 offset1:17
	ds_read_b32 v0, v0 offset:4608
	s_waitcnt lgkmcnt(1)
	v_cvt_f32_f16_sdwa v9, v4 dst_sel:DWORD dst_unused:UNUSED_PAD src0_sel:WORD_1
	v_cvt_f32_f16_e32 v8, v4
	v_cvt_f32_f16_sdwa v11, v5 dst_sel:DWORD dst_unused:UNUSED_PAD src0_sel:WORD_1
	v_cvt_f32_f16_e32 v10, v5
	v_pk_fma_f32 v[8:9], v[2:3], v[8:9], 0 op_sel_hi:[0,1,0]
	s_waitcnt lgkmcnt(0)
	v_pk_fma_f32 v[0:1], v[0:1], v[10:11], v[8:9] op_sel_hi:[0,1,1]
	v_div_scale_f32 v2, s[44:45], v3, v3, v1
	v_rcp_f32_e32 v4, v2
	v_fma_f32 v5, -v2, v4, 1.0
	v_fmac_f32_e32 v4, v5, v4
	v_div_scale_f32 v5, vcc, v1, v3, v1
	v_mul_f32_e32 v8, v5, v4
	v_fma_f32 v9, -v2, v8, v5
	v_fmac_f32_e32 v8, v9, v4
	v_fma_f32 v2, -v2, v8, v5
	v_div_fmas_f32 v2, v2, v4, v8
	v_div_fixup_f32 v1, v2, v3, v1
	v_div_scale_f32 v2, s[44:45], v3, v3, v0
	v_rcp_f32_e32 v4, v2
	v_fma_f32 v5, -v2, v4, 1.0
	v_fmac_f32_e32 v4, v5, v4
	v_div_scale_f32 v5, vcc, v0, v3, v0
	v_mul_f32_e32 v8, v5, v4
	v_fma_f32 v9, -v2, v8, v5
	v_fmac_f32_e32 v8, v9, v4
	v_fma_f32 v2, -v2, v8, v5
	v_div_fmas_f32 v2, v2, v4, v8
	v_div_fixup_f32 v0, v2, v3, v0
	global_store_dwordx2 v[6:7], v[0:1], off
	v_mov_b32_e32 v0, 0
.LBB29_429:                             ;   in Loop: Header=BB29_14 Depth=1
	s_or_b64 exec, exec, s[42:43]
	v_cmp_gt_i32_e32 vcc, s89, v0
	s_mov_b64 s[42:43], -1
	s_and_saveexec_b64 s[44:45], vcc
; %bb.430:                              ;   in Loop: Header=BB29_14 Depth=1
	v_cmp_eq_u32_e32 vcc, 0, v0
	s_orn2_b64 s[42:43], vcc, exec
; %bb.431:                              ;   in Loop: Header=BB29_14 Depth=1
	s_or_b64 exec, exec, s[44:45]
	s_and_b64 exec, exec, s[42:43]
	s_cbranch_execz .LBB29_12
; %bb.432:                              ;   in Loop: Header=BB29_14 Depth=1
	buffer_load_dword v0, off, s[0:3], 0 offset:256 ; 4-byte Folded Reload
	s_waitcnt vmcnt(0)
	v_add_u32_e32 v1, s71, v0
	v_cmp_gt_i32_e32 vcc, s84, v1
	v_mov_b32_e32 v0, 0x47
	s_and_saveexec_b64 s[42:43], vcc
	s_cbranch_execz .LBB29_434
; %bb.433:                              ;   in Loop: Header=BB29_14 Depth=1
	buffer_load_dword v0, off, s[0:3], 0 offset:260 ; 4-byte Folded Reload
	buffer_load_dword v4, off, s[0:3], 0 offset:264 ; 4-byte Folded Reload
	v_readlane_b32 s34, v255, 1
	v_add_u32_e32 v6, 64, v42
	v_mad_u64_u32 v[6:7], s[44:45], v1, s34, v[6:7]
	v_ashrrev_i32_e32 v7, 31, v6
	v_lshlrev_b64 v[6:7], 3, v[6:7]
	v_readlane_b32 s34, v255, 18
	v_add_co_u32_e32 v6, vcc, s34, v6
	v_readlane_b32 s34, v255, 19
	v_mov_b32_e32 v1, s34
	v_addc_co_u32_e32 v7, vcc, v1, v7, vcc
	s_waitcnt vmcnt(1)
	v_add_u32_e32 v0, 0, v0
	ds_read2_b32 v[2:3], v0 offset0:64 offset1:65
	s_waitcnt vmcnt(0)
	ds_read2st64_b32 v[4:5], v4 offset1:17
	ds_read_b32 v0, v0 offset:4608
	s_waitcnt lgkmcnt(1)
	v_cvt_f32_f16_sdwa v9, v4 dst_sel:DWORD dst_unused:UNUSED_PAD src0_sel:WORD_1
	v_cvt_f32_f16_e32 v8, v4
	v_cvt_f32_f16_sdwa v11, v5 dst_sel:DWORD dst_unused:UNUSED_PAD src0_sel:WORD_1
	v_cvt_f32_f16_e32 v10, v5
	v_pk_fma_f32 v[8:9], v[2:3], v[8:9], 0 op_sel_hi:[0,1,0]
	s_waitcnt lgkmcnt(0)
	v_pk_fma_f32 v[0:1], v[0:1], v[10:11], v[8:9] op_sel_hi:[0,1,1]
	v_div_scale_f32 v2, s[44:45], v3, v3, v1
	v_rcp_f32_e32 v4, v2
	v_fma_f32 v5, -v2, v4, 1.0
	v_fmac_f32_e32 v4, v5, v4
	v_div_scale_f32 v5, vcc, v1, v3, v1
	v_mul_f32_e32 v8, v5, v4
	v_fma_f32 v9, -v2, v8, v5
	v_fmac_f32_e32 v8, v9, v4
	v_fma_f32 v2, -v2, v8, v5
	v_div_fmas_f32 v2, v2, v4, v8
	v_div_fixup_f32 v1, v2, v3, v1
	v_div_scale_f32 v2, s[44:45], v3, v3, v0
	v_rcp_f32_e32 v4, v2
	v_fma_f32 v5, -v2, v4, 1.0
	v_fmac_f32_e32 v4, v5, v4
	v_div_scale_f32 v5, vcc, v0, v3, v0
	v_mul_f32_e32 v8, v5, v4
	v_fma_f32 v9, -v2, v8, v5
	v_fmac_f32_e32 v8, v9, v4
	v_fma_f32 v2, -v2, v8, v5
	v_div_fmas_f32 v2, v2, v4, v8
	v_div_fixup_f32 v0, v2, v3, v0
	global_store_dwordx2 v[6:7], v[0:1], off
	v_mov_b32_e32 v0, 0
.LBB29_434:                             ;   in Loop: Header=BB29_14 Depth=1
	s_or_b64 exec, exec, s[42:43]
	v_cmp_gt_i32_e32 vcc, s89, v0
	s_mov_b64 s[42:43], -1
	s_and_saveexec_b64 s[44:45], vcc
; %bb.435:                              ;   in Loop: Header=BB29_14 Depth=1
	v_cmp_eq_u32_e32 vcc, 0, v0
	s_orn2_b64 s[42:43], vcc, exec
; %bb.436:                              ;   in Loop: Header=BB29_14 Depth=1
	s_or_b64 exec, exec, s[44:45]
	s_and_b64 exec, exec, s[42:43]
	s_cbranch_execz .LBB29_12
; %bb.437:                              ;   in Loop: Header=BB29_14 Depth=1
	buffer_load_dword v0, off, s[0:3], 0 offset:268 ; 4-byte Folded Reload
	s_waitcnt vmcnt(0)
	v_add_u32_e32 v1, s71, v0
	v_cmp_gt_i32_e32 vcc, s84, v1
	v_mov_b32_e32 v0, 0x47
	s_and_saveexec_b64 s[42:43], vcc
	s_cbranch_execz .LBB29_439
; %bb.438:                              ;   in Loop: Header=BB29_14 Depth=1
	buffer_load_dword v0, off, s[0:3], 0 offset:272 ; 4-byte Folded Reload
	buffer_load_dword v4, off, s[0:3], 0 offset:276 ; 4-byte Folded Reload
	v_readlane_b32 s34, v255, 1
	v_add_u32_e32 v6, 64, v42
	v_mad_u64_u32 v[6:7], s[44:45], v1, s34, v[6:7]
	v_ashrrev_i32_e32 v7, 31, v6
	v_lshlrev_b64 v[6:7], 3, v[6:7]
	v_readlane_b32 s34, v255, 18
	v_add_co_u32_e32 v6, vcc, s34, v6
	v_readlane_b32 s34, v255, 19
	v_mov_b32_e32 v1, s34
	v_addc_co_u32_e32 v7, vcc, v1, v7, vcc
	s_waitcnt vmcnt(1)
	v_add_u32_e32 v0, 0, v0
	ds_read2_b32 v[2:3], v0 offset0:64 offset1:65
	s_waitcnt vmcnt(0)
	ds_read2st64_b32 v[4:5], v4 offset1:17
	ds_read_b32 v0, v0 offset:4608
	s_waitcnt lgkmcnt(1)
	v_cvt_f32_f16_sdwa v9, v4 dst_sel:DWORD dst_unused:UNUSED_PAD src0_sel:WORD_1
	v_cvt_f32_f16_e32 v8, v4
	v_cvt_f32_f16_sdwa v11, v5 dst_sel:DWORD dst_unused:UNUSED_PAD src0_sel:WORD_1
	v_cvt_f32_f16_e32 v10, v5
	v_pk_fma_f32 v[8:9], v[2:3], v[8:9], 0 op_sel_hi:[0,1,0]
	s_waitcnt lgkmcnt(0)
	v_pk_fma_f32 v[0:1], v[0:1], v[10:11], v[8:9] op_sel_hi:[0,1,1]
	v_div_scale_f32 v2, s[44:45], v3, v3, v1
	v_rcp_f32_e32 v4, v2
	v_fma_f32 v5, -v2, v4, 1.0
	v_fmac_f32_e32 v4, v5, v4
	v_div_scale_f32 v5, vcc, v1, v3, v1
	v_mul_f32_e32 v8, v5, v4
	v_fma_f32 v9, -v2, v8, v5
	v_fmac_f32_e32 v8, v9, v4
	v_fma_f32 v2, -v2, v8, v5
	v_div_fmas_f32 v2, v2, v4, v8
	v_div_fixup_f32 v1, v2, v3, v1
	v_div_scale_f32 v2, s[44:45], v3, v3, v0
	v_rcp_f32_e32 v4, v2
	v_fma_f32 v5, -v2, v4, 1.0
	v_fmac_f32_e32 v4, v5, v4
	v_div_scale_f32 v5, vcc, v0, v3, v0
	v_mul_f32_e32 v8, v5, v4
	v_fma_f32 v9, -v2, v8, v5
	v_fmac_f32_e32 v8, v9, v4
	v_fma_f32 v2, -v2, v8, v5
	v_div_fmas_f32 v2, v2, v4, v8
	v_div_fixup_f32 v0, v2, v3, v0
	global_store_dwordx2 v[6:7], v[0:1], off
	v_mov_b32_e32 v0, 0
.LBB29_439:                             ;   in Loop: Header=BB29_14 Depth=1
	s_or_b64 exec, exec, s[42:43]
	v_cmp_gt_i32_e32 vcc, s89, v0
	s_mov_b64 s[42:43], -1
	s_and_saveexec_b64 s[44:45], vcc
; %bb.440:                              ;   in Loop: Header=BB29_14 Depth=1
	v_cmp_eq_u32_e32 vcc, 0, v0
	s_orn2_b64 s[42:43], vcc, exec
; %bb.441:                              ;   in Loop: Header=BB29_14 Depth=1
	s_or_b64 exec, exec, s[44:45]
	s_and_b64 exec, exec, s[42:43]
	s_cbranch_execz .LBB29_12
; %bb.442:                              ;   in Loop: Header=BB29_14 Depth=1
	buffer_load_dword v0, off, s[0:3], 0 offset:280 ; 4-byte Folded Reload
	s_waitcnt vmcnt(0)
	v_add_u32_e32 v1, s71, v0
	v_cmp_gt_i32_e32 vcc, s84, v1
	v_mov_b32_e32 v0, 0x47
	s_and_saveexec_b64 s[42:43], vcc
	s_cbranch_execz .LBB29_444
; %bb.443:                              ;   in Loop: Header=BB29_14 Depth=1
	buffer_load_dword v0, off, s[0:3], 0 offset:284 ; 4-byte Folded Reload
	buffer_load_dword v4, off, s[0:3], 0 offset:288 ; 4-byte Folded Reload
	v_readlane_b32 s34, v255, 1
	v_add_u32_e32 v6, 64, v42
	v_mad_u64_u32 v[6:7], s[44:45], v1, s34, v[6:7]
	v_ashrrev_i32_e32 v7, 31, v6
	v_lshlrev_b64 v[6:7], 3, v[6:7]
	v_readlane_b32 s34, v255, 18
	v_add_co_u32_e32 v6, vcc, s34, v6
	v_readlane_b32 s34, v255, 19
	v_mov_b32_e32 v1, s34
	v_addc_co_u32_e32 v7, vcc, v1, v7, vcc
	s_waitcnt vmcnt(1)
	v_add_u32_e32 v0, 0, v0
	ds_read2_b32 v[2:3], v0 offset0:64 offset1:65
	s_waitcnt vmcnt(0)
	ds_read2st64_b32 v[4:5], v4 offset1:17
	ds_read_b32 v0, v0 offset:4608
	s_waitcnt lgkmcnt(1)
	v_cvt_f32_f16_sdwa v9, v4 dst_sel:DWORD dst_unused:UNUSED_PAD src0_sel:WORD_1
	v_cvt_f32_f16_e32 v8, v4
	v_cvt_f32_f16_sdwa v11, v5 dst_sel:DWORD dst_unused:UNUSED_PAD src0_sel:WORD_1
	v_cvt_f32_f16_e32 v10, v5
	v_pk_fma_f32 v[8:9], v[2:3], v[8:9], 0 op_sel_hi:[0,1,0]
	s_waitcnt lgkmcnt(0)
	v_pk_fma_f32 v[0:1], v[0:1], v[10:11], v[8:9] op_sel_hi:[0,1,1]
	v_div_scale_f32 v2, s[44:45], v3, v3, v1
	v_rcp_f32_e32 v4, v2
	v_fma_f32 v5, -v2, v4, 1.0
	v_fmac_f32_e32 v4, v5, v4
	v_div_scale_f32 v5, vcc, v1, v3, v1
	v_mul_f32_e32 v8, v5, v4
	v_fma_f32 v9, -v2, v8, v5
	v_fmac_f32_e32 v8, v9, v4
	v_fma_f32 v2, -v2, v8, v5
	v_div_fmas_f32 v2, v2, v4, v8
	v_div_fixup_f32 v1, v2, v3, v1
	v_div_scale_f32 v2, s[44:45], v3, v3, v0
	v_rcp_f32_e32 v4, v2
	v_fma_f32 v5, -v2, v4, 1.0
	v_fmac_f32_e32 v4, v5, v4
	v_div_scale_f32 v5, vcc, v0, v3, v0
	v_mul_f32_e32 v8, v5, v4
	v_fma_f32 v9, -v2, v8, v5
	v_fmac_f32_e32 v8, v9, v4
	v_fma_f32 v2, -v2, v8, v5
	v_div_fmas_f32 v2, v2, v4, v8
	v_div_fixup_f32 v0, v2, v3, v0
	global_store_dwordx2 v[6:7], v[0:1], off
	v_mov_b32_e32 v0, 0
.LBB29_444:                             ;   in Loop: Header=BB29_14 Depth=1
	s_or_b64 exec, exec, s[42:43]
	v_cmp_gt_i32_e32 vcc, s89, v0
	s_mov_b64 s[42:43], -1
	s_and_saveexec_b64 s[44:45], vcc
; %bb.445:                              ;   in Loop: Header=BB29_14 Depth=1
	v_cmp_eq_u32_e32 vcc, 0, v0
	s_orn2_b64 s[42:43], vcc, exec
; %bb.446:                              ;   in Loop: Header=BB29_14 Depth=1
	s_or_b64 exec, exec, s[44:45]
	s_and_b64 exec, exec, s[42:43]
	s_cbranch_execz .LBB29_12
; %bb.447:                              ;   in Loop: Header=BB29_14 Depth=1
	buffer_load_dword v0, off, s[0:3], 0 offset:292 ; 4-byte Folded Reload
	s_waitcnt vmcnt(0)
	v_add_u32_e32 v1, s71, v0
	v_cmp_gt_i32_e32 vcc, s84, v1
	v_mov_b32_e32 v0, 0x47
	s_and_saveexec_b64 s[42:43], vcc
	s_cbranch_execz .LBB29_449
; %bb.448:                              ;   in Loop: Header=BB29_14 Depth=1
	buffer_load_dword v0, off, s[0:3], 0 offset:296 ; 4-byte Folded Reload
	buffer_load_dword v4, off, s[0:3], 0 offset:300 ; 4-byte Folded Reload
	v_readlane_b32 s34, v255, 1
	v_add_u32_e32 v6, 64, v42
	v_mad_u64_u32 v[6:7], s[44:45], v1, s34, v[6:7]
	v_ashrrev_i32_e32 v7, 31, v6
	v_lshlrev_b64 v[6:7], 3, v[6:7]
	v_readlane_b32 s34, v255, 18
	v_add_co_u32_e32 v6, vcc, s34, v6
	v_readlane_b32 s34, v255, 19
	v_mov_b32_e32 v1, s34
	v_addc_co_u32_e32 v7, vcc, v1, v7, vcc
	s_waitcnt vmcnt(1)
	v_add_u32_e32 v0, 0, v0
	ds_read2_b32 v[2:3], v0 offset0:64 offset1:65
	s_waitcnt vmcnt(0)
	ds_read2st64_b32 v[4:5], v4 offset1:17
	ds_read_b32 v0, v0 offset:4608
	s_waitcnt lgkmcnt(1)
	v_cvt_f32_f16_sdwa v9, v4 dst_sel:DWORD dst_unused:UNUSED_PAD src0_sel:WORD_1
	v_cvt_f32_f16_e32 v8, v4
	v_cvt_f32_f16_sdwa v11, v5 dst_sel:DWORD dst_unused:UNUSED_PAD src0_sel:WORD_1
	v_cvt_f32_f16_e32 v10, v5
	v_pk_fma_f32 v[8:9], v[2:3], v[8:9], 0 op_sel_hi:[0,1,0]
	s_waitcnt lgkmcnt(0)
	v_pk_fma_f32 v[0:1], v[0:1], v[10:11], v[8:9] op_sel_hi:[0,1,1]
	v_div_scale_f32 v2, s[44:45], v3, v3, v1
	v_rcp_f32_e32 v4, v2
	v_fma_f32 v5, -v2, v4, 1.0
	v_fmac_f32_e32 v4, v5, v4
	v_div_scale_f32 v5, vcc, v1, v3, v1
	v_mul_f32_e32 v8, v5, v4
	v_fma_f32 v9, -v2, v8, v5
	v_fmac_f32_e32 v8, v9, v4
	v_fma_f32 v2, -v2, v8, v5
	v_div_fmas_f32 v2, v2, v4, v8
	v_div_fixup_f32 v1, v2, v3, v1
	v_div_scale_f32 v2, s[44:45], v3, v3, v0
	v_rcp_f32_e32 v4, v2
	v_fma_f32 v5, -v2, v4, 1.0
	v_fmac_f32_e32 v4, v5, v4
	v_div_scale_f32 v5, vcc, v0, v3, v0
	v_mul_f32_e32 v8, v5, v4
	v_fma_f32 v9, -v2, v8, v5
	v_fmac_f32_e32 v8, v9, v4
	v_fma_f32 v2, -v2, v8, v5
	v_div_fmas_f32 v2, v2, v4, v8
	v_div_fixup_f32 v0, v2, v3, v0
	global_store_dwordx2 v[6:7], v[0:1], off
	v_mov_b32_e32 v0, 0
.LBB29_449:                             ;   in Loop: Header=BB29_14 Depth=1
	s_or_b64 exec, exec, s[42:43]
	v_cmp_gt_i32_e32 vcc, s89, v0
	s_mov_b64 s[42:43], -1
	s_and_saveexec_b64 s[44:45], vcc
; %bb.450:                              ;   in Loop: Header=BB29_14 Depth=1
	v_cmp_eq_u32_e32 vcc, 0, v0
	s_orn2_b64 s[42:43], vcc, exec
; %bb.451:                              ;   in Loop: Header=BB29_14 Depth=1
	s_or_b64 exec, exec, s[44:45]
	s_and_b64 exec, exec, s[42:43]
	s_cbranch_execz .LBB29_12
; %bb.452:                              ;   in Loop: Header=BB29_14 Depth=1
	buffer_load_dword v0, off, s[0:3], 0 offset:304 ; 4-byte Folded Reload
	s_waitcnt vmcnt(0)
	v_add_u32_e32 v1, s71, v0
	v_cmp_gt_i32_e32 vcc, s84, v1
	v_mov_b32_e32 v0, 0x47
	s_and_saveexec_b64 s[42:43], vcc
	s_cbranch_execz .LBB29_454
; %bb.453:                              ;   in Loop: Header=BB29_14 Depth=1
	buffer_load_dword v0, off, s[0:3], 0 offset:308 ; 4-byte Folded Reload
	buffer_load_dword v4, off, s[0:3], 0 offset:312 ; 4-byte Folded Reload
	v_readlane_b32 s34, v255, 1
	v_add_u32_e32 v6, 64, v42
	v_mad_u64_u32 v[6:7], s[44:45], v1, s34, v[6:7]
	v_ashrrev_i32_e32 v7, 31, v6
	v_lshlrev_b64 v[6:7], 3, v[6:7]
	v_readlane_b32 s34, v255, 18
	v_add_co_u32_e32 v6, vcc, s34, v6
	v_readlane_b32 s34, v255, 19
	v_mov_b32_e32 v1, s34
	v_addc_co_u32_e32 v7, vcc, v1, v7, vcc
	s_waitcnt vmcnt(1)
	v_add_u32_e32 v0, 0, v0
	ds_read2_b32 v[2:3], v0 offset0:64 offset1:65
	s_waitcnt vmcnt(0)
	ds_read2st64_b32 v[4:5], v4 offset1:17
	ds_read_b32 v0, v0 offset:4608
	s_waitcnt lgkmcnt(1)
	v_cvt_f32_f16_sdwa v9, v4 dst_sel:DWORD dst_unused:UNUSED_PAD src0_sel:WORD_1
	v_cvt_f32_f16_e32 v8, v4
	v_cvt_f32_f16_sdwa v11, v5 dst_sel:DWORD dst_unused:UNUSED_PAD src0_sel:WORD_1
	v_cvt_f32_f16_e32 v10, v5
	v_pk_fma_f32 v[8:9], v[2:3], v[8:9], 0 op_sel_hi:[0,1,0]
	s_waitcnt lgkmcnt(0)
	v_pk_fma_f32 v[0:1], v[0:1], v[10:11], v[8:9] op_sel_hi:[0,1,1]
	v_div_scale_f32 v2, s[44:45], v3, v3, v1
	v_rcp_f32_e32 v4, v2
	v_fma_f32 v5, -v2, v4, 1.0
	v_fmac_f32_e32 v4, v5, v4
	v_div_scale_f32 v5, vcc, v1, v3, v1
	v_mul_f32_e32 v8, v5, v4
	v_fma_f32 v9, -v2, v8, v5
	v_fmac_f32_e32 v8, v9, v4
	v_fma_f32 v2, -v2, v8, v5
	v_div_fmas_f32 v2, v2, v4, v8
	v_div_fixup_f32 v1, v2, v3, v1
	v_div_scale_f32 v2, s[44:45], v3, v3, v0
	v_rcp_f32_e32 v4, v2
	v_fma_f32 v5, -v2, v4, 1.0
	v_fmac_f32_e32 v4, v5, v4
	v_div_scale_f32 v5, vcc, v0, v3, v0
	v_mul_f32_e32 v8, v5, v4
	v_fma_f32 v9, -v2, v8, v5
	v_fmac_f32_e32 v8, v9, v4
	v_fma_f32 v2, -v2, v8, v5
	v_div_fmas_f32 v2, v2, v4, v8
	v_div_fixup_f32 v0, v2, v3, v0
	global_store_dwordx2 v[6:7], v[0:1], off
	v_mov_b32_e32 v0, 0
.LBB29_454:                             ;   in Loop: Header=BB29_14 Depth=1
	s_or_b64 exec, exec, s[42:43]
	v_cmp_gt_i32_e32 vcc, s89, v0
	s_mov_b64 s[42:43], -1
	s_and_saveexec_b64 s[44:45], vcc
; %bb.455:                              ;   in Loop: Header=BB29_14 Depth=1
	v_cmp_eq_u32_e32 vcc, 0, v0
	s_orn2_b64 s[42:43], vcc, exec
; %bb.456:                              ;   in Loop: Header=BB29_14 Depth=1
	s_or_b64 exec, exec, s[44:45]
	s_and_b64 exec, exec, s[42:43]
	s_cbranch_execz .LBB29_12
; %bb.457:                              ;   in Loop: Header=BB29_14 Depth=1
	buffer_load_dword v0, off, s[0:3], 0 offset:316 ; 4-byte Folded Reload
	s_waitcnt vmcnt(0)
	v_add_u32_e32 v1, s71, v0
	v_cmp_gt_i32_e32 vcc, s84, v1
	v_mov_b32_e32 v0, 0x47
	s_and_saveexec_b64 s[42:43], vcc
	s_cbranch_execz .LBB29_459
; %bb.458:                              ;   in Loop: Header=BB29_14 Depth=1
	buffer_load_dword v0, off, s[0:3], 0 offset:320 ; 4-byte Folded Reload
	buffer_load_dword v4, off, s[0:3], 0 offset:324 ; 4-byte Folded Reload
	v_readlane_b32 s34, v255, 1
	v_add_u32_e32 v6, 64, v42
	v_mad_u64_u32 v[6:7], s[44:45], v1, s34, v[6:7]
	v_ashrrev_i32_e32 v7, 31, v6
	v_lshlrev_b64 v[6:7], 3, v[6:7]
	v_readlane_b32 s34, v255, 18
	v_add_co_u32_e32 v6, vcc, s34, v6
	v_readlane_b32 s34, v255, 19
	v_mov_b32_e32 v1, s34
	v_addc_co_u32_e32 v7, vcc, v1, v7, vcc
	s_waitcnt vmcnt(1)
	v_add_u32_e32 v0, 0, v0
	ds_read2_b32 v[2:3], v0 offset0:64 offset1:65
	s_waitcnt vmcnt(0)
	ds_read2st64_b32 v[4:5], v4 offset1:17
	ds_read_b32 v0, v0 offset:4608
	s_waitcnt lgkmcnt(1)
	v_cvt_f32_f16_sdwa v9, v4 dst_sel:DWORD dst_unused:UNUSED_PAD src0_sel:WORD_1
	v_cvt_f32_f16_e32 v8, v4
	v_cvt_f32_f16_sdwa v11, v5 dst_sel:DWORD dst_unused:UNUSED_PAD src0_sel:WORD_1
	v_cvt_f32_f16_e32 v10, v5
	v_pk_fma_f32 v[8:9], v[2:3], v[8:9], 0 op_sel_hi:[0,1,0]
	s_waitcnt lgkmcnt(0)
	v_pk_fma_f32 v[0:1], v[0:1], v[10:11], v[8:9] op_sel_hi:[0,1,1]
	v_div_scale_f32 v2, s[44:45], v3, v3, v1
	v_rcp_f32_e32 v4, v2
	v_fma_f32 v5, -v2, v4, 1.0
	v_fmac_f32_e32 v4, v5, v4
	v_div_scale_f32 v5, vcc, v1, v3, v1
	v_mul_f32_e32 v8, v5, v4
	v_fma_f32 v9, -v2, v8, v5
	v_fmac_f32_e32 v8, v9, v4
	v_fma_f32 v2, -v2, v8, v5
	v_div_fmas_f32 v2, v2, v4, v8
	v_div_fixup_f32 v1, v2, v3, v1
	v_div_scale_f32 v2, s[44:45], v3, v3, v0
	v_rcp_f32_e32 v4, v2
	v_fma_f32 v5, -v2, v4, 1.0
	v_fmac_f32_e32 v4, v5, v4
	v_div_scale_f32 v5, vcc, v0, v3, v0
	v_mul_f32_e32 v8, v5, v4
	v_fma_f32 v9, -v2, v8, v5
	v_fmac_f32_e32 v8, v9, v4
	v_fma_f32 v2, -v2, v8, v5
	v_div_fmas_f32 v2, v2, v4, v8
	v_div_fixup_f32 v0, v2, v3, v0
	global_store_dwordx2 v[6:7], v[0:1], off
	v_mov_b32_e32 v0, 0
.LBB29_459:                             ;   in Loop: Header=BB29_14 Depth=1
	s_or_b64 exec, exec, s[42:43]
	v_cmp_gt_i32_e32 vcc, s89, v0
	s_mov_b64 s[42:43], -1
	s_and_saveexec_b64 s[44:45], vcc
; %bb.460:                              ;   in Loop: Header=BB29_14 Depth=1
	v_cmp_eq_u32_e32 vcc, 0, v0
	s_orn2_b64 s[42:43], vcc, exec
; %bb.461:                              ;   in Loop: Header=BB29_14 Depth=1
	s_or_b64 exec, exec, s[44:45]
	s_and_b64 exec, exec, s[42:43]
	s_cbranch_execz .LBB29_12
; %bb.462:                              ;   in Loop: Header=BB29_14 Depth=1
	buffer_load_dword v0, off, s[0:3], 0 offset:328 ; 4-byte Folded Reload
	s_waitcnt vmcnt(0)
	v_add_u32_e32 v1, s71, v0
	v_cmp_gt_i32_e32 vcc, s84, v1
	v_mov_b32_e32 v0, 0x47
	s_and_saveexec_b64 s[42:43], vcc
	s_cbranch_execz .LBB29_464
; %bb.463:                              ;   in Loop: Header=BB29_14 Depth=1
	buffer_load_dword v0, off, s[0:3], 0 offset:332 ; 4-byte Folded Reload
	buffer_load_dword v4, off, s[0:3], 0 offset:336 ; 4-byte Folded Reload
	v_readlane_b32 s34, v255, 1
	v_add_u32_e32 v6, 64, v42
	v_mad_u64_u32 v[6:7], s[44:45], v1, s34, v[6:7]
	v_ashrrev_i32_e32 v7, 31, v6
	v_lshlrev_b64 v[6:7], 3, v[6:7]
	v_readlane_b32 s34, v255, 18
	v_add_co_u32_e32 v6, vcc, s34, v6
	v_readlane_b32 s34, v255, 19
	v_mov_b32_e32 v1, s34
	v_addc_co_u32_e32 v7, vcc, v1, v7, vcc
	s_waitcnt vmcnt(1)
	v_add_u32_e32 v0, 0, v0
	ds_read2_b32 v[2:3], v0 offset0:64 offset1:65
	s_waitcnt vmcnt(0)
	ds_read2st64_b32 v[4:5], v4 offset1:17
	ds_read_b32 v0, v0 offset:4608
	s_waitcnt lgkmcnt(1)
	v_cvt_f32_f16_sdwa v9, v4 dst_sel:DWORD dst_unused:UNUSED_PAD src0_sel:WORD_1
	v_cvt_f32_f16_e32 v8, v4
	v_cvt_f32_f16_sdwa v11, v5 dst_sel:DWORD dst_unused:UNUSED_PAD src0_sel:WORD_1
	v_cvt_f32_f16_e32 v10, v5
	v_pk_fma_f32 v[8:9], v[2:3], v[8:9], 0 op_sel_hi:[0,1,0]
	s_waitcnt lgkmcnt(0)
	v_pk_fma_f32 v[0:1], v[0:1], v[10:11], v[8:9] op_sel_hi:[0,1,1]
	v_div_scale_f32 v2, s[44:45], v3, v3, v1
	v_rcp_f32_e32 v4, v2
	v_fma_f32 v5, -v2, v4, 1.0
	v_fmac_f32_e32 v4, v5, v4
	v_div_scale_f32 v5, vcc, v1, v3, v1
	v_mul_f32_e32 v8, v5, v4
	v_fma_f32 v9, -v2, v8, v5
	v_fmac_f32_e32 v8, v9, v4
	v_fma_f32 v2, -v2, v8, v5
	v_div_fmas_f32 v2, v2, v4, v8
	v_div_fixup_f32 v1, v2, v3, v1
	v_div_scale_f32 v2, s[44:45], v3, v3, v0
	v_rcp_f32_e32 v4, v2
	v_fma_f32 v5, -v2, v4, 1.0
	v_fmac_f32_e32 v4, v5, v4
	v_div_scale_f32 v5, vcc, v0, v3, v0
	v_mul_f32_e32 v8, v5, v4
	v_fma_f32 v9, -v2, v8, v5
	v_fmac_f32_e32 v8, v9, v4
	v_fma_f32 v2, -v2, v8, v5
	v_div_fmas_f32 v2, v2, v4, v8
	v_div_fixup_f32 v0, v2, v3, v0
	global_store_dwordx2 v[6:7], v[0:1], off
	v_mov_b32_e32 v0, 0
.LBB29_464:                             ;   in Loop: Header=BB29_14 Depth=1
	s_or_b64 exec, exec, s[42:43]
	v_cmp_gt_i32_e32 vcc, s89, v0
	s_mov_b64 s[42:43], -1
	s_and_saveexec_b64 s[44:45], vcc
; %bb.465:                              ;   in Loop: Header=BB29_14 Depth=1
	v_cmp_eq_u32_e32 vcc, 0, v0
	s_orn2_b64 s[42:43], vcc, exec
; %bb.466:                              ;   in Loop: Header=BB29_14 Depth=1
	s_or_b64 exec, exec, s[44:45]
	s_and_b64 exec, exec, s[42:43]
	s_cbranch_execz .LBB29_12
; %bb.467:                              ;   in Loop: Header=BB29_14 Depth=1
	buffer_load_dword v0, off, s[0:3], 0 offset:340 ; 4-byte Folded Reload
	s_waitcnt vmcnt(0)
	v_add_u32_e32 v1, s71, v0
	v_cmp_gt_i32_e32 vcc, s84, v1
	v_mov_b32_e32 v0, 0x47
	s_and_saveexec_b64 s[42:43], vcc
	s_cbranch_execz .LBB29_469
; %bb.468:                              ;   in Loop: Header=BB29_14 Depth=1
	buffer_load_dword v0, off, s[0:3], 0 offset:344 ; 4-byte Folded Reload
	buffer_load_dword v4, off, s[0:3], 0 offset:348 ; 4-byte Folded Reload
	v_readlane_b32 s34, v255, 1
	v_add_u32_e32 v6, 64, v42
	v_mad_u64_u32 v[6:7], s[44:45], v1, s34, v[6:7]
	v_ashrrev_i32_e32 v7, 31, v6
	v_lshlrev_b64 v[6:7], 3, v[6:7]
	v_readlane_b32 s34, v255, 18
	v_add_co_u32_e32 v6, vcc, s34, v6
	v_readlane_b32 s34, v255, 19
	v_mov_b32_e32 v1, s34
	v_addc_co_u32_e32 v7, vcc, v1, v7, vcc
	s_waitcnt vmcnt(1)
	v_add_u32_e32 v0, 0, v0
	ds_read2_b32 v[2:3], v0 offset0:64 offset1:65
	s_waitcnt vmcnt(0)
	ds_read2st64_b32 v[4:5], v4 offset1:17
	ds_read_b32 v0, v0 offset:4608
	s_waitcnt lgkmcnt(1)
	v_cvt_f32_f16_sdwa v9, v4 dst_sel:DWORD dst_unused:UNUSED_PAD src0_sel:WORD_1
	v_cvt_f32_f16_e32 v8, v4
	v_cvt_f32_f16_sdwa v11, v5 dst_sel:DWORD dst_unused:UNUSED_PAD src0_sel:WORD_1
	v_cvt_f32_f16_e32 v10, v5
	v_pk_fma_f32 v[8:9], v[2:3], v[8:9], 0 op_sel_hi:[0,1,0]
	s_waitcnt lgkmcnt(0)
	v_pk_fma_f32 v[0:1], v[0:1], v[10:11], v[8:9] op_sel_hi:[0,1,1]
	v_div_scale_f32 v2, s[44:45], v3, v3, v1
	v_rcp_f32_e32 v4, v2
	v_fma_f32 v5, -v2, v4, 1.0
	v_fmac_f32_e32 v4, v5, v4
	v_div_scale_f32 v5, vcc, v1, v3, v1
	v_mul_f32_e32 v8, v5, v4
	v_fma_f32 v9, -v2, v8, v5
	v_fmac_f32_e32 v8, v9, v4
	v_fma_f32 v2, -v2, v8, v5
	v_div_fmas_f32 v2, v2, v4, v8
	v_div_fixup_f32 v1, v2, v3, v1
	v_div_scale_f32 v2, s[44:45], v3, v3, v0
	v_rcp_f32_e32 v4, v2
	v_fma_f32 v5, -v2, v4, 1.0
	v_fmac_f32_e32 v4, v5, v4
	v_div_scale_f32 v5, vcc, v0, v3, v0
	v_mul_f32_e32 v8, v5, v4
	v_fma_f32 v9, -v2, v8, v5
	v_fmac_f32_e32 v8, v9, v4
	v_fma_f32 v2, -v2, v8, v5
	v_div_fmas_f32 v2, v2, v4, v8
	v_div_fixup_f32 v0, v2, v3, v0
	global_store_dwordx2 v[6:7], v[0:1], off
	v_mov_b32_e32 v0, 0
.LBB29_469:                             ;   in Loop: Header=BB29_14 Depth=1
	s_or_b64 exec, exec, s[42:43]
	v_cmp_gt_i32_e32 vcc, s89, v0
	s_mov_b64 s[42:43], -1
	s_and_saveexec_b64 s[44:45], vcc
; %bb.470:                              ;   in Loop: Header=BB29_14 Depth=1
	v_cmp_eq_u32_e32 vcc, 0, v0
	s_orn2_b64 s[42:43], vcc, exec
; %bb.471:                              ;   in Loop: Header=BB29_14 Depth=1
	s_or_b64 exec, exec, s[44:45]
	s_and_b64 exec, exec, s[42:43]
	s_cbranch_execz .LBB29_12
; %bb.472:                              ;   in Loop: Header=BB29_14 Depth=1
	buffer_load_dword v0, off, s[0:3], 0 offset:352 ; 4-byte Folded Reload
	s_waitcnt vmcnt(0)
	v_add_u32_e32 v0, s71, v0
	v_cmp_gt_i32_e32 vcc, s84, v0
	s_and_b64 exec, exec, vcc
	s_cbranch_execz .LBB29_12
; %bb.473:                              ;   in Loop: Header=BB29_14 Depth=1
	buffer_load_dword v1, off, s[0:3], 0 offset:356 ; 4-byte Folded Reload
	buffer_load_dword v4, off, s[0:3], 0 offset:360 ; 4-byte Folded Reload
	v_readlane_b32 s34, v255, 1
	v_add_u32_e32 v8, 64, v42
	s_waitcnt vmcnt(1)
	v_add_u32_e32 v1, 0, v1
	ds_read2_b32 v[2:3], v1 offset0:64 offset1:65
	s_waitcnt vmcnt(0)
	ds_read2st64_b32 v[4:5], v4 offset1:17
	ds_read_b32 v6, v1 offset:4608
	v_mad_u64_u32 v[0:1], s[42:43], v0, s34, v[8:9]
	v_ashrrev_i32_e32 v1, 31, v0
	s_waitcnt lgkmcnt(1)
	v_cvt_f32_f16_sdwa v9, v4 dst_sel:DWORD dst_unused:UNUSED_PAD src0_sel:WORD_1
	v_cvt_f32_f16_e32 v8, v4
	v_cvt_f32_f16_sdwa v11, v5 dst_sel:DWORD dst_unused:UNUSED_PAD src0_sel:WORD_1
	v_cvt_f32_f16_e32 v10, v5
	v_lshlrev_b64 v[0:1], 3, v[0:1]
	v_readlane_b32 s34, v255, 18
	v_add_co_u32_e32 v0, vcc, s34, v0
	v_readlane_b32 s34, v255, 19
	v_mov_b32_e32 v7, s34
	v_pk_fma_f32 v[8:9], v[2:3], v[8:9], 0 op_sel_hi:[0,1,0]
	s_waitcnt lgkmcnt(0)
	v_pk_fma_f32 v[4:5], v[6:7], v[10:11], v[8:9] op_sel_hi:[0,1,1]
	v_div_scale_f32 v2, s[42:43], v3, v3, v5
	v_rcp_f32_e32 v6, v2
	v_addc_co_u32_e32 v1, vcc, v7, v1, vcc
	v_fma_f32 v7, -v2, v6, 1.0
	v_fmac_f32_e32 v6, v7, v6
	v_div_scale_f32 v7, vcc, v5, v3, v5
	v_mul_f32_e32 v8, v7, v6
	v_fma_f32 v9, -v2, v8, v7
	v_fmac_f32_e32 v8, v9, v6
	v_fma_f32 v2, -v2, v8, v7
	v_div_fmas_f32 v2, v2, v6, v8
	v_div_fixup_f32 v5, v2, v3, v5
	v_div_scale_f32 v2, s[42:43], v3, v3, v4
	v_rcp_f32_e32 v6, v2
	v_fma_f32 v7, -v2, v6, 1.0
	v_fmac_f32_e32 v6, v7, v6
	v_div_scale_f32 v7, vcc, v4, v3, v4
	v_mul_f32_e32 v8, v7, v6
	v_fma_f32 v9, -v2, v8, v7
	v_fmac_f32_e32 v8, v9, v6
	v_fma_f32 v2, -v2, v8, v7
	v_div_fmas_f32 v2, v2, v6, v8
	v_div_fixup_f32 v4, v2, v3, v4
	global_store_dwordx2 v[0:1], v[4:5], off
	s_branch .LBB29_12
.LBB29_474:
	buffer_load_dword v108, off, s[0:3], 0 offset:220 ; 4-byte Folded Reload
	buffer_load_dword v244, off, s[0:3], 0 offset:224 ; 4-byte Folded Reload
	;; [unrolled: 1-line block ×4, first 2 shown]
	v_readlane_b32 s58, v254, 41
	v_readlane_b32 s12, v254, 24
	;; [unrolled: 1-line block ×26, first 2 shown]
	s_andn2_b64 vcc, exec, s[40:41]
	s_cbranch_vccnz .LBB29_10
.LBB29_475:
	v_readlane_b32 s10, v254, 7
	s_abs_i32 s4, s10
	v_cvt_f32_u32_e32 v0, s4
	s_sub_i32 s7, 0, s4
	s_abs_i32 s6, s94
	s_xor_b32 s5, s94, s10
	v_rcp_iflag_f32_e32 v0, v0
	s_ashr_i32 s5, s5, 31
	v_readlane_b32 s20, v254, 6
	v_readlane_b32 s11, v254, 3
	v_mul_f32_e32 v0, 0x4f7ffffe, v0
	v_cvt_u32_f32_e32 v0, v0
	v_readfirstlane_b32 s8, v0
	s_mul_i32 s7, s7, s8
	s_mul_hi_u32 s7, s8, s7
	s_add_i32 s8, s8, s7
	s_mul_hi_u32 s7, s6, s8
	s_mul_i32 s8, s7, s4
	s_sub_i32 s6, s6, s8
	s_add_i32 s9, s7, 1
	s_sub_i32 s8, s6, s4
	s_cmp_ge_u32 s6, s4
	s_cselect_b32 s7, s9, s7
	s_cselect_b32 s6, s8, s6
	s_add_i32 s8, s7, 1
	s_cmp_ge_u32 s6, s4
	s_cselect_b32 s4, s8, s7
	s_abs_i32 s6, s20
	v_cvt_f32_u32_e32 v0, s6
	s_xor_b32 s4, s4, s5
	s_sub_i32 s7, 0, s6
	s_sub_i32 s12, s4, s5
	v_rcp_iflag_f32_e32 v0, v0
	s_mul_i32 s4, s12, s10
	s_sub_i32 s4, s94, s4
	s_abs_i32 s8, s4
	v_mul_f32_e32 v0, 0x4f7ffffe, v0
	v_cvt_u32_f32_e32 v0, v0
	s_xor_b32 s5, s4, s20
	s_ashr_i32 s5, s5, 31
	v_readfirstlane_b32 s9, v0
	s_mul_i32 s7, s7, s9
	s_mul_hi_u32 s7, s9, s7
	s_add_i32 s9, s9, s7
	s_mul_hi_u32 s7, s8, s9
	s_mul_i32 s9, s7, s6
	s_sub_i32 s8, s8, s9
	s_add_i32 s10, s7, 1
	s_sub_i32 s9, s8, s6
	s_cmp_ge_u32 s8, s6
	s_cselect_b32 s7, s10, s7
	s_cselect_b32 s8, s9, s8
	s_add_i32 s9, s7, 1
	s_cmp_ge_u32 s8, s6
	s_cselect_b32 s6, s9, s7
	s_abs_i32 s7, s11
	v_cvt_f32_u32_e32 v0, s7
	s_xor_b32 s6, s6, s5
	s_sub_i32 s8, 0, s7
	s_sub_i32 s13, s6, s5
	v_rcp_iflag_f32_e32 v0, v0
	s_mul_i32 s5, s13, s20
	s_sub_i32 s5, s4, s5
	s_abs_i32 s6, s5
	v_mul_f32_e32 v0, 0x4f7ffffe, v0
	v_cvt_u32_f32_e32 v0, v0
	s_xor_b32 s4, s5, s11
	s_ashr_i32 s4, s4, 31
	v_readfirstlane_b32 s9, v0
	s_mul_i32 s8, s8, s9
	s_mul_hi_u32 s8, s9, s8
	s_add_i32 s9, s9, s8
	s_mul_hi_u32 s8, s6, s9
	s_mul_i32 s9, s8, s7
	s_sub_i32 s6, s6, s9
	s_add_i32 s10, s8, 1
	s_sub_i32 s9, s6, s7
	s_cmp_ge_u32 s6, s7
	s_cselect_b32 s8, s10, s8
	s_cselect_b32 s6, s9, s6
	s_add_i32 s9, s8, 1
	s_cmp_ge_u32 s6, s7
	s_cselect_b32 s6, s9, s8
	s_xor_b32 s6, s6, s4
	s_sub_i32 s4, s6, s4
	s_mul_i32 s6, s4, s11
	s_sub_i32 s5, s5, s6
	s_abs_i32 s16, s5
	s_ashr_i32 s14, s12, 31
	s_mul_hi_u32 s15, s16, s47
	s_cmp_eq_u64 s[18:19], 0
	s_mov_b64 s[8:9], 0
	s_cbranch_scc1 .LBB29_477
; %bb.476:
	s_abs_i32 s6, s42
	v_cvt_f32_u32_e32 v0, s6
	s_sub_i32 s8, 0, s6
	s_abs_i32 s7, s12
	v_readlane_b32 s10, v254, 15
	v_rcp_iflag_f32_e32 v0, v0
	v_readlane_b32 s11, v254, 16
	v_mul_f32_e32 v0, 0x4f7ffffe, v0
	v_cvt_u32_f32_e32 v0, v0
	v_readfirstlane_b32 s9, v0
	s_mul_i32 s8, s8, s9
	s_mul_hi_u32 s8, s9, s8
	s_add_i32 s9, s9, s8
	s_mul_hi_u32 s8, s7, s9
	s_mul_i32 s8, s8, s6
	s_sub_i32 s7, s7, s8
	s_sub_i32 s8, s7, s6
	s_cmp_ge_u32 s7, s6
	s_cselect_b32 s7, s8, s7
	s_sub_i32 s8, s7, s6
	s_cmp_ge_u32 s7, s6
	s_cselect_b32 s6, s8, s7
	s_xor_b32 s6, s6, s14
	s_sub_i32 s6, s6, s14
	s_ashr_i32 s7, s6, 31
	s_mul_i32 s8, s6, s11
	s_mul_hi_u32 s9, s6, s10
	s_add_i32 s8, s9, s8
	s_mul_i32 s7, s7, s10
	s_add_i32 s7, s8, s7
	s_mul_i32 s6, s6, s10
	s_add_u32 s8, s18, s6
	s_addc_u32 s9, s19, s7
.LBB29_477:
	s_ashr_i32 s18, s5, 31
	v_readlane_b32 s5, v254, 2
	s_mul_i32 s17, s13, s5
	s_add_i32 s17, s17, s4
	v_cmp_le_f32_e64 s[4:5], s37, 0
	s_and_b64 vcc, exec, s[4:5]
	v_mov_b32_e32 v40, 1.0
	s_cbranch_vccnz .LBB29_479
; %bb.478:
	v_readlane_b32 s5, v254, 12
	s_sub_i32 s4, s17, s5
	s_lshl_b32 s4, s4, 1
	s_add_i32 s6, s17, 1
	s_or_b32 s7, s4, 1
	s_cmp_lt_u32 s17, s5
	s_cselect_b64 vcc, -1, 0
	s_and_b64 s[4:5], vcc, exec
	v_mov_b32_e32 v0, s39
	v_mov_b32_e32 v1, s38
	s_cselect_b32 s4, s6, s7
	v_cndmask_b32_e32 v16, v0, v1, vcc
	v_cvt_f32_i32_e32 v0, s4
	v_cmp_neq_f32_e32 vcc, 1.0, v16
	s_mov_b32 s4, 0x3f2aaaab
	s_movk_i32 s6, 0x204
	v_cndmask_b32_e32 v17, 1.0, v0, vcc
	v_cmp_eq_f32_e32 vcc, 0, v17
	v_cndmask_b32_e64 v18, |v16|, 1.0, vcc
	v_frexp_mant_f32_e32 v0, v18
	v_cmp_gt_f32_e64 s[4:5], s4, v0
	v_cndmask_b32_e64 v1, 1.0, 2.0, s[4:5]
	v_mul_f32_e32 v0, v0, v1
	v_add_f32_e32 v3, 1.0, v0
	v_rcp_f32_e32 v8, v3
	v_add_f32_e32 v1, -1.0, v3
	v_sub_f32_e32 v5, v0, v1
	v_add_f32_e32 v1, -1.0, v0
	v_mul_f32_e32 v9, v1, v8
	v_mul_f32_e32 v2, v3, v9
	v_fma_f32 v4, v9, v3, -v2
	v_fmac_f32_e32 v4, v9, v5
	v_add_f32_e32 v0, v2, v4
	v_sub_f32_e32 v3, v1, v0
	v_pk_add_f32 v[6:7], v[0:1], v[2:3] neg_lo:[0,1] neg_hi:[0,1]
	v_mov_b32_e32 v5, v0
	v_pk_add_f32 v[0:1], v[6:7], v[4:5] neg_lo:[0,1] neg_hi:[0,1]
	v_add_f32_e32 v0, v0, v1
	v_add_f32_e32 v0, v3, v0
	v_mul_f32_e32 v1, v8, v0
	v_add_f32_e32 v0, v9, v1
	v_sub_f32_e32 v2, v0, v9
	v_sub_f32_e32 v10, v1, v2
	v_mul_f32_e32 v1, v0, v0
	v_fma_f32 v3, v0, v0, -v1
	v_add_f32_e32 v2, v10, v10
	v_fmac_f32_e32 v3, v0, v2
	v_add_f32_e32 v2, v1, v3
	v_mov_b32_e32 v4, 0x3e91f4c4
	v_fmac_f32_e32 v4, 0x3e76c4e1, v2
	v_mov_b32_e32 v5, 0x3ecccdef
	v_fmac_f32_e32 v5, v2, v4
	v_sub_f32_e32 v1, v2, v1
	v_sub_f32_e32 v11, v3, v1
	v_mul_f32_e32 v1, v2, v5
	v_fma_f32 v3, v2, v5, -v1
	v_fmac_f32_e32 v3, v11, v5
	v_add_f32_e32 v4, v1, v3
	v_add_f32_e32 v5, 0x3f2aaaaa, v4
	v_sub_f32_e32 v1, v4, v1
	v_sub_f32_e32 v1, v3, v1
	v_add_f32_e32 v3, 0xbf2aaaaa, v5
	v_add_f32_e32 v1, 0x31739010, v1
	v_sub_f32_e32 v3, v4, v3
	v_pk_mul_f32 v[6:7], v[0:1], v[2:3]
	v_fma_f32 v4, v2, v0, -v6
	v_pk_add_f32 v[8:9], v[0:1], v[2:3]
	v_fmac_f32_e32 v4, v2, v10
	v_mov_b32_e32 v7, v9
	v_fmac_f32_e32 v4, v11, v0
	v_pk_add_f32 v[2:3], v[6:7], v[4:5]
	v_sub_f32_e32 v1, v2, v6
	v_sub_f32_e32 v1, v4, v1
	;; [unrolled: 1-line block ×3, first 2 shown]
	v_add_f32_e32 v7, v9, v4
	v_mov_b32_e32 v4, v3
	v_pk_mul_f32 v[4:5], v[2:3], v[4:5]
	v_cvt_f64_f32_e32 v[8:9], v18
	v_frexp_exp_i32_f64_e32 v5, v[8:9]
	v_subbrev_co_u32_e64 v5, s[4:5], 0, v5, s[4:5]
	v_cvt_f32_i32_e32 v5, v5
	v_fma_f32 v6, v2, v3, -v4
	v_fmac_f32_e32 v6, v2, v7
	s_mov_b32 s4, 0x3f317218
	v_mul_f32_e32 v2, 0x3f317218, v5
	v_fmac_f32_e32 v6, v1, v3
	v_fma_f32 v8, v5, s4, -v2
	v_fmac_f32_e32 v8, 0xb102e308, v5
	v_ldexp_f32 v9, v0, 1
	v_add_f32_e32 v3, v4, v6
	v_pk_add_f32 v[0:1], v[2:3], v[8:9]
	v_ldexp_f32 v12, v10, 1
	v_mov_b32_e32 v10, v3
	v_mov_b32_e32 v11, v1
	;; [unrolled: 1-line block ×3, first 2 shown]
	v_pk_add_f32 v[4:5], v[10:11], v[4:5] neg_lo:[0,1] neg_hi:[0,1]
	v_mov_b32_e32 v7, v3
	v_pk_add_f32 v[4:5], v[6:7], v[4:5] neg_lo:[0,1] neg_hi:[0,1]
	v_add_f32_e32 v3, v12, v4
	v_add_f32_e32 v3, v3, v5
	v_pk_add_f32 v[4:5], v[0:1], v[2:3] neg_lo:[0,1] neg_hi:[0,1]
	v_pk_add_f32 v[6:7], v[0:1], v[2:3]
	v_mov_b32_e32 v10, v4
	v_mov_b32_e32 v11, v7
	;; [unrolled: 1-line block ×3, first 2 shown]
	v_pk_add_f32 v[10:11], v[8:9], v[10:11]
	v_mov_b32_e32 v2, v11
	v_pk_add_f32 v[12:13], v[2:3], v[0:1] neg_lo:[0,1] neg_hi:[0,1]
	v_mov_b32_e32 v13, v12
	v_mov_b32_e32 v10, v7
	;; [unrolled: 1-line block ×4, first 2 shown]
	v_pk_add_f32 v[4:5], v[8:9], v[4:5] neg_lo:[0,1] neg_hi:[0,1]
	v_pk_add_f32 v[14:15], v[6:7], v[12:13] neg_lo:[0,1] neg_hi:[0,1]
	;; [unrolled: 1-line block ×3, first 2 shown]
	v_mov_b32_e32 v8, v3
	v_pk_add_f32 v[0:1], v[8:9], v[0:1] neg_lo:[0,1] neg_hi:[0,1]
	v_mov_b32_e32 v14, v4
	v_pk_add_f32 v[6:7], v[14:15], v[0:1]
	v_mov_b32_e32 v8, v7
	v_pk_add_f32 v[8:9], v[6:7], v[8:9]
	v_pk_add_f32 v[2:3], v[2:3], v[8:9]
	v_mov_b32_e32 v5, v11
	v_mov_b32_e32 v7, v2
	v_pk_add_f32 v[10:11], v[6:7], v[4:5] neg_lo:[0,1] neg_hi:[0,1]
	v_mov_b32_e32 v1, v8
	v_sub_f32_e32 v3, v6, v10
	v_pk_add_f32 v[0:1], v[0:1], v[10:11] neg_lo:[0,1] neg_hi:[0,1]
	v_sub_f32_e32 v3, v4, v3
	v_add_f32_e32 v0, v0, v3
	v_add_f32_e32 v0, v0, v1
	;; [unrolled: 1-line block ×3, first 2 shown]
	v_sub_f32_e32 v2, v1, v2
	v_sub_f32_e32 v0, v0, v2
	v_mul_f32_e32 v2, v17, v1
	v_fma_f32 v1, v17, v1, -v2
	v_fmac_f32_e32 v1, v17, v0
	v_add_f32_e32 v0, v2, v1
	v_cmp_class_f32_e64 s[4:5], v2, s6
	v_sub_f32_e32 v3, v0, v2
	v_cndmask_b32_e64 v0, v0, v2, s[4:5]
	s_mov_b32 s10, 0x42b17218
	v_mov_b32_e32 v2, 0x37000000
	v_cmp_eq_f32_e64 s[4:5], s10, v0
	v_cndmask_b32_e64 v2, 0, v2, s[4:5]
	v_sub_f32_e32 v1, v1, v3
	v_sub_f32_e32 v3, v0, v2
	s_mov_b32 s4, 0x3fb8aa3b
	v_mul_f32_e32 v4, 0x3fb8aa3b, v3
	v_fma_f32 v5, v3, s4, -v4
	v_rndne_f32_e32 v6, v4
	v_fmac_f32_e32 v5, 0x32a5705f, v3
	v_sub_f32_e32 v4, v4, v6
	v_add_f32_e32 v4, v4, v5
	v_exp_f32_e32 v4, v4
	v_cvt_i32_f32_e32 v5, v6
	s_mov_b32 s7, 0x7f800000
	v_cmp_neq_f32_e64 s[4:5], |v0|, s7
	v_cndmask_b32_e64 v0, 0, v1, s[4:5]
	s_mov_b32 s4, 0xc2ce8ed0
	v_ldexp_f32 v1, v4, v5
	v_cmp_ngt_f32_e64 s[4:5], s4, v3
	v_add_f32_e32 v0, v2, v0
	v_cndmask_b32_e64 v1, 0, v1, s[4:5]
	v_mov_b32_e32 v2, 0x7f800000
	v_cmp_nlt_f32_e64 s[4:5], s10, v3
	v_cndmask_b32_e64 v1, v2, v1, s[4:5]
	v_fma_f32 v0, v1, v0, v1
	v_cmp_class_f32_e64 s[4:5], v1, s6
	v_trunc_f32_e32 v3, v17
	v_cndmask_b32_e64 v0, v0, v1, s[4:5]
	v_cndmask_b32_e64 v1, v16, 1.0, vcc
	v_cmp_eq_f32_e32 vcc, v3, v17
	v_mul_f32_e32 v3, 0.5, v17
	v_trunc_f32_e32 v5, v3
	v_cmp_neq_f32_e64 s[4:5], v5, v3
	s_and_b64 s[4:5], vcc, s[4:5]
	v_cndmask_b32_e64 v3, 1.0, v1, s[4:5]
	s_brev_b32 s19, -2
	v_mov_b32_e32 v4, 0x7fc00000
	v_bfi_b32 v0, s19, v0, v3
	v_cndmask_b32_e32 v3, v4, v0, vcc
	v_cmp_gt_f32_e32 vcc, 0, v1
	v_cndmask_b32_e32 v0, v0, v3, vcc
	v_cmp_eq_f32_e32 vcc, s7, v18
	v_cmp_eq_f32_e64 s[6:7], 0, v1
	v_cmp_gt_f32_e64 s[10:11], 0, v17
	s_xor_b64 s[10:11], s[10:11], s[6:7]
	v_cndmask_b32_e64 v2, v2, 0, s[10:11]
	v_cndmask_b32_e64 v3, 0, v1, s[4:5]
	v_bfi_b32 v2, s19, v2, v3
	s_or_b64 vcc, vcc, s[6:7]
	v_cndmask_b32_e32 v0, v0, v2, vcc
	v_cmp_o_f32_e32 vcc, v1, v1
	v_cndmask_b32_e32 v40, v4, v0, vcc
.LBB29_479:
	s_mul_i32 s5, s15, s95
	v_readlane_b32 s4, v254, 23
	s_sub_i32 s5, s16, s5
	s_xor_b32 s4, s18, s4
	s_add_i32 s6, s15, 1
	s_sub_i32 s7, s5, s95
	s_cmp_ge_u32 s5, s95
	s_cselect_b32 s6, s6, s15
	s_cselect_b32 s5, s7, s5
	s_add_i32 s7, s6, 1
	s_cmp_ge_u32 s5, s95
	s_cselect_b32 s5, s7, s6
	s_xor_b32 s5, s5, s4
	v_readlane_b32 s68, v254, 24
	s_sub_i32 s4, s5, s4
	v_readlane_b32 s69, v254, 25
	v_readlane_b32 s78, v254, 34
	;; [unrolled: 1-line block ×9, first 2 shown]
	s_mov_b64 s[36:37], s[68:69]
	s_cmp_eq_u64 s[78:79], 0
	v_mov_b32_e32 v32, s92
	v_readlane_b32 s74, v254, 30
	v_readlane_b32 s75, v254, 31
	;; [unrolled: 1-line block ×6, first 2 shown]
	s_mov_b64 s[38:39], s[70:71]
	s_mov_b64 s[40:41], s[72:73]
	;; [unrolled: 1-line block ×3, first 2 shown]
	s_cbranch_scc1 .LBB29_481
; %bb.480:
	v_readlane_b32 s5, v254, 0
	s_mul_i32 s5, s12, s5
	s_add_i32 s6, s4, s5
	s_ashr_i32 s7, s6, 31
	s_mov_b64 s[46:47], s[78:79]
	s_lshl_b64 s[6:7], s[6:7], 2
	s_add_u32 s6, s46, s6
	s_addc_u32 s7, s47, s7
	v_mov_b32_e32 v0, 0
	global_load_dword v0, v0, s[6:7]
	s_waitcnt vmcnt(0)
	v_ashrrev_i32_e32 v1, 31, v0
	v_lshrrev_b32_e32 v1, 26, v1
	v_add_u32_e32 v0, v0, v1
	v_ashrrev_i32_e32 v0, 6, v0
	v_min_i32_e32 v32, s92, v0
.LBB29_481:
	v_readlane_b32 s10, v254, 8
	v_readlane_b32 s11, v254, 9
	s_mul_i32 s5, s12, s11
	s_ashr_i32 s6, s5, 31
	s_add_u32 s5, s36, s5
	s_mul_i32 s17, s17, s10
	s_addc_u32 s7, s37, s6
	s_ashr_i32 s10, s17, 31
	s_add_u32 s6, s5, s17
	s_addc_u32 s7, s7, s10
	s_lshl_b32 s10, s4, 6
	v_add_u32_e32 v85, s10, v246
	s_waitcnt vmcnt(0)
	v_and_b32_e32 v66, 0x3ff, v19
	v_cmp_le_i32_e32 vcc, s84, v85
	s_and_saveexec_b64 s[4:5], vcc
	s_xor_b64 s[4:5], exec, s[4:5]
	s_cbranch_execz .LBB29_483
; %bb.482:
	s_movk_i32 s11, 0x84
	v_mad_u32_u24 v0, v246, s11, v66
	v_lshl_add_u32 v0, v0, 2, 0
	v_mov_b32_e32 v1, 0
	ds_write2st64_b32 v0, v1, v1 offset1:1
.LBB29_483:
	s_andn2_saveexec_b64 s[4:5], s[4:5]
	s_cbranch_execz .LBB29_485
; %bb.484:
	v_mad_u64_u32 v[0:1], s[16:17], v85, s56, v[66:67]
	v_ashrrev_i32_e32 v1, 31, v0
	v_lshlrev_b64 v[0:1], 3, v[0:1]
	v_mov_b32_e32 v2, s7
	v_add_co_u32_e32 v0, vcc, s6, v0
	v_addc_co_u32_e32 v1, vcc, v2, v1, vcc
	global_load_dwordx2 v[2:3], v[0:1], off
	global_load_dwordx2 v[4:5], v[0:1], off offset:512
	s_movk_i32 s11, 0x84
	s_waitcnt vmcnt(1)
	v_cvt_f16_f32_e32 v0, v2
	v_cvt_f16_f32_e32 v1, v3
	s_waitcnt vmcnt(0)
	v_cvt_f16_f32_e32 v2, v4
	v_cvt_f16_f32_e32 v3, v5
	v_mad_u32_u24 v4, v246, s11, v66
	v_pack_b32_f16 v0, v0, v1
	v_lshl_add_u32 v4, v4, 2, 0
	v_pack_b32_f16 v1, v2, v3
	v_pk_mul_f16 v0, v113, v0
	v_pk_mul_f16 v1, v113, v1
	ds_write2st64_b32 v4, v0, v1 offset1:1
.LBB29_485:
	s_or_b64 exec, exec, s[4:5]
	v_add_u32_e32 v86, s10, v227
	v_cmp_le_i32_e32 vcc, s84, v86
	s_and_saveexec_b64 s[4:5], vcc
	s_xor_b64 s[4:5], exec, s[4:5]
	s_cbranch_execz .LBB29_487
; %bb.486:
	s_movk_i32 s11, 0x84
	v_mad_u32_u24 v0, v227, s11, v66
	v_lshl_add_u32 v0, v0, 2, 0
	v_mov_b32_e32 v1, 0
	ds_write2st64_b32 v0, v1, v1 offset1:1
                                        ; implicit-def: $vgpr227
.LBB29_487:
	s_andn2_saveexec_b64 s[4:5], s[4:5]
	s_cbranch_execz .LBB29_489
; %bb.488:
	v_mad_u64_u32 v[0:1], s[16:17], v86, s56, v[66:67]
	v_ashrrev_i32_e32 v1, 31, v0
	v_lshlrev_b64 v[0:1], 3, v[0:1]
	v_mov_b32_e32 v2, s7
	v_add_co_u32_e32 v0, vcc, s6, v0
	v_addc_co_u32_e32 v1, vcc, v2, v1, vcc
	global_load_dwordx2 v[2:3], v[0:1], off
	global_load_dwordx2 v[4:5], v[0:1], off offset:512
	s_movk_i32 s11, 0x84
	s_waitcnt vmcnt(1)
	v_cvt_f16_f32_e32 v0, v2
	v_cvt_f16_f32_e32 v1, v3
	s_waitcnt vmcnt(0)
	v_cvt_f16_f32_e32 v2, v4
	v_cvt_f16_f32_e32 v3, v5
	v_mad_u32_u24 v4, v227, s11, v66
	v_pack_b32_f16 v0, v0, v1
	v_lshl_add_u32 v4, v4, 2, 0
	v_pack_b32_f16 v1, v2, v3
	v_pk_mul_f16 v0, v113, v0
	v_pk_mul_f16 v1, v113, v1
	ds_write2st64_b32 v4, v0, v1 offset1:1
.LBB29_489:
	s_or_b64 exec, exec, s[4:5]
	v_add_u32_e32 v87, s10, v120
	v_cmp_le_i32_e32 vcc, s84, v87
	s_and_saveexec_b64 s[4:5], vcc
	s_xor_b64 s[4:5], exec, s[4:5]
	s_cbranch_execz .LBB29_491
; %bb.490:
	s_movk_i32 s11, 0x84
	v_mad_u32_u24 v0, v120, s11, v66
	v_lshl_add_u32 v0, v0, 2, 0
	v_mov_b32_e32 v1, 0
	ds_write2st64_b32 v0, v1, v1 offset1:1
                                        ; implicit-def: $vgpr120
.LBB29_491:
	s_andn2_saveexec_b64 s[4:5], s[4:5]
	s_cbranch_execz .LBB29_493
; %bb.492:
	v_mad_u64_u32 v[0:1], s[16:17], v87, s56, v[66:67]
	v_ashrrev_i32_e32 v1, 31, v0
	v_lshlrev_b64 v[0:1], 3, v[0:1]
	v_mov_b32_e32 v2, s7
	v_add_co_u32_e32 v0, vcc, s6, v0
	v_addc_co_u32_e32 v1, vcc, v2, v1, vcc
	global_load_dwordx2 v[2:3], v[0:1], off
	global_load_dwordx2 v[4:5], v[0:1], off offset:512
	s_movk_i32 s11, 0x84
	s_waitcnt vmcnt(1)
	v_cvt_f16_f32_e32 v0, v2
	v_cvt_f16_f32_e32 v1, v3
	s_waitcnt vmcnt(0)
	v_cvt_f16_f32_e32 v2, v4
	v_cvt_f16_f32_e32 v3, v5
	v_mad_u32_u24 v4, v120, s11, v66
	v_pack_b32_f16 v0, v0, v1
	v_lshl_add_u32 v4, v4, 2, 0
	v_pack_b32_f16 v1, v2, v3
	v_pk_mul_f16 v0, v113, v0
	v_pk_mul_f16 v1, v113, v1
	ds_write2st64_b32 v4, v0, v1 offset1:1
.LBB29_493:
	s_or_b64 exec, exec, s[4:5]
	v_add_u32_e32 v88, s10, v119
	v_cmp_le_i32_e32 vcc, s84, v88
	s_and_saveexec_b64 s[4:5], vcc
	s_xor_b64 s[4:5], exec, s[4:5]
	s_cbranch_execz .LBB29_495
; %bb.494:
	s_movk_i32 s11, 0x84
	v_mad_u32_u24 v0, v119, s11, v66
	v_lshl_add_u32 v0, v0, 2, 0
	v_mov_b32_e32 v1, 0
	ds_write2st64_b32 v0, v1, v1 offset1:1
                                        ; implicit-def: $vgpr119
.LBB29_495:
	s_andn2_saveexec_b64 s[4:5], s[4:5]
	s_cbranch_execz .LBB29_497
; %bb.496:
	v_mad_u64_u32 v[0:1], s[16:17], v88, s56, v[66:67]
	v_ashrrev_i32_e32 v1, 31, v0
	v_lshlrev_b64 v[0:1], 3, v[0:1]
	v_mov_b32_e32 v2, s7
	v_add_co_u32_e32 v0, vcc, s6, v0
	v_addc_co_u32_e32 v1, vcc, v2, v1, vcc
	global_load_dwordx2 v[2:3], v[0:1], off
	global_load_dwordx2 v[4:5], v[0:1], off offset:512
	s_movk_i32 s11, 0x84
	s_waitcnt vmcnt(1)
	v_cvt_f16_f32_e32 v0, v2
	v_cvt_f16_f32_e32 v1, v3
	s_waitcnt vmcnt(0)
	v_cvt_f16_f32_e32 v2, v4
	v_cvt_f16_f32_e32 v3, v5
	v_mad_u32_u24 v4, v119, s11, v66
	v_pack_b32_f16 v0, v0, v1
	v_lshl_add_u32 v4, v4, 2, 0
	v_pack_b32_f16 v1, v2, v3
	v_pk_mul_f16 v0, v113, v0
	v_pk_mul_f16 v1, v113, v1
	ds_write2st64_b32 v4, v0, v1 offset1:1
.LBB29_497:
	s_or_b64 exec, exec, s[4:5]
	v_add_u32_e32 v89, s10, v118
	v_cmp_le_i32_e32 vcc, s84, v89
	s_and_saveexec_b64 s[4:5], vcc
	s_xor_b64 s[4:5], exec, s[4:5]
	s_cbranch_execz .LBB29_499
; %bb.498:
	s_movk_i32 s11, 0x84
	v_mad_u32_u24 v0, v118, s11, v66
	v_lshl_add_u32 v0, v0, 2, 0
	v_mov_b32_e32 v1, 0
	ds_write2st64_b32 v0, v1, v1 offset1:1
                                        ; implicit-def: $vgpr118
.LBB29_499:
	s_andn2_saveexec_b64 s[4:5], s[4:5]
	s_cbranch_execz .LBB29_501
; %bb.500:
	v_mad_u64_u32 v[0:1], s[16:17], v89, s56, v[66:67]
	v_ashrrev_i32_e32 v1, 31, v0
	v_lshlrev_b64 v[0:1], 3, v[0:1]
	v_mov_b32_e32 v2, s7
	v_add_co_u32_e32 v0, vcc, s6, v0
	v_addc_co_u32_e32 v1, vcc, v2, v1, vcc
	global_load_dwordx2 v[2:3], v[0:1], off
	global_load_dwordx2 v[4:5], v[0:1], off offset:512
	s_movk_i32 s11, 0x84
	s_waitcnt vmcnt(1)
	v_cvt_f16_f32_e32 v0, v2
	v_cvt_f16_f32_e32 v1, v3
	s_waitcnt vmcnt(0)
	v_cvt_f16_f32_e32 v2, v4
	v_cvt_f16_f32_e32 v3, v5
	v_mad_u32_u24 v4, v118, s11, v66
	v_pack_b32_f16 v0, v0, v1
	v_lshl_add_u32 v4, v4, 2, 0
	v_pack_b32_f16 v1, v2, v3
	v_pk_mul_f16 v0, v113, v0
	v_pk_mul_f16 v1, v113, v1
	ds_write2st64_b32 v4, v0, v1 offset1:1
.LBB29_501:
	s_or_b64 exec, exec, s[4:5]
	v_add_u32_e32 v91, s10, v134
	v_cmp_le_i32_e32 vcc, s84, v91
	s_and_saveexec_b64 s[4:5], vcc
	s_xor_b64 s[4:5], exec, s[4:5]
	s_cbranch_execz .LBB29_503
; %bb.502:
	s_movk_i32 s11, 0x84
	v_mad_u32_u24 v0, v134, s11, v66
	v_lshl_add_u32 v0, v0, 2, 0
	v_mov_b32_e32 v1, 0
	ds_write2st64_b32 v0, v1, v1 offset1:1
                                        ; implicit-def: $vgpr134
.LBB29_503:
	s_andn2_saveexec_b64 s[4:5], s[4:5]
	s_cbranch_execz .LBB29_505
; %bb.504:
	v_mad_u64_u32 v[0:1], s[16:17], v91, s56, v[66:67]
	v_ashrrev_i32_e32 v1, 31, v0
	v_lshlrev_b64 v[0:1], 3, v[0:1]
	v_mov_b32_e32 v2, s7
	v_add_co_u32_e32 v0, vcc, s6, v0
	v_addc_co_u32_e32 v1, vcc, v2, v1, vcc
	global_load_dwordx2 v[2:3], v[0:1], off
	global_load_dwordx2 v[4:5], v[0:1], off offset:512
	s_movk_i32 s11, 0x84
	s_waitcnt vmcnt(1)
	v_cvt_f16_f32_e32 v0, v2
	v_cvt_f16_f32_e32 v1, v3
	s_waitcnt vmcnt(0)
	v_cvt_f16_f32_e32 v2, v4
	v_cvt_f16_f32_e32 v3, v5
	v_mad_u32_u24 v4, v134, s11, v66
	v_pack_b32_f16 v0, v0, v1
	v_lshl_add_u32 v4, v4, 2, 0
	v_pack_b32_f16 v1, v2, v3
	v_pk_mul_f16 v0, v113, v0
	v_pk_mul_f16 v1, v113, v1
	ds_write2st64_b32 v4, v0, v1 offset1:1
.LBB29_505:
	s_or_b64 exec, exec, s[4:5]
	v_add_u32_e32 v92, s10, v125
	v_cmp_le_i32_e32 vcc, s84, v92
	s_and_saveexec_b64 s[4:5], vcc
	s_xor_b64 s[4:5], exec, s[4:5]
	s_cbranch_execz .LBB29_507
; %bb.506:
	s_movk_i32 s11, 0x84
	v_mad_u32_u24 v0, v125, s11, v66
	v_lshl_add_u32 v0, v0, 2, 0
	v_mov_b32_e32 v1, 0
	ds_write2st64_b32 v0, v1, v1 offset1:1
                                        ; implicit-def: $vgpr125
.LBB29_507:
	s_andn2_saveexec_b64 s[4:5], s[4:5]
	s_cbranch_execz .LBB29_509
; %bb.508:
	v_mad_u64_u32 v[0:1], s[16:17], v92, s56, v[66:67]
	v_ashrrev_i32_e32 v1, 31, v0
	v_lshlrev_b64 v[0:1], 3, v[0:1]
	v_mov_b32_e32 v2, s7
	v_add_co_u32_e32 v0, vcc, s6, v0
	v_addc_co_u32_e32 v1, vcc, v2, v1, vcc
	global_load_dwordx2 v[2:3], v[0:1], off
	global_load_dwordx2 v[4:5], v[0:1], off offset:512
	s_movk_i32 s11, 0x84
	s_waitcnt vmcnt(1)
	v_cvt_f16_f32_e32 v0, v2
	v_cvt_f16_f32_e32 v1, v3
	s_waitcnt vmcnt(0)
	v_cvt_f16_f32_e32 v2, v4
	v_cvt_f16_f32_e32 v3, v5
	v_mad_u32_u24 v4, v125, s11, v66
	v_pack_b32_f16 v0, v0, v1
	v_lshl_add_u32 v4, v4, 2, 0
	v_pack_b32_f16 v1, v2, v3
	v_pk_mul_f16 v0, v113, v0
	v_pk_mul_f16 v1, v113, v1
	ds_write2st64_b32 v4, v0, v1 offset1:1
.LBB29_509:
	s_or_b64 exec, exec, s[4:5]
	v_add_u32_e32 v95, s10, v138
	v_cmp_le_i32_e32 vcc, s84, v95
	s_and_saveexec_b64 s[4:5], vcc
	s_xor_b64 s[4:5], exec, s[4:5]
	s_cbranch_execz .LBB29_511
; %bb.510:
	s_movk_i32 s10, 0x84
	v_mad_u32_u24 v0, v138, s10, v66
	v_lshl_add_u32 v0, v0, 2, 0
	v_mov_b32_e32 v1, 0
	ds_write2st64_b32 v0, v1, v1 offset1:1
                                        ; implicit-def: $vgpr113
                                        ; implicit-def: $vgpr138
.LBB29_511:
	s_andn2_saveexec_b64 s[4:5], s[4:5]
	s_cbranch_execz .LBB29_513
; %bb.512:
	v_mad_u64_u32 v[0:1], s[10:11], v95, s56, v[66:67]
	v_ashrrev_i32_e32 v1, 31, v0
	v_lshlrev_b64 v[0:1], 3, v[0:1]
	v_mov_b32_e32 v2, s7
	v_add_co_u32_e32 v0, vcc, s6, v0
	v_addc_co_u32_e32 v1, vcc, v2, v1, vcc
	global_load_dwordx2 v[2:3], v[0:1], off
	global_load_dwordx2 v[4:5], v[0:1], off offset:512
	s_movk_i32 s6, 0x84
	s_waitcnt vmcnt(1)
	v_cvt_f16_f32_e32 v0, v2
	v_cvt_f16_f32_e32 v1, v3
	s_waitcnt vmcnt(0)
	v_cvt_f16_f32_e32 v2, v4
	v_cvt_f16_f32_e32 v3, v5
	v_mad_u32_u24 v4, v138, s6, v66
	v_pack_b32_f16 v0, v0, v1
	v_lshl_add_u32 v4, v4, 2, 0
	v_pack_b32_f16 v1, v2, v3
	v_pk_mul_f16 v0, v113, v0
	v_pk_mul_f16 v1, v113, v1
	ds_write2st64_b32 v4, v0, v1 offset1:1
.LBB29_513:
	s_or_b64 exec, exec, s[4:5]
	v_readlane_b32 s6, v254, 13
	v_readlane_b32 s7, v254, 14
	s_mul_i32 s4, s12, s7
	s_mul_hi_u32 s5, s12, s6
	v_readlane_b32 s16, v254, 24
	s_add_i32 s4, s5, s4
	s_mul_i32 s5, s14, s6
	v_readlane_b32 s30, v254, 38
	v_lshrrev_b32_e32 v1, 3, v66
	s_add_i32 s4, s4, s5
	s_mul_i32 s5, s12, s6
	v_readlane_b32 s20, v254, 28
	v_and_b32_e32 v33, 0x1ff0, v244
	s_movk_i32 s30, 0x210
	v_and_b32_e32 v78, 15, v66
	v_and_b32_e32 v79, 0x7e, v1
	v_readlane_b32 s21, v254, 29
	v_readlane_b32 s22, v254, 30
	;; [unrolled: 1-line block ×3, first 2 shown]
	s_add_u32 s5, s20, s5
	v_mad_u32_u24 v0, v33, s30, 0
	v_mul_u32_u24_e32 v93, 0x210, v78
	v_lshlrev_b32_e32 v94, 2, v79
	s_addc_u32 s4, s21, s4
	v_readlane_b32 s20, v254, 19
	v_add3_u32 v0, v0, v93, v94
	v_readlane_b32 s23, v254, 22
	s_waitcnt lgkmcnt(0)
	s_barrier
	ds_read2_b64 v[28:31], v0 offset1:4
	ds_read2_b64 v[24:27], v0 offset0:8 offset1:12
	ds_read2_b64 v[20:23], v0 offset0:16 offset1:20
	;; [unrolled: 1-line block ×7, first 2 shown]
	s_mul_i32 s6, s13, s23
	s_ashr_i32 s7, s6, 31
	v_readlane_b32 s21, v254, 20
	s_add_u32 s33, s5, s6
	s_addc_u32 s38, s4, s7
	s_mul_i32 s4, s12, s21
	s_mul_hi_u32 s5, s12, s20
	s_add_i32 s4, s5, s4
	s_mul_i32 s14, s14, s20
	v_readlane_b32 s6, v254, 17
	v_readlane_b32 s18, v254, 26
	s_add_i32 s4, s4, s14
	s_mul_i32 s12, s12, s20
	v_readlane_b32 s7, v254, 18
	v_readlane_b32 s19, v254, 27
	s_add_u32 s5, s18, s12
	s_mul_i32 s13, s13, s7
	s_addc_u32 s4, s19, s4
	s_ashr_i32 s6, s13, 31
	v_add_u32_e32 v98, -1, v32
	s_add_u32 s39, s5, s13
	v_cmp_ge_i32_e32 vcc, s48, v98
	s_addc_u32 s46, s4, s6
	s_mov_b32 s47, 0
	s_and_b64 vcc, exec, vcc
	v_mov_b32_e32 v207, 0
	v_or_b32_e32 v90, v33, v78
	v_lshlrev_b32_e32 v97, 1, v66
	v_mbcnt_lo_u32_b32 v84, -1, 0
	v_lshrrev_b32_e32 v96, 5, v66
	v_lshlrev_b32_e32 v67, 2, v66
	v_lshrrev_b32_e32 v83, 2, v66
	v_and_b32_e32 v81, 8, v244
	v_lshlrev_b32_e32 v80, 1, v78
	v_readlane_b32 s17, v254, 25
	v_readlane_b32 s24, v254, 32
	v_readlane_b32 s25, v254, 33
	v_readlane_b32 s26, v254, 34
	v_readlane_b32 s27, v254, 35
	v_readlane_b32 s28, v254, 36
	v_readlane_b32 s29, v254, 37
	v_readlane_b32 s31, v254, 39
	v_readlane_b32 s22, v254, 21
	s_waitcnt lgkmcnt(0)
	s_barrier
	s_cbranch_vccnz .LBB29_526
; %bb.514:
	v_mul_hi_u32 v42, s98, v89
	v_add_u32_e32 v42, v89, v42
	v_lshrrev_b32_e32 v42, s99, v42
	v_mul_lo_u32 v42, v42, s84
	v_sub_u32_e32 v42, v89, v42
	v_mad_i64_i32 v[52:53], s[6:7], v42, s88, 0
	v_mul_hi_u32 v42, s98, v91
	v_add_u32_e32 v42, v91, v42
	v_lshrrev_b32_e32 v42, s99, v42
	v_mul_lo_u32 v42, v42, s84
	v_sub_u32_e32 v42, v91, v42
	v_mad_i64_i32 v[54:55], s[6:7], v42, s88, 0
	v_mul_hi_u32 v42, s98, v92
	v_add_u32_e32 v42, v92, v42
	v_lshrrev_b32_e32 v42, s99, v42
	v_mul_lo_u32 v42, v42, s84
	v_sub_u32_e32 v42, v92, v42
	v_mad_i64_i32 v[56:57], s[6:7], v42, s88, 0
	v_mul_hi_u32 v42, s98, v95
	v_add_u32_e32 v42, v95, v42
	v_lshrrev_b32_e32 v42, s99, v42
	v_mul_lo_u32 v42, v42, s84
	v_sub_u32_e32 v42, v95, v42
	v_mad_i64_i32 v[58:59], s[6:7], v42, s88, 0
	v_mbcnt_hi_u32_b32 v42, -1, v84
	v_mov_b32_e32 v32, s9
	v_add_co_u32_e32 v100, vcc, s8, v97
	v_and_b32_e32 v43, 64, v42
	v_addc_co_u32_e32 v101, vcc, 0, v32, vcc
	v_add_u32_e32 v43, 64, v43
	v_xor_b32_e32 v44, 32, v42
	v_cmp_lt_i32_e32 vcc, v44, v43
	v_cndmask_b32_e32 v44, v42, v44, vcc
	v_lshlrev_b32_e32 v102, 2, v44
	v_xor_b32_e32 v44, 16, v42
	v_cmp_lt_i32_e32 vcc, v44, v43
	v_mul_hi_u32 v32, s98, v85
	v_mul_hi_u32 v34, s98, v86
	v_mul_hi_u32 v36, s98, v87
	v_mul_hi_u32 v38, s98, v88
	v_cndmask_b32_e32 v42, v42, v44, vcc
	v_add_u32_e32 v32, v85, v32
	v_add_u32_e32 v34, v86, v34
	;; [unrolled: 1-line block ×4, first 2 shown]
	v_lshlrev_b32_e32 v103, 2, v42
	v_lshl_add_u32 v42, v246, 1, v96
	v_and_b32_e32 v62, 0x7c, v67
	s_cmp_lg_u64 s[8:9], 0
	v_lshrrev_b32_e32 v32, s99, v32
	v_lshrrev_b32_e32 v34, s99, v34
	;; [unrolled: 1-line block ×4, first 2 shown]
	v_mul_u32_u24_e32 v43, 0x210, v42
	v_lshlrev_b32_e32 v44, 2, v62
	s_cselect_b64 s[36:37], -1, 0
	v_mul_lo_u32 v32, v32, s84
	v_mul_lo_u32 v34, v34, s84
	;; [unrolled: 1-line block ×4, first 2 shown]
	v_add3_u32 v104, 0, v43, v44
	v_and_b32_e32 v43, 16, v108
	v_and_b32_e32 v44, 0xfc, v83
	v_mul_lo_u32 v72, s86, v42
	s_lshl_b32 s42, s86, 4
	v_sub_u32_e32 v32, v85, v32
	s_movk_i32 s14, 0x90
	v_sub_u32_e32 v34, v86, v34
	v_sub_u32_e32 v36, v87, v36
	;; [unrolled: 1-line block ×3, first 2 shown]
	v_mul_lo_u32 v60, s66, v42
	s_lshl_b32 s15, s66, 4
	v_mul_u32_u24_e32 v193, 0x210, v43
	v_add_u32_e32 v45, v43, v44
	v_add_u16_e32 v43, v43, v44
	v_add_u32_e32 v74, s42, v72
	v_mad_i64_i32 v[32:33], s[6:7], v32, s88, 0
	v_mad_i64_i32 v[34:35], s[6:7], v34, s88, 0
	;; [unrolled: 1-line block ×4, first 2 shown]
	v_add_u32_e32 v64, s15, v60
	v_mad_u32_u24 v46, v90, s14, 0
	v_lshrrev_b16_e32 v43, 1, v43
	v_add_u32_e32 v76, s42, v74
	s_mov_b32 s61, s34
	v_cmp_gt_u32_e64 s[6:7], 64, v42
	v_cmp_gt_u32_e64 s[34:35], 48, v42
	;; [unrolled: 1-line block ×3, first 2 shown]
	v_add_u32_e32 v68, s15, v64
	v_cmp_gt_u32_e64 s[12:13], 16, v42
	v_mov_b32_e32 v242, v108
	v_lshl_add_u32 v194, v43, 2, v46
	v_lshl_add_u32 v43, v45, 1, v46
	v_add_u32_e32 v108, s42, v76
	v_mul_u32_u24_e32 v42, 0x108, v44
	s_movk_i32 s42, 0x420
	v_add_u32_e32 v70, s15, v68
	v_add_u32_e32 v111, 64, v43
	;; [unrolled: 1-line block ×3, first 2 shown]
	v_cmp_gt_u32_e64 s[14:15], 64, v45
	v_cmp_gt_u32_e64 s[16:17], 63, v45
	;; [unrolled: 1-line block ×8, first 2 shown]
	v_or_b32_e32 v42, v42, v78
	v_mul_u32_u24_e32 v43, 0x210, v44
	v_or_b32_e32 v45, 3, v83
	v_mul_u32_u24_e32 v46, 0x420, v81
	v_mad_u32_u24 v47, v81, s42, 0
	v_mul_u32_u24_e32 v45, 0x210, v45
	v_lshlrev_b32_e32 v42, 1, v42
	v_add3_u32 v114, v47, v43, v80
	v_add3_u32 v43, 0, 32, v46
	v_add_u32_e32 v113, v47, v42
	v_add3_u32 v115, v47, v45, v80
	v_add_u32_e32 v118, v43, v42
	v_mad_u32_u24 v47, v44, s30, v43
	v_add3_u32 v121, v43, v45, v80
	v_add3_u32 v43, 0, 64, v46
	s_add_i32 s43, 0, 0x60
	v_add_u32_e32 v123, v43, v42
	v_mad_u32_u24 v46, v44, s30, v43
	v_add3_u32 v126, v43, v45, v80
	v_mov_b32_e32 v43, s43
	s_movk_i32 s31, 0x4200
	v_mad_u32_u24 v43, v81, s42, v43
	s_add_i32 s43, 0, 0x80
	v_add3_u32 v124, v46, v80, s31
	v_add_u32_e32 v128, v43, v42
	v_mad_u32_u24 v46, v44, s30, v43
	v_add3_u32 v131, v43, v45, v80
	v_mov_b32_e32 v43, s43
	v_mad_u32_u24 v43, v81, s42, v43
	s_add_i32 s43, 0, 0xa0
	v_add3_u32 v129, v46, v80, s31
	v_add_u32_e32 v133, v43, v42
	v_mad_u32_u24 v46, v44, s30, v43
	v_add3_u32 v136, v43, v45, v80
	v_mov_b32_e32 v43, s43
	v_mad_u32_u24 v43, v81, s42, v43
	s_add_i32 s43, 0, 0xc0
	v_add3_u32 v134, v46, v80, s31
	v_add_u32_e32 v138, v43, v42
	v_mad_u32_u24 v46, v44, s30, v43
	v_add3_u32 v141, v43, v45, v80
	v_mov_b32_e32 v43, s43
	v_mad_u32_u24 v43, v81, s42, v43
	s_add_i32 s43, 0, 0xe0
	v_add3_u32 v139, v46, v80, s31
	v_add_u32_e32 v143, v43, v42
	v_mad_u32_u24 v46, v44, s30, v43
	v_add3_u32 v146, v43, v45, v80
	v_mov_b32_e32 v43, s43
	v_mad_u32_u24 v43, v81, s42, v43
	s_add_i32 s43, 0, 0x100
	v_add3_u32 v144, v46, v80, s31
	v_add_u32_e32 v148, v43, v42
	v_mad_u32_u24 v46, v44, s30, v43
	v_add3_u32 v151, v43, v45, v80
	v_mov_b32_e32 v43, s43
	v_mad_u32_u24 v43, v81, s42, v43
	s_add_i32 s43, 0, 0x120
	v_add3_u32 v149, v46, v80, s31
	v_add_u32_e32 v153, v43, v42
	v_mad_u32_u24 v46, v44, s30, v43
	v_add3_u32 v156, v43, v45, v80
	v_mov_b32_e32 v43, s43
	v_mad_u32_u24 v43, v81, s42, v43
	s_add_i32 s43, 0, 0x140
	v_add3_u32 v154, v46, v80, s31
	v_add_u32_e32 v158, v43, v42
	v_mad_u32_u24 v46, v44, s30, v43
	v_add3_u32 v161, v43, v45, v80
	v_mov_b32_e32 v43, s43
	v_mad_u32_u24 v43, v81, s42, v43
	s_add_i32 s43, 0, 0x160
	v_add3_u32 v159, v46, v80, s31
	v_add_u32_e32 v163, v43, v42
	v_mad_u32_u24 v46, v44, s30, v43
	v_add3_u32 v166, v43, v45, v80
	v_mov_b32_e32 v43, s43
	v_mad_u32_u24 v43, v81, s42, v43
	s_add_i32 s43, 0, 0x180
	v_add3_u32 v164, v46, v80, s31
	v_add_u32_e32 v168, v43, v42
	v_mad_u32_u24 v46, v44, s30, v43
	v_add3_u32 v171, v43, v45, v80
	v_mov_b32_e32 v43, s43
	v_mad_u32_u24 v43, v81, s42, v43
	s_add_i32 s43, 0, 0x1a0
	v_add3_u32 v169, v46, v80, s31
	v_add_u32_e32 v173, v43, v42
	v_mad_u32_u24 v46, v44, s30, v43
	v_add3_u32 v176, v43, v45, v80
	v_mov_b32_e32 v43, s43
	v_mad_u32_u24 v43, v81, s42, v43
	s_add_i32 s43, 0, 0x1c0
	v_add3_u32 v174, v46, v80, s31
	v_add_u32_e32 v178, v43, v42
	v_mad_u32_u24 v46, v44, s30, v43
	v_add3_u32 v181, v43, v45, v80
	v_mov_b32_e32 v43, s43
	v_mad_u32_u24 v43, v81, s42, v43
	s_add_i32 s43, 0, 0x1e0
	v_add3_u32 v179, v46, v80, s31
	v_add_u32_e32 v183, v43, v42
	v_mad_u32_u24 v46, v44, s30, v43
	v_add3_u32 v186, v43, v45, v80
	v_mov_b32_e32 v43, s43
	v_mad_u32_u24 v43, v81, s42, v43
	v_add_u32_e32 v41, 0, v97
	v_mul_u32_u24_e32 v82, 0x90, v246
	s_mov_b64 s[40:41], src_private_base
	v_ashrrev_i32_e32 v61, 31, v60
	v_ashrrev_i32_e32 v65, 31, v64
	;; [unrolled: 1-line block ×4, first 2 shown]
	v_add3_u32 v110, 0, v93, v94
	v_ashrrev_i32_e32 v73, 31, v72
	v_ashrrev_i32_e32 v75, 31, v74
	v_ashrrev_i32_e32 v77, 31, v76
	v_ashrrev_i32_e32 v109, 31, v108
	v_add_u32_e32 v188, v43, v42
	v_mad_u32_u24 v42, v44, s30, v43
	v_cmp_lt_u32_e64 s[4:5], 63, v66
	v_mov_b32_e32 v99, 0
	s_mov_b32 s40, 0
	v_add_u32_e32 v105, 0x2100, v104
	v_add_u32_e32 v106, 0x4200, v104
	;; [unrolled: 1-line block ×5, first 2 shown]
	v_add3_u32 v119, v47, v80, s31
	v_add_u32_e32 v120, 0x4200, v118
	v_add_u32_e32 v122, 64, v114
	;; [unrolled: 1-line block ×26, first 2 shown]
	v_add3_u32 v184, v46, v80, s31
	v_add_u32_e32 v185, 0x4200, v183
	v_add_u32_e32 v187, 0x1e0, v114
	v_add3_u32 v189, v42, v80, s31
	v_add_u32_e32 v190, 0x4200, v188
	v_add3_u32 v191, v43, v45, v80
	v_mov_b32_e32 v42, v40
	v_mov_b32_e32 v43, v40
	s_lshl_b32 s42, s48, 6
	v_mov_b32_e32 v228, 0xfeffffff
	v_lshlrev_b64 v[44:45], 1, v[32:33]
	v_lshlrev_b64 v[46:47], 1, v[34:35]
	;; [unrolled: 1-line block ×9, first 2 shown]
	v_lshlrev_b32_e32 v192, 2, v62
	v_lshlrev_b64 v[62:63], 2, v[64:65]
	v_lshlrev_b64 v[64:65], 2, v[68:69]
	;; [unrolled: 1-line block ×3, first 2 shown]
	v_add_u32_e32 v193, v110, v193
	v_add_u32_e32 v194, 0x8400, v194
	s_mov_b32 s49, 0x3fb8aa3b
	s_mov_b32 s50, 0xc2ce8ed0
	;; [unrolled: 1-line block ×4, first 2 shown]
	v_lshlrev_b64 v[70:71], 2, v[72:73]
	v_lshlrev_b64 v[72:73], 2, v[74:75]
	;; [unrolled: 1-line block ×4, first 2 shown]
	s_mov_b32 s53, 0x5040100
	v_add_u32_e32 v195, v41, v82
	v_mov_b32_e32 v196, 0x7f800000
	v_mov_b32_e32 v229, 0
	;; [unrolled: 1-line block ×34, first 2 shown]
.LBB29_515:                             ; =>This Inner Loop Header: Depth=1
	s_nop 0
	v_cndmask_b32_e64 v32, 0, 1, s[36:37]
	v_cmp_ne_u32_e64 s[30:31], 1, v32
	s_andn2_b64 vcc, exec, s[36:37]
	s_ashr_i32 s43, s42, 31
	s_cbranch_vccnz .LBB29_521
; %bb.516:                              ;   in Loop: Header=BB29_515 Depth=1
                                        ; implicit-def: $sgpr54
	s_and_saveexec_b64 s[44:45], s[4:5]
	s_xor_b64 s[44:45], exec, s[44:45]
	s_cbranch_execz .LBB29_518
; %bb.517:                              ;   in Loop: Header=BB29_515 Depth=1
	ds_write_b16 v195, v99 offset:33792
	ds_write_b16 v195, v99 offset:34944
	ds_write_b16 v195, v99 offset:36096
	ds_write_b16 v195, v99 offset:37248
	s_mov_b32 s54, 0
.LBB29_518:                             ;   in Loop: Header=BB29_515 Depth=1
	s_or_saveexec_b64 s[44:45], s[44:45]
	v_mov_b32_e32 v32, s54
	v_mov_b32_e32 v33, s54
	;; [unrolled: 1-line block ×4, first 2 shown]
	s_xor_b64 exec, exec, s[44:45]
	s_cbranch_execz .LBB29_520
; %bb.519:                              ;   in Loop: Header=BB29_515 Depth=1
	s_lshl_b64 s[54:55], s[42:43], 1
	v_mov_b32_e32 v32, s55
	v_add_co_u32_e32 v41, vcc, s54, v100
	v_addc_co_u32_e32 v82, vcc, v101, v32, vcc
	v_add_co_u32_e32 v32, vcc, v41, v44
	v_addc_co_u32_e32 v33, vcc, v82, v45, vcc
	;; [unrolled: 2-line block ×5, first 2 shown]
	flat_load_ushort v108, v[32:33]
	flat_load_ushort v109, v[34:35]
	;; [unrolled: 1-line block ×4, first 2 shown]
	v_add_co_u32_e32 v32, vcc, v41, v52
	v_addc_co_u32_e32 v33, vcc, v82, v53, vcc
	v_add_co_u32_e32 v34, vcc, v41, v54
	v_addc_co_u32_e32 v35, vcc, v82, v55, vcc
	;; [unrolled: 2-line block ×4, first 2 shown]
	s_waitcnt vmcnt(0) lgkmcnt(0)
	ds_write_b16 v195, v108 offset:33792
	ds_write_b16 v195, v109 offset:34944
	;; [unrolled: 1-line block ×4, first 2 shown]
	flat_load_ushort v32, v[32:33]
	s_nop 0
	flat_load_ushort v33, v[34:35]
	s_nop 0
	flat_load_ushort v34, v[36:37]
	flat_load_ushort v35, v[38:39]
.LBB29_520:                             ;   in Loop: Header=BB29_515 Depth=1
	s_or_b64 exec, exec, s[44:45]
	s_waitcnt vmcnt(0) lgkmcnt(0)
	ds_write_b16 v195, v32 offset:38400
	ds_write_b16 v195, v33 offset:39552
	;; [unrolled: 1-line block ×4, first 2 shown]
.LBB29_521:                             ;   in Loop: Header=BB29_515 Depth=1
	s_mul_hi_i32 s45, s42, s66
	s_mul_i32 s44, s42, s66
	s_lshl_b64 s[44:45], s[44:45], 2
	s_add_u32 s43, s39, s44
	s_addc_u32 s44, s46, s45
	v_mov_b32_e32 v32, s44
	v_add_co_u32_e32 v33, vcc, s43, v60
	v_addc_co_u32_e32 v32, vcc, v32, v61, vcc
	v_add_co_u32_e32 v34, vcc, v33, v192
	v_addc_co_u32_e32 v32, vcc, 0, v32, vcc
	v_mov_b32_e32 v38, s41
	v_mov_b32_e32 v39, s40
	buffer_store_dword v99, off, s[0:3], 0
	buffer_store_dword v99, off, s[0:3], 0 offset:4
	buffer_store_dword v99, off, s[0:3], 0 offset:8
	;; [unrolled: 1-line block ×3, first 2 shown]
	v_cndmask_b32_e64 v33, v38, v32, s[6:7]
	v_cndmask_b32_e64 v32, v39, v34, s[6:7]
	flat_load_dwordx4 v[32:35], v[32:33]
	v_mov_b32_e32 v36, s44
	v_add_co_u32_e32 v37, vcc, s43, v62
	v_addc_co_u32_e32 v36, vcc, v36, v63, vcc
	v_add_co_u32_e32 v37, vcc, v37, v192
	v_addc_co_u32_e32 v41, vcc, 0, v36, vcc
	v_cndmask_b32_e64 v36, v39, v37, s[34:35]
	v_cndmask_b32_e64 v37, v38, v41, s[34:35]
	s_waitcnt vmcnt(0) lgkmcnt(0)
	ds_write_b128 v104, v[32:35]
	flat_load_dwordx4 v[32:35], v[36:37]
	v_mov_b32_e32 v36, s44
	v_add_co_u32_e32 v37, vcc, s43, v64
	v_addc_co_u32_e32 v36, vcc, v36, v65, vcc
	v_add_co_u32_e32 v37, vcc, v37, v192
	v_addc_co_u32_e32 v41, vcc, 0, v36, vcc
	v_cndmask_b32_e64 v36, v39, v37, s[10:11]
	v_cndmask_b32_e64 v37, v38, v41, s[10:11]
	s_waitcnt vmcnt(0) lgkmcnt(0)
	ds_write_b128 v105, v[32:35]
	flat_load_dwordx4 v[32:35], v[36:37]
	v_mov_b32_e32 v36, s44
	v_add_co_u32_e32 v37, vcc, s43, v68
	v_addc_co_u32_e32 v36, vcc, v36, v69, vcc
	v_add_co_u32_e32 v37, vcc, v37, v192
	v_addc_co_u32_e32 v41, vcc, 0, v36, vcc
	v_cndmask_b32_e64 v36, v39, v37, s[12:13]
	v_cndmask_b32_e64 v37, v38, v41, s[12:13]
	v_add_u32_e32 v41, 0x4000, v193
	s_and_b64 vcc, exec, s[30:31]
	s_waitcnt vmcnt(0) lgkmcnt(0)
	ds_write_b128 v106, v[32:35]
	flat_load_dwordx4 v[32:35], v[36:37]
	s_waitcnt vmcnt(0) lgkmcnt(0)
	ds_write_b128 v107, v[32:35]
	s_waitcnt lgkmcnt(0)
	s_barrier
	ds_read2_b64 v[32:35], v193 offset1:4
	ds_read2_b64 v[230:233], v41 offset0:64 offset1:68
	s_waitcnt lgkmcnt(1)
	v_mfma_f32_16x16x16f16 v[36:39], v[32:33], v[28:29], 0
	s_waitcnt lgkmcnt(0)
	v_mfma_f32_16x16x16f16 v[234:237], v[230:231], v[28:29], 0
	v_mfma_f32_16x16x16f16 v[32:35], v[34:35], v[30:31], v[36:39]
	;; [unrolled: 1-line block ×3, first 2 shown]
	ds_read2_b64 v[230:233], v193 offset0:8 offset1:12
	s_nop 7
	ds_read2_b64 v[234:237], v41 offset0:72 offset1:76
	s_waitcnt lgkmcnt(1)
	v_mfma_f32_16x16x16f16 v[32:35], v[230:231], v[24:25], v[32:35]
	s_waitcnt lgkmcnt(0)
	v_mfma_f32_16x16x16f16 v[36:39], v[234:235], v[24:25], v[36:39]
	v_mfma_f32_16x16x16f16 v[32:35], v[232:233], v[26:27], v[32:35]
	ds_read2_b64 v[230:233], v193 offset0:16 offset1:20
	v_mfma_f32_16x16x16f16 v[36:39], v[236:237], v[26:27], v[36:39]
	ds_read2_b64 v[234:237], v41 offset0:80 offset1:84
	s_waitcnt lgkmcnt(1)
	v_mfma_f32_16x16x16f16 v[32:35], v[230:231], v[20:21], v[32:35]
	s_waitcnt lgkmcnt(0)
	v_mfma_f32_16x16x16f16 v[36:39], v[234:235], v[20:21], v[36:39]
	v_mfma_f32_16x16x16f16 v[32:35], v[232:233], v[22:23], v[32:35]
	ds_read2_b64 v[230:233], v193 offset0:24 offset1:28
	v_mfma_f32_16x16x16f16 v[36:39], v[236:237], v[22:23], v[36:39]
	;; [unrolled: 8-line block ×6, first 2 shown]
	ds_read2_b64 v[234:237], v41 offset0:120 offset1:124
	s_waitcnt lgkmcnt(0)
	s_barrier
	v_mfma_f32_16x16x16f16 v[32:35], v[230:231], v[0:1], v[32:35]
	v_mfma_f32_16x16x16f16 v[238:241], v[234:235], v[0:1], v[36:39]
	;; [unrolled: 1-line block ×4, first 2 shown]
	s_cbranch_vccnz .LBB29_523
; %bb.522:                              ;   in Loop: Header=BB29_515 Depth=1
	ds_read2_b32 v[108:109], v194 offset1:1
	ds_read_b32 v82, v111 offset:33792
	ds_read_b32 v232, v112 offset:33792
	v_mov_b32_e32 v41, v40
	s_waitcnt lgkmcnt(2)
	v_cvt_f32_f16_e32 v230, v108
	v_cvt_f32_f16_sdwa v231, v108 dst_sel:DWORD dst_unused:UNUSED_PAD src0_sel:WORD_1
	v_cvt_f32_f16_e32 v108, v109
	v_cvt_f32_f16_sdwa v109, v109 dst_sel:DWORD dst_unused:UNUSED_PAD src0_sel:WORD_1
	s_waitcnt lgkmcnt(1)
	v_cvt_f32_f16_sdwa v233, v82 dst_sel:DWORD dst_unused:UNUSED_PAD src0_sel:WORD_1
	s_waitcnt lgkmcnt(0)
	v_cvt_f32_f16_sdwa v235, v232 dst_sel:DWORD dst_unused:UNUSED_PAD src0_sel:WORD_1
	v_cvt_f32_f16_e32 v234, v232
	v_cvt_f32_f16_e32 v232, v82
	v_pk_fma_f32 v[38:39], v[40:41], v[108:109], v[38:39]
	v_pk_fma_f32 v[36:37], v[42:43], v[230:231], v[36:37]
	;; [unrolled: 1-line block ×4, first 2 shown]
.LBB29_523:                             ;   in Loop: Header=BB29_515 Depth=1
	s_nop 7
	s_nop 0
	v_add_f32_e32 v41, 0x40051340, v36
	v_max_f32_e32 v82, v228, v228
	v_max_f32_e32 v41, v82, v41
	v_cndmask_b32_e64 v41, v228, v41, s[14:15]
	v_add_f32_e32 v82, 0x40051340, v37
	v_max_f32_e32 v108, v41, v41
	v_max_f32_e32 v82, v108, v82
	v_cndmask_b32_e64 v41, v41, v82, s[16:17]
	;; [unrolled: 4-line block ×8, first 2 shown]
	ds_bpermute_b32 v82, v102, v41
	v_max_f32_e32 v41, v41, v41
	v_cndmask_b32_e64 v38, v38, v38, s[16:17]
	v_cndmask_b32_e64 v39, v39, v39, s[16:17]
	;; [unrolled: 1-line block ×3, first 2 shown]
	s_waitcnt lgkmcnt(0)
	v_max_f32_e32 v82, v82, v82
	v_max_f32_e32 v41, v41, v82
	ds_bpermute_b32 v82, v103, v41
	v_cndmask_b32_e64 v34, v34, v34, s[22:23]
	v_cndmask_b32_e64 v35, v35, v35, s[22:23]
	s_mul_hi_i32 s31, s42, s86
	s_mul_i32 s30, s42, s86
	s_waitcnt lgkmcnt(0)
	v_max_f32_e32 v82, v82, v82
	v_max_f32_e32 v41, v41, v82
	v_sub_f32_e32 v36, v36, v41
	v_mul_f32_e32 v82, 0x3fb8aa3b, v36
	v_fma_f32 v108, v36, s49, -v82
	v_rndne_f32_e32 v109, v82
	v_fmac_f32_e32 v108, 0x32a5705f, v36
	v_sub_f32_e32 v82, v82, v109
	v_add_f32_e32 v82, v82, v108
	v_exp_f32_e32 v82, v82
	v_cvt_i32_f32_e32 v108, v109
	v_cmp_ngt_f32_e32 vcc, s50, v36
	v_sub_f32_e32 v37, v37, v41
	v_sub_f32_e32 v38, v38, v41
	v_ldexp_f32 v82, v82, v108
	v_cndmask_b32_e32 v82, 0, v82, vcc
	v_cmp_nlt_f32_e32 vcc, s51, v36
	v_cndmask_b32_e32 v36, v196, v82, vcc
	v_mul_f32_e32 v82, 0x3fb8aa3b, v37
	v_fma_f32 v108, v37, s49, -v82
	v_rndne_f32_e32 v109, v82
	v_fmac_f32_e32 v108, 0x32a5705f, v37
	v_sub_f32_e32 v82, v82, v109
	v_add_f32_e32 v82, v82, v108
	v_exp_f32_e32 v82, v82
	v_cvt_i32_f32_e32 v108, v109
	v_cmp_ngt_f32_e32 vcc, s50, v37
	v_cndmask_b32_e64 v36, 0, v36, s[14:15]
	v_sub_f32_e32 v32, v32, v41
	v_ldexp_f32 v82, v82, v108
	v_cndmask_b32_e32 v82, 0, v82, vcc
	v_cmp_nlt_f32_e32 vcc, s51, v37
	v_cndmask_b32_e32 v82, v196, v82, vcc
	v_mov_b32_e32 v37, s47
	v_add_f32_e32 v108, v82, v36
	v_cndmask_b32_e64 v109, v37, v82, s[16:17]
	v_mul_f32_e32 v82, 0x3fb8aa3b, v38
	v_cndmask_b32_e64 v37, v36, v108, s[16:17]
	v_fma_f32 v108, v38, s49, -v82
	v_rndne_f32_e32 v230, v82
	v_fmac_f32_e32 v108, 0x32a5705f, v38
	v_sub_f32_e32 v82, v82, v230
	v_add_f32_e32 v82, v82, v108
	v_exp_f32_e32 v82, v82
	v_cvt_i32_f32_e32 v108, v230
	v_cmp_ngt_f32_e32 vcc, s50, v38
	v_sub_f32_e32 v33, v33, v41
	s_lshl_b64 s[30:31], s[30:31], 2
	v_ldexp_f32 v82, v82, v108
	v_cndmask_b32_e32 v82, 0, v82, vcc
	v_cmp_nlt_f32_e32 vcc, s51, v38
	v_cndmask_b32_e32 v82, v196, v82, vcc
	v_add_f32_e32 v108, v37, v82
	v_mov_b32_e32 v38, s47
	v_cndmask_b32_e64 v38, v38, v82, s[18:19]
	v_cndmask_b32_e64 v82, v37, v108, s[18:19]
	v_sub_f32_e32 v37, v39, v41
	v_mul_f32_e32 v39, 0x3fb8aa3b, v37
	v_fma_f32 v108, v37, s49, -v39
	v_rndne_f32_e32 v230, v39
	v_fmac_f32_e32 v108, 0x32a5705f, v37
	v_sub_f32_e32 v39, v39, v230
	v_add_f32_e32 v39, v39, v108
	v_exp_f32_e32 v39, v39
	v_cvt_i32_f32_e32 v108, v230
	v_cmp_ngt_f32_e32 vcc, s50, v37
	s_add_u32 s30, s33, s30
	s_addc_u32 s31, s38, s31
	v_ldexp_f32 v39, v39, v108
	v_cndmask_b32_e32 v39, 0, v39, vcc
	v_cmp_nlt_f32_e32 vcc, s51, v37
	v_cndmask_b32_e32 v39, v196, v39, vcc
	v_add_f32_e32 v108, v82, v39
	v_mov_b32_e32 v37, s47
	v_cndmask_b32_e64 v37, v37, v39, s[20:21]
	v_cndmask_b32_e64 v39, v82, v108, s[20:21]
	v_mul_f32_e32 v82, 0x3fb8aa3b, v32
	v_fma_f32 v108, v32, s49, -v82
	v_rndne_f32_e32 v230, v82
	v_fmac_f32_e32 v108, 0x32a5705f, v32
	v_sub_f32_e32 v82, v82, v230
	v_add_f32_e32 v82, v82, v108
	v_exp_f32_e32 v82, v82
	v_cvt_i32_f32_e32 v108, v230
	v_cmp_ngt_f32_e32 vcc, s50, v32
	buffer_store_dword v99, off, s[0:3], 0
	buffer_store_dword v99, off, s[0:3], 0 offset:4
	buffer_store_dword v99, off, s[0:3], 0 offset:8
	;; [unrolled: 1-line block ×3, first 2 shown]
	s_add_i32 s48, s48, 1
	v_ldexp_f32 v82, v82, v108
	v_cndmask_b32_e32 v82, 0, v82, vcc
	v_cmp_nlt_f32_e32 vcc, s51, v32
	v_cndmask_b32_e32 v82, v196, v82, vcc
	v_add_f32_e32 v108, v82, v39
	v_mov_b32_e32 v32, s47
	v_cndmask_b32_e64 v230, v32, v82, s[22:23]
	v_cndmask_b32_e64 v32, v39, v108, s[22:23]
	v_mul_f32_e32 v39, 0x3fb8aa3b, v33
	v_fma_f32 v82, v33, s49, -v39
	v_rndne_f32_e32 v108, v39
	v_fmac_f32_e32 v82, 0x32a5705f, v33
	v_sub_f32_e32 v39, v39, v108
	v_add_f32_e32 v39, v39, v82
	v_exp_f32_e32 v39, v39
	v_cvt_i32_f32_e32 v82, v108
	v_cmp_ngt_f32_e32 vcc, s50, v33
	s_add_i32 s42, s42, 64
	v_ldexp_f32 v39, v39, v82
	v_cndmask_b32_e32 v39, 0, v39, vcc
	v_cmp_nlt_f32_e32 vcc, s51, v33
	v_cndmask_b32_e32 v39, v196, v39, vcc
	v_add_f32_e32 v82, v39, v32
	v_mov_b32_e32 v33, s47
	v_cndmask_b32_e64 v39, v33, v39, s[24:25]
	v_cndmask_b32_e64 v33, v32, v82, s[24:25]
	v_sub_f32_e32 v32, v34, v41
	v_mul_f32_e32 v34, 0x3fb8aa3b, v32
	v_fma_f32 v82, v32, s49, -v34
	v_rndne_f32_e32 v108, v34
	v_fmac_f32_e32 v82, 0x32a5705f, v32
	v_sub_f32_e32 v34, v34, v108
	v_add_f32_e32 v34, v34, v82
	v_exp_f32_e32 v34, v34
	v_cvt_i32_f32_e32 v82, v108
	v_cmp_ngt_f32_e32 vcc, s50, v32
	v_ldexp_f32 v34, v34, v82
	v_cndmask_b32_e32 v34, 0, v34, vcc
	v_cmp_nlt_f32_e32 vcc, s51, v32
	v_cndmask_b32_e32 v34, v196, v34, vcc
	v_add_f32_e32 v82, v34, v33
	v_mov_b32_e32 v32, s47
	v_cndmask_b32_e64 v108, v32, v34, s[26:27]
	v_cndmask_b32_e64 v32, v33, v82, s[26:27]
	v_sub_f32_e32 v33, v35, v41
	v_mul_f32_e32 v34, 0x3fb8aa3b, v33
	v_fma_f32 v35, v33, s49, -v34
	v_rndne_f32_e32 v82, v34
	v_fmac_f32_e32 v35, 0x32a5705f, v33
	v_sub_f32_e32 v34, v34, v82
	v_add_f32_e32 v34, v34, v35
	v_exp_f32_e32 v34, v34
	v_cvt_i32_f32_e32 v35, v82
	v_cmp_ngt_f32_e32 vcc, s50, v33
	v_ldexp_f32 v34, v34, v35
	v_cndmask_b32_e32 v34, 0, v34, vcc
	v_cmp_nlt_f32_e32 vcc, s51, v33
	v_cndmask_b32_e32 v34, v196, v34, vcc
	v_add_f32_e32 v35, v34, v32
	v_mov_b32_e32 v33, s47
	v_cndmask_b32_e64 v82, v32, v35, s[28:29]
	v_sub_f32_e32 v32, v228, v41
	v_cndmask_b32_e64 v33, v33, v34, s[28:29]
	v_mul_f32_e32 v34, 0x3fb8aa3b, v32
	v_fma_f32 v35, v32, s49, -v34
	v_rndne_f32_e32 v228, v34
	v_fmac_f32_e32 v35, 0x32a5705f, v32
	v_sub_f32_e32 v34, v34, v228
	v_add_f32_e32 v34, v34, v35
	v_exp_f32_e32 v34, v34
	v_cvt_i32_f32_e32 v35, v228
	v_cmp_ngt_f32_e32 vcc, s50, v32
	v_cvt_f16_f32_e32 v33, v33
	v_mov_b32_e32 v228, s41
	v_ldexp_f32 v34, v34, v35
	v_cndmask_b32_e32 v34, 0, v34, vcc
	v_cmp_nlt_f32_e32 vcc, s51, v32
	v_cndmask_b32_e32 v34, v196, v34, vcc
	v_cmp_le_f32_e32 vcc, s52, v32
	v_cndmask_b32_e32 v32, 0, v34, vcc
	v_fmac_f32_e32 v82, v229, v32
	v_cvt_f16_f32_e32 v32, v32
	v_cvt_f16_f32_e32 v34, v109
	;; [unrolled: 1-line block ×3, first 2 shown]
	v_mov_b32_e32 v37, s31
	v_pk_mul_f16 v208, v32, v208 op_sel_hi:[0,1]
	v_pk_mul_f16 v207, v32, v207 op_sel_hi:[0,1]
	;; [unrolled: 1-line block ×32, first 2 shown]
	v_cvt_f16_f32_e32 v32, v36
	v_cvt_f16_f32_e32 v36, v39
	v_mov_b32_e32 v229, s40
	v_pack_b32_f16 v34, v32, v34
	v_cvt_f16_f32_e32 v32, v38
	v_pack_b32_f16 v35, v32, v35
	v_cvt_f16_f32_e32 v32, v230
	;; [unrolled: 2-line block ×3, first 2 shown]
	v_pack_b32_f16 v33, v36, v33
	v_add_co_u32_e32 v36, vcc, s30, v70
	v_addc_co_u32_e32 v37, vcc, v37, v71, vcc
	v_add_co_u32_e32 v36, vcc, v36, v192
	v_addc_co_u32_e32 v37, vcc, 0, v37, vcc
	v_cndmask_b32_e64 v109, v228, v37, s[6:7]
	v_cndmask_b32_e64 v108, v229, v36, s[6:7]
	v_add_co_u32_e32 v36, vcc, s30, v72
	v_mov_b32_e32 v37, s31
	v_addc_co_u32_e32 v37, vcc, v37, v73, vcc
	v_add_co_u32_e32 v36, vcc, v36, v192
	v_addc_co_u32_e32 v37, vcc, 0, v37, vcc
	v_cndmask_b32_e64 v233, v228, v37, s[34:35]
	v_cndmask_b32_e64 v232, v229, v36, s[34:35]
	v_add_co_u32_e32 v36, vcc, s30, v74
	v_mov_b32_e32 v37, s31
	;; [unrolled: 7-line block ×3, first 2 shown]
	v_addc_co_u32_e32 v37, vcc, v37, v77, vcc
	v_add_co_u32_e32 v36, vcc, v36, v192
	v_addc_co_u32_e32 v37, vcc, 0, v37, vcc
	v_cndmask_b32_e64 v37, v228, v37, s[12:13]
	v_cndmask_b32_e64 v36, v229, v36, s[12:13]
	flat_load_dwordx4 v[228:231], v[108:109]
	v_cmp_lt_i32_e32 vcc, s48, v98
	s_and_b64 vcc, exec, vcc
	s_waitcnt vmcnt(0) lgkmcnt(0)
	ds_write_b128 v104, v[228:231]
	flat_load_dwordx4 v[228:231], v[232:233]
	s_waitcnt vmcnt(0) lgkmcnt(0)
	ds_write_b128 v105, v[228:231]
	flat_load_dwordx4 v[228:231], v[38:39]
	;; [unrolled: 3-line block ×3, first 2 shown]
	v_cvt_f32_f16_e32 v230, v222
	v_cvt_f32_f16_sdwa v231, v222 dst_sel:DWORD dst_unused:UNUSED_PAD src0_sel:WORD_1
	s_waitcnt vmcnt(0) lgkmcnt(0)
	ds_write_b128 v107, v[36:39]
	s_waitcnt lgkmcnt(0)
	s_barrier
	ds_read_u16 v108, v114 offset:528
	ds_read_u16 v109, v114 offset:1056
	v_cvt_f32_f16_e32 v38, v207
	v_cvt_f32_f16_sdwa v39, v207 dst_sel:DWORD dst_unused:UNUSED_PAD src0_sel:WORD_1
	ds_read_u16 v207, v115
	ds_read_u16 v228, v115 offset:32
	v_cvt_f32_f16_e32 v36, v208
	v_cvt_f32_f16_sdwa v37, v208 dst_sel:DWORD dst_unused:UNUSED_PAD src0_sel:WORD_1
	s_waitcnt lgkmcnt(1)
	v_perm_b32 v109, v207, v109, s53
	ds_read_u16 v207, v113
	ds_read_u16 v229, v113 offset:32
	s_waitcnt lgkmcnt(1)
	v_perm_b32 v108, v108, v207, s53
	s_nop 1
	v_mfma_f32_16x16x16f16 v[36:39], v[108:109], v[34:35], v[36:39]
	ds_read_u16 v108, v113 offset:16896
	ds_read_u16 v207, v116 offset:528
	;; [unrolled: 1-line block ×4, first 2 shown]
	s_waitcnt lgkmcnt(2)
	v_perm_b32 v108, v207, v108, s53
	s_waitcnt lgkmcnt(0)
	v_perm_b32 v109, v208, v109, s53
	s_nop 2
	v_cvt_f16_f32_e32 v36, v36
	v_cvt_f16_f32_e32 v37, v37
	;; [unrolled: 1-line block ×4, first 2 shown]
	v_cvt_f32_f16_e32 v36, v36
	v_cvt_f32_f16_e32 v37, v37
	;; [unrolled: 1-line block ×4, first 2 shown]
	s_nop 1
	v_mfma_f32_16x16x16f16 v[36:39], v[108:109], v[32:33], v[36:39]
	ds_read_u16 v108, v117 offset:528
	ds_read_u16 v109, v117 offset:1056
	s_waitcnt lgkmcnt(1)
	v_perm_b32 v108, v108, v229, s53
	s_waitcnt lgkmcnt(0)
	v_perm_b32 v109, v228, v109, s53
	s_nop 4
	v_cvt_f16_f32_e32 v36, v36
	v_cvt_f16_f32_e32 v37, v37
	v_cvt_f16_f32_e32 v38, v38
	v_cvt_f16_f32_e32 v39, v39
	v_pack_b32_f16 v208, v36, v37
	v_cvt_f32_f16_e32 v36, v213
	v_pack_b32_f16 v207, v38, v39
	v_cvt_f32_f16_sdwa v37, v213 dst_sel:DWORD dst_unused:UNUSED_PAD src0_sel:WORD_1
	v_cvt_f32_f16_e32 v38, v110
	v_cvt_f32_f16_sdwa v39, v110 dst_sel:DWORD dst_unused:UNUSED_PAD src0_sel:WORD_1
	s_nop 1
	v_mfma_f32_16x16x16f16 v[36:39], v[108:109], v[34:35], v[36:39]
	ds_read_u16 v108, v118 offset:16896
	ds_read_u16 v110, v119 offset:528
	ds_read_u16 v109, v120 offset:1056
	ds_read_u16 v213, v121 offset:16896
	s_waitcnt lgkmcnt(2)
	v_perm_b32 v108, v110, v108, s53
	s_waitcnt lgkmcnt(0)
	v_perm_b32 v109, v213, v109, s53
	s_nop 2
	v_cvt_f16_f32_e32 v36, v36
	v_cvt_f16_f32_e32 v37, v37
	v_cvt_f16_f32_e32 v38, v38
	v_cvt_f16_f32_e32 v39, v39
	v_cvt_f32_f16_e32 v36, v36
	v_cvt_f32_f16_e32 v37, v37
	v_cvt_f32_f16_e32 v38, v38
	v_cvt_f32_f16_e32 v39, v39
	s_nop 1
	v_mfma_f32_16x16x16f16 v[36:39], v[108:109], v[32:33], v[36:39]
	ds_read_u16 v108, v113 offset:64
	ds_read_u16 v228, v122 offset:528
	ds_read_u16 v109, v122 offset:1056
	ds_read_u16 v229, v115 offset:64
	s_waitcnt lgkmcnt(2)
	v_perm_b32 v108, v228, v108, s53
	s_waitcnt lgkmcnt(0)
	v_perm_b32 v109, v229, v109, s53
	s_nop 2
	v_cvt_f16_f32_e32 v36, v36
	v_cvt_f16_f32_e32 v37, v37
	v_cvt_f16_f32_e32 v38, v38
	v_cvt_f16_f32_e32 v39, v39
	v_pack_b32_f16 v213, v36, v37
	v_cvt_f32_f16_e32 v36, v198
	v_pack_b32_f16 v110, v38, v39
	v_cvt_f32_f16_sdwa v37, v198 dst_sel:DWORD dst_unused:UNUSED_PAD src0_sel:WORD_1
	v_cvt_f32_f16_e32 v38, v197
	v_cvt_f32_f16_sdwa v39, v197 dst_sel:DWORD dst_unused:UNUSED_PAD src0_sel:WORD_1
	s_nop 1
	v_mfma_f32_16x16x16f16 v[36:39], v[108:109], v[34:35], v[36:39]
	ds_read_u16 v108, v123 offset:16896
	ds_read_u16 v197, v124 offset:528
	ds_read_u16 v109, v125 offset:1056
	ds_read_u16 v198, v126 offset:16896
	s_waitcnt lgkmcnt(2)
	v_perm_b32 v108, v197, v108, s53
	s_waitcnt lgkmcnt(0)
	v_perm_b32 v109, v198, v109, s53
	s_nop 2
	v_cvt_f16_f32_e32 v36, v36
	v_cvt_f16_f32_e32 v37, v37
	v_cvt_f16_f32_e32 v38, v38
	v_cvt_f16_f32_e32 v39, v39
	v_cvt_f32_f16_e32 v36, v36
	v_cvt_f32_f16_e32 v37, v37
	v_cvt_f32_f16_e32 v38, v38
	v_cvt_f32_f16_e32 v39, v39
	s_nop 1
	v_mfma_f32_16x16x16f16 v[36:39], v[108:109], v[32:33], v[36:39]
	ds_read_u16 v108, v113 offset:96
	ds_read_u16 v228, v127 offset:528
	;; [unrolled: 40-line block ×11, first 2 shown]
	ds_read_u16 v109, v172 offset:1056
	ds_read_u16 v229, v115 offset:384
	s_waitcnt lgkmcnt(2)
	v_perm_b32 v108, v228, v108, s53
	v_cvt_f32_f16_e32 v228, v223
	s_waitcnt lgkmcnt(0)
	v_perm_b32 v109, v229, v109, s53
	v_cvt_f32_f16_sdwa v229, v223 dst_sel:DWORD dst_unused:UNUSED_PAD src0_sel:WORD_1
	s_nop 0
	v_cvt_f16_f32_e32 v36, v36
	v_cvt_f16_f32_e32 v37, v37
	;; [unrolled: 1-line block ×4, first 2 shown]
	v_pack_b32_f16 v212, v36, v37
	v_cvt_f32_f16_e32 v36, v215
	v_pack_b32_f16 v210, v38, v39
	v_cvt_f32_f16_sdwa v37, v215 dst_sel:DWORD dst_unused:UNUSED_PAD src0_sel:WORD_1
	v_cvt_f32_f16_e32 v38, v214
	v_cvt_f32_f16_sdwa v39, v214 dst_sel:DWORD dst_unused:UNUSED_PAD src0_sel:WORD_1
	s_nop 1
	v_mfma_f32_16x16x16f16 v[36:39], v[108:109], v[34:35], v[36:39]
	ds_read_u16 v108, v173 offset:16896
	ds_read_u16 v214, v174 offset:528
	;; [unrolled: 1-line block ×4, first 2 shown]
	s_waitcnt lgkmcnt(2)
	v_perm_b32 v108, v214, v108, s53
	s_waitcnt lgkmcnt(0)
	v_perm_b32 v109, v215, v109, s53
	s_nop 2
	v_cvt_f16_f32_e32 v36, v36
	v_cvt_f16_f32_e32 v37, v37
	;; [unrolled: 1-line block ×4, first 2 shown]
	v_cvt_f32_f16_e32 v36, v36
	v_cvt_f32_f16_e32 v37, v37
	;; [unrolled: 1-line block ×4, first 2 shown]
	s_nop 1
	v_mfma_f32_16x16x16f16 v[36:39], v[108:109], v[32:33], v[36:39]
	s_nop 7
	s_nop 2
	v_cvt_f16_f32_e32 v36, v36
	v_cvt_f16_f32_e32 v37, v37
	;; [unrolled: 1-line block ×4, first 2 shown]
	v_pack_b32_f16 v215, v36, v37
	v_pack_b32_f16 v214, v38, v39
	ds_read_u16 v36, v113 offset:416
	ds_read_u16 v37, v177 offset:528
	;; [unrolled: 1-line block ×8, first 2 shown]
	s_waitcnt lgkmcnt(2)
	v_perm_b32 v108, v222, v108, s53
	v_perm_b32 v39, v39, v38, s53
	;; [unrolled: 1-line block ×3, first 2 shown]
	s_waitcnt lgkmcnt(0)
	v_perm_b32 v109, v223, v109, s53
	v_mfma_f32_16x16x16f16 v[36:39], v[38:39], v[34:35], v[228:231]
	s_nop 7
	s_nop 2
	v_cvt_f16_f32_e32 v36, v36
	v_cvt_f16_f32_e32 v37, v37
	;; [unrolled: 1-line block ×4, first 2 shown]
	v_cvt_f32_f16_e32 v36, v36
	v_cvt_f32_f16_e32 v37, v37
	;; [unrolled: 1-line block ×4, first 2 shown]
	s_nop 1
	v_mfma_f32_16x16x16f16 v[36:39], v[108:109], v[32:33], v[36:39]
	ds_read_u16 v108, v113 offset:448
	ds_read_u16 v228, v182 offset:528
	;; [unrolled: 1-line block ×4, first 2 shown]
	s_waitcnt lgkmcnt(2)
	v_perm_b32 v108, v228, v108, s53
	s_waitcnt lgkmcnt(0)
	v_perm_b32 v109, v229, v109, s53
	s_nop 2
	v_cvt_f16_f32_e32 v36, v36
	v_cvt_f16_f32_e32 v37, v37
	;; [unrolled: 1-line block ×4, first 2 shown]
	v_pack_b32_f16 v223, v36, v37
	v_cvt_f32_f16_e32 v36, v225
	v_pack_b32_f16 v222, v38, v39
	v_cvt_f32_f16_sdwa v37, v225 dst_sel:DWORD dst_unused:UNUSED_PAD src0_sel:WORD_1
	v_cvt_f32_f16_e32 v38, v224
	v_cvt_f32_f16_sdwa v39, v224 dst_sel:DWORD dst_unused:UNUSED_PAD src0_sel:WORD_1
	s_nop 1
	v_mfma_f32_16x16x16f16 v[36:39], v[108:109], v[34:35], v[36:39]
	ds_read_u16 v108, v183 offset:16896
	ds_read_u16 v224, v184 offset:528
	;; [unrolled: 1-line block ×4, first 2 shown]
	s_waitcnt lgkmcnt(2)
	v_perm_b32 v108, v224, v108, s53
	s_waitcnt lgkmcnt(0)
	v_perm_b32 v109, v225, v109, s53
	s_nop 2
	v_cvt_f16_f32_e32 v36, v36
	v_cvt_f16_f32_e32 v37, v37
	;; [unrolled: 1-line block ×4, first 2 shown]
	v_cvt_f32_f16_e32 v36, v36
	v_cvt_f32_f16_e32 v37, v37
	;; [unrolled: 1-line block ×4, first 2 shown]
	s_nop 1
	v_mfma_f32_16x16x16f16 v[36:39], v[108:109], v[32:33], v[36:39]
	ds_read_u16 v108, v113 offset:480
	ds_read_u16 v228, v187 offset:528
	ds_read_u16 v109, v187 offset:1056
	ds_read_u16 v229, v115 offset:480
	s_waitcnt lgkmcnt(2)
	v_perm_b32 v108, v228, v108, s53
	s_waitcnt lgkmcnt(0)
	v_perm_b32 v109, v229, v109, s53
	s_nop 2
	v_cvt_f16_f32_e32 v36, v36
	v_cvt_f16_f32_e32 v37, v37
	;; [unrolled: 1-line block ×4, first 2 shown]
	v_pack_b32_f16 v225, v36, v37
	v_cvt_f32_f16_e32 v36, v227
	v_pack_b32_f16 v224, v38, v39
	v_cvt_f32_f16_sdwa v37, v227 dst_sel:DWORD dst_unused:UNUSED_PAD src0_sel:WORD_1
	v_cvt_f32_f16_e32 v38, v226
	v_cvt_f32_f16_sdwa v39, v226 dst_sel:DWORD dst_unused:UNUSED_PAD src0_sel:WORD_1
	s_nop 1
	v_mfma_f32_16x16x16f16 v[34:37], v[108:109], v[34:35], v[36:39]
	s_nop 6
	ds_read_u16 v38, v188 offset:16896
	ds_read_u16 v108, v189 offset:528
	;; [unrolled: 1-line block ×4, first 2 shown]
	s_waitcnt lgkmcnt(0)
	s_barrier
	v_perm_b32 v38, v108, v38, s53
	v_perm_b32 v39, v109, v39, s53
	v_cvt_f16_f32_e32 v34, v34
	v_cvt_f16_f32_e32 v35, v35
	v_cvt_f16_f32_e32 v36, v36
	v_cvt_f16_f32_e32 v37, v37
	v_cvt_f32_f16_e32 v34, v34
	v_cvt_f32_f16_e32 v35, v35
	;; [unrolled: 1-line block ×4, first 2 shown]
	s_nop 1
	v_mfma_f32_16x16x16f16 v[32:35], v[38:39], v[32:33], v[34:37]
	s_nop 7
	s_nop 2
	v_cvt_f16_f32_e32 v32, v32
	v_cvt_f16_f32_e32 v33, v33
	;; [unrolled: 1-line block ×4, first 2 shown]
	v_pack_b32_f16 v227, v32, v33
	v_pack_b32_f16 v226, v34, v35
	s_cbranch_vccz .LBB29_527
; %bb.524:                              ;   in Loop: Header=BB29_515 Depth=1
	v_mov_b32_e32 v229, v82
	v_mov_b32_e32 v228, v41
	s_branch .LBB29_515
.LBB29_525:
                                        ; implicit-def: $sgpr10_sgpr11
                                        ; kill: killed $sgpr10_sgpr11
	s_load_dwordx2 s[98:99], s[4:5], 0x5c
	s_branch .LBB29_7
.LBB29_526:
	v_mov_b32_e32 v82, 0
	v_mov_b32_e32 v41, 0xfeffffff
	v_mov_b32_e32 v208, 0
	v_mov_b32_e32 v110, 0
	v_mov_b32_e32 v213, 0
	v_mov_b32_e32 v197, 0
	v_mov_b32_e32 v198, 0
	v_mov_b32_e32 v199, 0
	v_mov_b32_e32 v200, 0
	v_mov_b32_e32 v201, 0
	v_mov_b32_e32 v202, 0
	v_mov_b32_e32 v203, 0
	v_mov_b32_e32 v204, 0
	v_mov_b32_e32 v205, 0
	v_mov_b32_e32 v206, 0
	v_mov_b32_e32 v220, 0
	v_mov_b32_e32 v221, 0
	v_mov_b32_e32 v218, 0
	v_mov_b32_e32 v219, 0
	v_mov_b32_e32 v209, 0
	v_mov_b32_e32 v211, 0
	v_mov_b32_e32 v216, 0
	v_mov_b32_e32 v217, 0
	v_mov_b32_e32 v210, 0
	v_mov_b32_e32 v212, 0
	v_mov_b32_e32 v214, 0
	v_mov_b32_e32 v215, 0
	v_mov_b32_e32 v222, 0
	v_mov_b32_e32 v223, 0
	v_mov_b32_e32 v224, 0
	v_mov_b32_e32 v225, 0
	v_mov_b32_e32 v226, 0
	v_mov_b32_e32 v227, 0
	s_branch .LBB29_528
.LBB29_527:
	s_mov_b32 s34, s61
	v_mov_b32_e32 v108, v242
.LBB29_528:
	s_lshl_b32 s12, s48, 6
	v_readlane_b32 s4, v254, 4
	s_sub_i32 s22, s4, s12
	s_cmp_lg_u64 s[8:9], 0
	s_cselect_b64 s[14:15], -1, 0
	s_ashr_i32 s13, s12, 31
	s_cmp_eq_u64 s[8:9], 0
	v_readlane_b32 s5, v254, 5
	s_cbranch_scc1 .LBB29_546
; %bb.529:
	s_lshl_b64 s[4:5], s[12:13], 1
	s_add_u32 s4, s8, s4
	s_addc_u32 s5, s9, s5
	v_mov_b32_e32 v33, s5
	v_add_co_u32_e64 v32, s[4:5], s4, v97
	v_cmp_gt_i32_e32 vcc, s22, v66
	v_mov_b32_e32 v35, 0
	v_addc_co_u32_e64 v33, s[4:5], 0, v33, s[4:5]
	v_mov_b32_e32 v37, 0
	s_and_saveexec_b64 s[6:7], vcc
	s_cbranch_execz .LBB29_531
; %bb.530:
	v_mul_hi_u32 v34, s98, v85
	v_add_u32_e32 v34, v85, v34
	v_lshrrev_b32_e32 v34, s99, v34
	v_mul_lo_u32 v34, v34, s84
	v_sub_u32_e32 v34, v85, v34
	v_mad_i64_i32 v[36:37], s[4:5], v34, s88, 0
	v_lshlrev_b64 v[36:37], 1, v[36:37]
	v_add_co_u32_e64 v36, s[4:5], v32, v36
	v_addc_co_u32_e64 v37, s[4:5], v33, v37, s[4:5]
	flat_load_ushort v37, v[36:37]
.LBB29_531:
	s_or_b64 exec, exec, s[6:7]
	v_lshl_add_u32 v34, v66, 1, 0
	s_movk_i32 s4, 0x90
	v_mul_u32_u24_e32 v36, 0x90, v246
	v_mad_u32_u24 v38, v246, s4, v34
	s_waitcnt vmcnt(0) lgkmcnt(0)
	ds_write_b16 v38, v37 offset:33792
	s_and_saveexec_b64 s[6:7], vcc
	s_cbranch_execz .LBB29_533
; %bb.532:
	v_mul_hi_u32 v35, s98, v86
	v_add_u32_e32 v35, v86, v35
	v_lshrrev_b32_e32 v35, s99, v35
	v_mul_lo_u32 v35, v35, s84
	v_sub_u32_e32 v35, v86, v35
	v_mad_i64_i32 v[38:39], s[4:5], v35, s88, 0
	v_lshlrev_b64 v[38:39], 1, v[38:39]
	v_add_co_u32_e64 v38, s[4:5], v32, v38
	v_addc_co_u32_e64 v39, s[4:5], v33, v39, s[4:5]
	flat_load_ushort v35, v[38:39]
.LBB29_533:
	s_or_b64 exec, exec, s[6:7]
	v_add_u32_e32 v34, v36, v34
	s_waitcnt vmcnt(0) lgkmcnt(0)
	ds_write_b16 v34, v35 offset:34944
	v_mov_b32_e32 v35, 0
	v_mov_b32_e32 v36, 0
	s_and_saveexec_b64 s[6:7], vcc
	s_cbranch_execz .LBB29_535
; %bb.534:
	v_mul_hi_u32 v36, s98, v87
	v_add_u32_e32 v36, v87, v36
	v_lshrrev_b32_e32 v36, s99, v36
	v_mul_lo_u32 v36, v36, s84
	v_sub_u32_e32 v36, v87, v36
	v_mad_i64_i32 v[36:37], s[4:5], v36, s88, 0
	v_lshlrev_b64 v[36:37], 1, v[36:37]
	v_add_co_u32_e64 v36, s[4:5], v32, v36
	v_addc_co_u32_e64 v37, s[4:5], v33, v37, s[4:5]
	flat_load_ushort v36, v[36:37]
.LBB29_535:
	s_or_b64 exec, exec, s[6:7]
	s_waitcnt vmcnt(0) lgkmcnt(0)
	ds_write_b16 v34, v36 offset:36096
	s_and_saveexec_b64 s[6:7], vcc
	s_cbranch_execz .LBB29_537
; %bb.536:
	v_mul_hi_u32 v35, s98, v88
	v_add_u32_e32 v35, v88, v35
	v_lshrrev_b32_e32 v35, s99, v35
	v_mul_lo_u32 v35, v35, s84
	v_sub_u32_e32 v35, v88, v35
	v_mad_i64_i32 v[36:37], s[4:5], v35, s88, 0
	v_lshlrev_b64 v[36:37], 1, v[36:37]
	v_add_co_u32_e64 v36, s[4:5], v32, v36
	v_addc_co_u32_e64 v37, s[4:5], v33, v37, s[4:5]
	flat_load_ushort v35, v[36:37]
.LBB29_537:
	s_or_b64 exec, exec, s[6:7]
	s_waitcnt vmcnt(0) lgkmcnt(0)
	ds_write_b16 v34, v35 offset:37248
	v_mov_b32_e32 v35, 0
	v_mov_b32_e32 v36, 0
	s_and_saveexec_b64 s[6:7], vcc
	s_cbranch_execz .LBB29_539
; %bb.538:
	v_mul_hi_u32 v36, s98, v89
	v_add_u32_e32 v36, v89, v36
	v_lshrrev_b32_e32 v36, s99, v36
	v_mul_lo_u32 v36, v36, s84
	v_sub_u32_e32 v36, v89, v36
	v_mad_i64_i32 v[36:37], s[4:5], v36, s88, 0
	v_lshlrev_b64 v[36:37], 1, v[36:37]
	v_add_co_u32_e64 v36, s[4:5], v32, v36
	v_addc_co_u32_e64 v37, s[4:5], v33, v37, s[4:5]
	flat_load_ushort v36, v[36:37]
.LBB29_539:
	s_or_b64 exec, exec, s[6:7]
	s_waitcnt vmcnt(0) lgkmcnt(0)
	ds_write_b16 v34, v36 offset:38400
	s_and_saveexec_b64 s[6:7], vcc
	s_cbranch_execz .LBB29_541
; %bb.540:
	v_mul_hi_u32 v35, s98, v91
	v_add_u32_e32 v35, v91, v35
	v_lshrrev_b32_e32 v35, s99, v35
	v_mul_lo_u32 v35, v35, s84
	v_sub_u32_e32 v35, v91, v35
	v_mad_i64_i32 v[36:37], s[4:5], v35, s88, 0
	v_lshlrev_b64 v[36:37], 1, v[36:37]
	v_add_co_u32_e64 v36, s[4:5], v32, v36
	v_addc_co_u32_e64 v37, s[4:5], v33, v37, s[4:5]
	flat_load_ushort v35, v[36:37]
.LBB29_541:
	s_or_b64 exec, exec, s[6:7]
	s_waitcnt vmcnt(0) lgkmcnt(0)
	ds_write_b16 v34, v35 offset:39552
	v_mov_b32_e32 v35, 0
	v_mov_b32_e32 v36, 0
	s_and_saveexec_b64 s[6:7], vcc
	s_cbranch_execz .LBB29_543
; %bb.542:
	v_mul_hi_u32 v36, s98, v92
	v_add_u32_e32 v36, v92, v36
	v_lshrrev_b32_e32 v36, s99, v36
	v_mul_lo_u32 v36, v36, s84
	v_sub_u32_e32 v36, v92, v36
	v_mad_i64_i32 v[36:37], s[4:5], v36, s88, 0
	v_lshlrev_b64 v[36:37], 1, v[36:37]
	v_add_co_u32_e64 v36, s[4:5], v32, v36
	v_addc_co_u32_e64 v37, s[4:5], v33, v37, s[4:5]
	flat_load_ushort v36, v[36:37]
.LBB29_543:
	s_or_b64 exec, exec, s[6:7]
	s_waitcnt vmcnt(0) lgkmcnt(0)
	ds_write_b16 v34, v36 offset:40704
	s_and_saveexec_b64 s[4:5], vcc
	s_cbranch_execz .LBB29_545
; %bb.544:
	v_mul_hi_u32 v35, s98, v95
	v_add_u32_e32 v35, v95, v35
	v_lshrrev_b32_e32 v35, s99, v35
	v_mul_lo_u32 v35, v35, s84
	v_sub_u32_e32 v35, v95, v35
	v_mad_i64_i32 v[36:37], s[6:7], v35, s88, 0
	v_lshlrev_b64 v[36:37], 1, v[36:37]
	v_add_co_u32_e32 v32, vcc, v32, v36
	v_addc_co_u32_e32 v33, vcc, v33, v37, vcc
	flat_load_ushort v35, v[32:33]
.LBB29_545:
	s_or_b64 exec, exec, s[4:5]
	s_waitcnt vmcnt(0) lgkmcnt(0)
	ds_write_b16 v34, v35 offset:41856
.LBB29_546:
	s_mul_hi_i32 s5, s12, s66
	s_mul_i32 s4, s12, s66
	v_lshl_add_u32 v34, v246, 1, v96
	s_lshl_b64 s[4:5], s[4:5], 2
	v_mul_lo_u32 v42, s66, v34
	s_add_u32 s8, s39, s4
	v_ashrrev_i32_e32 v43, 31, v42
	s_addc_u32 s9, s46, s5
	v_mov_b32_e32 v32, 0
	v_lshlrev_b64 v[36:37], 2, v[42:43]
	buffer_store_dword v32, off, s[0:3], 0
	buffer_store_dword v32, off, s[0:3], 0 offset:4
	buffer_store_dword v32, off, s[0:3], 0 offset:8
	;; [unrolled: 1-line block ×3, first 2 shown]
	v_and_b32_e32 v32, 0x7c, v67
	v_mov_b32_e32 v33, s9
	v_add_co_u32_e32 v35, vcc, s8, v36
	v_lshlrev_b32_e32 v32, 2, v32
	v_addc_co_u32_e32 v33, vcc, v33, v37, vcc
	s_mov_b64 s[4:5], src_private_base
	v_add_co_u32_e32 v35, vcc, v35, v32
	v_addc_co_u32_e32 v33, vcc, 0, v33, vcc
	v_mov_b32_e32 v46, s5
	v_cmp_gt_i32_e64 s[10:11], s22, v34
	v_mov_b32_e32 v47, 0
	v_cndmask_b32_e64 v37, v46, v33, s[10:11]
	v_cndmask_b32_e64 v36, v47, v35, s[10:11]
	flat_load_dwordx4 v[36:39], v[36:37]
	s_lshl_b32 s13, s66, 4
	v_add_u32_e32 v42, s13, v42
	v_ashrrev_i32_e32 v43, 31, v42
	v_lshlrev_b64 v[44:45], 2, v[42:43]
	v_mov_b32_e32 v48, s9
	v_add_co_u32_e32 v43, vcc, s8, v44
	v_addc_co_u32_e32 v44, vcc, v48, v45, vcc
	v_mul_u32_u24_e32 v33, 0x210, v34
	v_add_u32_e32 v35, 16, v34
	v_add_co_u32_e32 v43, vcc, v43, v32
	v_add3_u32 v33, 0, v33, v32
	v_addc_co_u32_e32 v44, vcc, 0, v44, vcc
	v_cmp_gt_i32_e64 s[6:7], s22, v35
	v_cndmask_b32_e64 v45, v46, v44, s[6:7]
	v_cndmask_b32_e64 v44, v47, v43, s[6:7]
	v_add_u32_e32 v42, s13, v42
	v_ashrrev_i32_e32 v43, 31, v42
	v_add_u32_e32 v35, 32, v34
	v_cmp_gt_i32_e64 s[4:5], s22, v35
	v_add_u32_e32 v35, 48, v34
	v_cmp_gt_i32_e64 s[16:17], s22, v35
	v_and_b32_e32 v35, 16, v108
	s_waitcnt vmcnt(0) lgkmcnt(0)
	ds_write_b128 v33, v[36:39]
	flat_load_dwordx4 v[36:39], v[44:45]
	v_lshlrev_b64 v[44:45], 2, v[42:43]
	v_add_co_u32_e32 v43, vcc, s8, v44
	v_addc_co_u32_e32 v44, vcc, v48, v45, vcc
	v_add_co_u32_e32 v43, vcc, v43, v32
	v_addc_co_u32_e32 v44, vcc, 0, v44, vcc
	v_cndmask_b32_e64 v45, v46, v44, s[4:5]
	v_cndmask_b32_e64 v44, v47, v43, s[4:5]
	v_add_u32_e32 v42, s13, v42
	v_ashrrev_i32_e32 v43, 31, v42
	v_lshlrev_b64 v[42:43], 2, v[42:43]
	v_add_co_u32_e32 v42, vcc, s8, v42
	s_waitcnt vmcnt(0) lgkmcnt(0)
	ds_write_b128 v33, v[36:39] offset:8448
	flat_load_dwordx4 v[36:39], v[44:45]
	v_mov_b32_e32 v44, s9
	v_addc_co_u32_e32 v43, vcc, v44, v43, vcc
	v_add_co_u32_e32 v42, vcc, v42, v32
	v_addc_co_u32_e32 v43, vcc, 0, v43, vcc
	v_cndmask_b32_e64 v43, v46, v43, s[16:17]
	v_cndmask_b32_e64 v42, v47, v42, s[16:17]
	s_and_b64 vcc, exec, s[14:15]
	s_waitcnt vmcnt(0) lgkmcnt(0)
	ds_write_b128 v33, v[36:39] offset:16896
	flat_load_dwordx4 v[36:39], v[42:43]
	v_add_u32_e32 v42, 0, v93
	v_mul_u32_u24_e32 v43, 0x210, v35
	v_add3_u32 v54, v42, v94, v43
	v_add_u32_e32 v55, 0x4000, v54
	s_waitcnt vmcnt(0) lgkmcnt(0)
	ds_write_b128 v33, v[36:39] offset:25344
	s_waitcnt lgkmcnt(0)
	s_barrier
	ds_read2_b64 v[36:39], v54 offset1:4
	ds_read2_b64 v[46:49], v55 offset0:64 offset1:68
	s_waitcnt lgkmcnt(1)
	v_mfma_f32_16x16x16f16 v[42:45], v[36:37], v[28:29], 0
	s_waitcnt lgkmcnt(0)
	v_mfma_f32_16x16x16f16 v[50:53], v[46:47], v[28:29], 0
	v_mfma_f32_16x16x16f16 v[36:39], v[38:39], v[30:31], v[42:45]
	;; [unrolled: 1-line block ×3, first 2 shown]
	s_nop 6
	ds_read2_b64 v[42:45], v54 offset0:8 offset1:12
	ds_read2_b64 v[46:49], v55 offset0:72 offset1:76
	s_waitcnt lgkmcnt(1)
	v_mfma_f32_16x16x16f16 v[36:39], v[42:43], v[24:25], v[36:39]
	s_waitcnt lgkmcnt(0)
	v_mfma_f32_16x16x16f16 v[28:31], v[46:47], v[24:25], v[28:31]
	v_mfma_f32_16x16x16f16 v[36:39], v[44:45], v[26:27], v[36:39]
	ds_read2_b64 v[42:45], v55 offset0:80 offset1:84
	v_mfma_f32_16x16x16f16 v[24:27], v[48:49], v[26:27], v[28:31]
	s_nop 7
	ds_read2_b64 v[28:31], v54 offset0:16 offset1:20
	s_waitcnt lgkmcnt(0)
	v_mfma_f32_16x16x16f16 v[36:39], v[28:29], v[20:21], v[36:39]
	v_mfma_f32_16x16x16f16 v[24:27], v[42:43], v[20:21], v[24:27]
	v_mfma_f32_16x16x16f16 v[28:31], v[30:31], v[22:23], v[36:39]
	v_mfma_f32_16x16x16f16 v[20:23], v[44:45], v[22:23], v[24:27]
	s_nop 7
	ds_read2_b64 v[36:39], v55 offset0:88 offset1:92
	ds_read2_b64 v[24:27], v54 offset0:24 offset1:28
	s_waitcnt lgkmcnt(0)
	v_mfma_f32_16x16x16f16 v[28:31], v[24:25], v[16:17], v[28:31]
	v_mfma_f32_16x16x16f16 v[20:23], v[36:37], v[16:17], v[20:23]
	v_mfma_f32_16x16x16f16 v[24:27], v[26:27], v[18:19], v[28:31]
	v_mfma_f32_16x16x16f16 v[16:19], v[38:39], v[18:19], v[20:23]
	s_nop 7
	ds_read2_b64 v[28:31], v55 offset0:96 offset1:100
	ds_read2_b64 v[20:23], v54 offset0:32 offset1:36
	s_waitcnt lgkmcnt(0)
	v_mfma_f32_16x16x16f16 v[24:27], v[20:21], v[12:13], v[24:27]
	v_mfma_f32_16x16x16f16 v[16:19], v[28:29], v[12:13], v[16:19]
	v_mfma_f32_16x16x16f16 v[20:23], v[22:23], v[14:15], v[24:27]
	v_mfma_f32_16x16x16f16 v[12:15], v[30:31], v[14:15], v[16:19]
	s_nop 7
	ds_read2_b64 v[24:27], v55 offset0:104 offset1:108
	ds_read2_b64 v[16:19], v54 offset0:40 offset1:44
	s_waitcnt lgkmcnt(0)
	v_mfma_f32_16x16x16f16 v[20:23], v[16:17], v[8:9], v[20:23]
	v_mfma_f32_16x16x16f16 v[12:15], v[24:25], v[8:9], v[12:15]
	v_mfma_f32_16x16x16f16 v[16:19], v[18:19], v[10:11], v[20:23]
	v_mfma_f32_16x16x16f16 v[8:11], v[26:27], v[10:11], v[12:15]
	s_nop 7
	ds_read2_b64 v[20:23], v55 offset0:112 offset1:116
	ds_read2_b64 v[12:15], v54 offset0:48 offset1:52
	s_waitcnt lgkmcnt(0)
	v_mfma_f32_16x16x16f16 v[16:19], v[12:13], v[4:5], v[16:19]
	v_mfma_f32_16x16x16f16 v[8:11], v[20:21], v[4:5], v[8:11]
	v_mfma_f32_16x16x16f16 v[12:15], v[14:15], v[6:7], v[16:19]
	v_mfma_f32_16x16x16f16 v[4:7], v[22:23], v[6:7], v[8:11]
	s_nop 7
	ds_read2_b64 v[16:19], v55 offset0:120 offset1:124
	v_and_b32_e32 v22, 0xfc, v83
	v_add_u32_e32 v20, v35, v22
	v_add_u32_e32 v23, 32, v20
	;; [unrolled: 1-line block ×3, first 2 shown]
	ds_read2_b64 v[8:11], v54 offset0:56 offset1:60
	s_waitcnt lgkmcnt(0)
	v_mfma_f32_16x16x16f16 v[12:15], v[8:9], v[0:1], v[12:15]
	s_barrier
	v_mfma_f32_16x16x16f16 v[4:7], v[16:17], v[0:1], v[4:7]
	v_mfma_f32_16x16x16f16 v[8:11], v[10:11], v[2:3], v[12:15]
	;; [unrolled: 1-line block ×3, first 2 shown]
	s_cbranch_vccz .LBB29_548
; %bb.547:
	s_movk_i32 s8, 0x90
	v_mad_u32_u24 v2, v90, s8, 0
	v_lshlrev_b32_e32 v0, 1, v20
	s_mov_b32 s8, 0x8400
	v_add_u32_e32 v19, 32, v20
	v_add_u32_e32 v18, 34, v20
	v_add3_u32 v0, v2, v0, s8
	v_lshl_add_u32 v3, v19, 1, v2
	v_lshl_add_u32 v2, v18, 1, v2
	ds_read2_b32 v[0:1], v0 offset1:1
	ds_read_b32 v3, v3 offset:33792
	ds_read_b32 v2, v2 offset:33792
	s_mov_b64 s[8:9], 0
	s_waitcnt lgkmcnt(2)
	v_cvt_f32_f16_e32 v4, v0
	v_cvt_f32_f16_sdwa v5, v0 dst_sel:DWORD dst_unused:UNUSED_PAD src0_sel:WORD_1
	v_cvt_f32_f16_e32 v0, v1
	v_cvt_f32_f16_sdwa v1, v1 dst_sel:DWORD dst_unused:UNUSED_PAD src0_sel:WORD_1
	s_waitcnt lgkmcnt(1)
	v_cvt_f32_f16_e32 v16, v3
	s_waitcnt lgkmcnt(0)
	v_cvt_f32_f16_e32 v6, v2
	v_cvt_f32_f16_sdwa v7, v2 dst_sel:DWORD dst_unused:UNUSED_PAD src0_sel:WORD_1
	v_cvt_f32_f16_sdwa v17, v3 dst_sel:DWORD dst_unused:UNUSED_PAD src0_sel:WORD_1
	v_pk_fma_f32 v[2:3], v[40:41], v[0:1], v[10:11] op_sel_hi:[0,1,1]
	v_pk_fma_f32 v[0:1], v[40:41], v[4:5], v[8:9] op_sel_hi:[0,1,1]
	v_pk_fma_f32 v[6:7], v[40:41], v[6:7], v[14:15] op_sel_hi:[0,1,1]
	v_pk_fma_f32 v[4:5], v[40:41], v[16:17], v[12:13] op_sel_hi:[0,1,1]
	s_branch .LBB29_549
.LBB29_548:
	s_mov_b64 s[8:9], -1
                                        ; implicit-def: $vgpr0_vgpr1_vgpr2_vgpr3
                                        ; implicit-def: $vgpr4_vgpr5_vgpr6_vgpr7
                                        ; implicit-def: $vgpr19
                                        ; implicit-def: $vgpr18
.LBB29_549:
	v_add_u32_e32 v21, 0x2100, v33
	v_add_u32_e32 v17, 0x4200, v33
	s_andn2_b64 vcc, exec, s[8:9]
	v_add_u32_e32 v16, 0x6300, v33
	s_cbranch_vccnz .LBB29_551
; %bb.550:
	s_nop 3
	v_pk_mov_b32 v[4:5], v[12:13], v[12:13] op_sel:[0,1]
	v_pk_mov_b32 v[0:1], v[8:9], v[8:9] op_sel:[0,1]
	v_mov_b32_e32 v18, v24
	v_mov_b32_e32 v19, v23
	v_pk_mov_b32 v[6:7], v[14:15], v[14:15] op_sel:[0,1]
	v_pk_mov_b32 v[2:3], v[10:11], v[10:11] op_sel:[0,1]
.LBB29_551:
	s_mul_hi_i32 s9, s12, s86
	s_mul_i32 s8, s12, s86
	s_lshl_b64 s[8:9], s[8:9], 2
	s_nop 0
	v_mul_lo_u32 v14, s86, v34
	s_add_u32 s12, s33, s8
	v_ashrrev_i32_e32 v15, 31, v14
	s_addc_u32 s13, s38, s9
	v_lshlrev_b64 v[8:9], 2, v[14:15]
	v_mov_b32_e32 v10, s13
	v_add_co_u32_e32 v8, vcc, s12, v8
	v_addc_co_u32_e32 v9, vcc, v10, v9, vcc
	s_mov_b64 s[8:9], src_private_base
	v_add_co_u32_e32 v8, vcc, v8, v32
	v_addc_co_u32_e32 v9, vcc, 0, v9, vcc
	v_mov_b32_e32 v30, s9
	v_mov_b32_e32 v31, 0
	;; [unrolled: 1-line block ×3, first 2 shown]
	v_cndmask_b32_e64 v9, v30, v9, s[10:11]
	v_cndmask_b32_e64 v8, v31, v8, s[10:11]
	buffer_store_dword v10, off, s[0:3], 0
	buffer_store_dword v10, off, s[0:3], 0 offset:4
	buffer_store_dword v10, off, s[0:3], 0 offset:8
	;; [unrolled: 1-line block ×3, first 2 shown]
	flat_load_dwordx4 v[8:11], v[8:9]
	s_lshl_b32 s11, s86, 4
	v_mul_u32_u24_e32 v27, 0x108, v22
	v_mul_u32_u24_e32 v26, 0x210, v22
	v_add_u32_e32 v22, s11, v14
	v_ashrrev_i32_e32 v23, 31, v22
	v_lshlrev_b64 v[28:29], 2, v[22:23]
	v_mov_b32_e32 v14, s13
	v_add_co_u32_e32 v23, vcc, s12, v28
	v_addc_co_u32_e32 v14, vcc, v14, v29, vcc
	v_add_co_u32_e32 v23, vcc, v23, v32
	v_addc_co_u32_e32 v14, vcc, 0, v14, vcc
	v_cndmask_b32_e64 v29, v30, v14, s[6:7]
	v_cndmask_b32_e64 v28, v31, v23, s[6:7]
	v_add_f32_e32 v12, 0x40051340, v0
	v_max_f32_e32 v13, v41, v41
	v_mbcnt_hi_u32_b32 v51, -1, v84
	v_max_f32_e32 v54, v13, v12
	v_and_b32_e32 v55, 64, v51
	v_cmp_gt_u32_e64 s[18:19], s22, v20
	v_or_b32_e32 v38, 1, v20
	v_or_b32_e32 v40, 2, v20
	;; [unrolled: 1-line block ×3, first 2 shown]
	v_add_u32_e32 v46, 33, v20
	v_add_u32_e32 v49, 35, v20
	v_or_b32_e32 v53, 3, v83
	s_movk_i32 s9, 0x420
	v_xor_b32_e32 v56, 32, v51
	v_cndmask_b32_e64 v20, v41, v54, s[18:19]
	v_add_u32_e32 v23, 64, v55
	v_add_f32_e32 v39, 0x40051340, v1
	v_xor_b32_e32 v57, 16, v51
	v_cmp_lt_i32_e32 vcc, v56, v23
	v_cmp_gt_u32_e64 s[14:15], s22, v38
	v_add_f32_e32 v42, 0x40051340, v2
	v_add_f32_e32 v44, 0x40051340, v3
	s_mov_b32 s10, 0
	v_cndmask_b32_e64 v38, v3, v3, s[14:15]
	v_mov_b32_e32 v13, s10
	v_mov_b32_e32 v12, s10
	;; [unrolled: 1-line block ×5, first 2 shown]
	v_add_f32_e32 v45, 0x40051340, v4
	v_cmp_gt_u32_e64 s[20:21], s22, v19
	v_add_f32_e32 v47, 0x40051340, v5
	v_cmp_gt_u32_e64 s[6:7], s22, v46
	v_add_f32_e32 v48, 0x40051340, v6
	v_add_f32_e32 v50, 0x40051340, v7
	v_cndmask_b32_e64 v5, v5, v5, s[20:21]
	s_mov_b32 s27, 0x3fb8aa3b
	v_cndmask_b32_e64 v6, v6, v6, s[20:21]
	s_mov_b32 s26, 0xc2ce8ed0
	s_mov_b32 s25, 0x42b17218
	v_mov_b32_e32 v52, 0x7f800000
	s_mov_b32 s24, 0xc1a00000
	s_mov_b32 s8, 0x5040100
	s_waitcnt vmcnt(0) lgkmcnt(0)
	ds_write_b128 v33, v[8:11]
	flat_load_dwordx4 v[34:37], v[28:29]
	v_or_b32_e32 v8, v27, v78
	v_mul_u32_u24_e32 v27, 0x210, v53
	v_mad_u32_u24 v11, v81, s9, 0
	v_lshlrev_b32_e32 v28, 1, v8
	v_max_f32_e32 v33, v20, v20
	v_add3_u32 v9, v11, v26, v80
	v_add3_u32 v14, v11, v27, v80
	v_cndmask_b32_e32 v53, v51, v56, vcc
	v_cmp_lt_i32_e32 vcc, v57, v23
	v_add_u32_e32 v8, v11, v28
	v_max_f32_e32 v11, v33, v39
	v_cndmask_b32_e32 v23, v51, v57, vcc
	v_cndmask_b32_e64 v11, v20, v11, s[14:15]
	v_cndmask_b32_e64 v51, v2, v2, s[14:15]
	v_add_u32_e32 v2, s11, v22
	v_max_f32_e32 v20, v11, v11
	v_ashrrev_i32_e32 v3, 31, v2
	v_mov_b32_e32 v10, s10
	v_mov_b32_e32 v29, s10
	v_add_u32_e32 v22, s11, v2
	v_max_f32_e32 v20, v20, v42
	v_lshlrev_b64 v[2:3], 2, v[2:3]
	v_cmp_gt_u32_e64 s[10:11], s22, v40
	v_mov_b32_e32 v33, s13
	v_cndmask_b32_e64 v11, v11, v20, s[10:11]
	v_add_co_u32_e32 v20, vcc, s12, v2
	v_addc_co_u32_e32 v33, vcc, v33, v3, vcc
	v_lshlrev_b32_e32 v69, 2, v23
	v_ashrrev_i32_e32 v23, 31, v22
	v_add_co_u32_e32 v20, vcc, v20, v32
	v_lshlrev_b64 v[2:3], 2, v[22:23]
	v_max_f32_e32 v22, v11, v11
	v_addc_co_u32_e32 v23, vcc, 0, v33, vcc
	v_mov_b32_e32 v39, s13
	v_add_co_u32_e32 v33, vcc, s12, v2
	v_max_f32_e32 v22, v22, v44
	v_cmp_gt_u32_e64 s[12:13], s22, v43
	v_cndmask_b32_e64 v11, v11, v22, s[12:13]
	v_cndmask_b32_e64 v2, v31, v20, s[4:5]
	v_max_f32_e32 v20, v11, v11
	v_max_f32_e32 v20, v20, v45
	v_cndmask_b32_e64 v11, v11, v20, s[20:21]
	v_max_f32_e32 v19, v11, v11
	v_max_f32_e32 v19, v19, v47
	v_cndmask_b32_e64 v11, v11, v19, s[6:7]
	v_max_f32_e32 v19, v11, v11
	v_addc_co_u32_e32 v39, vcc, v39, v3, vcc
	v_cndmask_b32_e64 v3, v30, v23, s[4:5]
	v_max_f32_e32 v19, v19, v48
	v_cmp_gt_u32_e64 s[4:5], s22, v18
	v_cndmask_b32_e64 v11, v11, v19, s[4:5]
	v_max_f32_e32 v18, v11, v11
	v_max_f32_e32 v18, v18, v50
	v_cmp_gt_u32_e32 vcc, s22, v49
	v_lshlrev_b32_e32 v68, 2, v53
	v_cndmask_b32_e32 v11, v11, v18, vcc
	ds_bpermute_b32 v18, v68, v11
	v_add_co_u32_e64 v22, s[22:23], v33, v32
	v_addc_co_u32_e64 v19, s[22:23], 0, v39, s[22:23]
	v_max_f32_e32 v11, v11, v11
	s_waitcnt lgkmcnt(0)
	v_max_f32_e32 v18, v18, v18
	v_cndmask_b32_e64 v23, v30, v19, s[16:17]
	v_max_f32_e32 v11, v11, v18
	v_cndmask_b32_e64 v22, v31, v22, s[16:17]
	s_waitcnt vmcnt(0)
	ds_write_b128 v21, v[34:37]
	flat_load_dwordx4 v[18:21], v[2:3]
	ds_bpermute_b32 v2, v69, v11
	v_cndmask_b32_e64 v3, v7, v7, s[20:21]
	s_waitcnt lgkmcnt(0)
	v_max_f32_e32 v2, v2, v2
	v_max_f32_e32 v70, v11, v2
	v_sub_f32_e32 v0, v0, v70
	v_sub_f32_e32 v1, v1, v70
	;; [unrolled: 1-line block ×6, first 2 shown]
	v_mul_f32_e32 v11, 0x3fb8aa3b, v0
	v_mul_f32_e32 v31, 0x3fb8aa3b, v1
	;; [unrolled: 1-line block ×6, first 2 shown]
	v_sub_f32_e32 v30, v41, v70
	v_fma_f32 v39, v0, s27, -v11
	v_rndne_f32_e32 v40, v11
	v_fma_f32 v41, v1, s27, -v31
	v_rndne_f32_e32 v42, v31
	;; [unrolled: 2-line block ×6, first 2 shown]
	v_fmac_f32_e32 v39, 0x32a5705f, v0
	v_sub_f32_e32 v11, v11, v40
	v_fmac_f32_e32 v41, 0x32a5705f, v1
	v_sub_f32_e32 v31, v31, v42
	;; [unrolled: 2-line block ×6, first 2 shown]
	v_add_f32_e32 v11, v11, v39
	v_add_f32_e32 v31, v31, v41
	;; [unrolled: 1-line block ×6, first 2 shown]
	v_cvt_i32_f32_e32 v40, v40
	v_exp_f32_e32 v11, v11
	v_sub_f32_e32 v6, v6, v70
	v_cvt_i32_f32_e32 v42, v42
	v_sub_f32_e32 v3, v3, v70
	v_mul_f32_e32 v36, 0x3fb8aa3b, v6
	v_cvt_i32_f32_e32 v44, v44
	v_mul_f32_e32 v37, 0x3fb8aa3b, v3
	v_fma_f32 v51, v6, s27, -v36
	v_rndne_f32_e32 v53, v36
	v_cvt_i32_f32_e32 v46, v46
	v_mul_f32_e32 v38, 0x3fb8aa3b, v30
	v_fma_f32 v54, v3, s27, -v37
	v_rndne_f32_e32 v55, v37
	v_cvt_i32_f32_e32 v48, v48
	v_fmac_f32_e32 v51, 0x32a5705f, v6
	v_sub_f32_e32 v36, v36, v53
	v_ldexp_f32 v11, v11, v40
	v_cmp_ngt_f32_e64 s[16:17], s26, v0
	v_fma_f32 v56, v30, s27, -v38
	v_rndne_f32_e32 v57, v38
	v_cvt_i32_f32_e32 v50, v50
	v_fmac_f32_e32 v54, 0x32a5705f, v3
	v_sub_f32_e32 v37, v37, v55
	v_add_f32_e32 v36, v36, v51
	v_cndmask_b32_e64 v11, 0, v11, s[16:17]
	v_cmp_ngt_f32_e64 s[16:17], s26, v1
	v_cvt_i32_f32_e32 v53, v53
	v_fmac_f32_e32 v56, 0x32a5705f, v30
	s_waitcnt vmcnt(0)
	ds_write_b128 v17, v[18:21]
	flat_load_dwordx4 v[32:35], v[22:23]
	v_exp_f32_e32 v17, v31
	v_exp_f32_e32 v18, v39
	;; [unrolled: 1-line block ×5, first 2 shown]
	v_ldexp_f32 v17, v17, v42
	v_sub_f32_e32 v38, v38, v57
	v_add_f32_e32 v37, v37, v54
	v_exp_f32_e32 v22, v36
	v_ldexp_f32 v18, v18, v44
	v_cndmask_b32_e64 v17, 0, v17, s[16:17]
	v_cmp_ngt_f32_e64 s[16:17], s26, v2
	v_cvt_i32_f32_e32 v55, v55
	v_add_f32_e32 v38, v38, v56
	v_exp_f32_e32 v23, v37
	v_ldexp_f32 v19, v19, v46
	v_cndmask_b32_e64 v36, 0, v18, s[16:17]
	v_cmp_ngt_f32_e64 s[16:17], s26, v7
	v_cvt_i32_f32_e32 v57, v57
	v_exp_f32_e32 v31, v38
	v_ldexp_f32 v20, v20, v48
	v_cndmask_b32_e64 v37, 0, v19, s[16:17]
	v_cmp_ngt_f32_e64 s[16:17], s26, v4
	v_ldexp_f32 v21, v21, v50
	v_cndmask_b32_e64 v20, 0, v20, s[16:17]
	v_cmp_ngt_f32_e64 s[16:17], s26, v5
	;; [unrolled: 3-line block ×5, first 2 shown]
	v_cndmask_b32_e64 v31, 0, v31, s[16:17]
	v_cmp_nlt_f32_e64 s[16:17], s25, v0
	v_cndmask_b32_e64 v0, v52, v11, s[16:17]
	v_cmp_nlt_f32_e64 s[16:17], s25, v1
	;; [unrolled: 2-line block ×9, first 2 shown]
	v_cndmask_b32_e64 v2, v52, v31, s[16:17]
	v_cmp_le_f32_e64 s[16:17], s24, v30
	v_cndmask_b32_e64 v71, 0, v2, s[16:17]
	v_cndmask_b32_e64 v0, 0, v0, s[18:19]
	;; [unrolled: 1-line block ×5, first 2 shown]
	v_cndmask_b32_e32 v12, v29, v1, vcc
	v_cvt_f16_f32_e32 v29, v71
	v_cvt_f16_f32_e32 v2, v0
	;; [unrolled: 1-line block ×5, first 2 shown]
	v_cndmask_b32_e64 v13, v25, v72, s[6:7]
	v_cndmask_b32_e64 v11, v10, v73, s[4:5]
	v_cvt_f16_f32_e32 v10, v13
	v_pk_mul_f16 v13, v29, v208 op_sel_hi:[0,1]
	v_cndmask_b32_e64 v6, v24, v23, s[20:21]
	v_pack_b32_f16 v30, v2, v3
	v_pack_b32_f16 v31, v4, v15
	v_cvt_f32_f16_e32 v2, v13
	v_cvt_f32_f16_sdwa v3, v13 dst_sel:DWORD dst_unused:UNUSED_PAD src0_sel:WORD_1
	v_pk_mul_f16 v5, v29, v207 op_sel_hi:[0,1]
	v_cvt_f32_f16_e32 v4, v5
	v_cvt_f32_f16_sdwa v5, v5 dst_sel:DWORD dst_unused:UNUSED_PAD src0_sel:WORD_1
	v_mul_u32_u24_e32 v45, 0x420, v81
	s_waitcnt vmcnt(0) lgkmcnt(0)
	ds_write_b128 v16, v[32:35]
	s_waitcnt lgkmcnt(0)
	s_barrier
	ds_read_u16 v15, v9 offset:17424
	ds_read_u16 v13, v14 offset:32
	;; [unrolled: 1-line block ×5, first 2 shown]
	ds_read_u16 v33, v14
	ds_read_u16 v32, v9 offset:17952
	ds_read_u16 v34, v9 offset:1056
	;; [unrolled: 1-line block ×9, first 2 shown]
	s_waitcnt lgkmcnt(7)
	v_perm_b32 v35, v33, v34, s8
	ds_read_u16 v39, v9 offset:560
	ds_read_u16 v43, v9 offset:592
	;; [unrolled: 1-line block ×8, first 2 shown]
	ds_read_u16 v34, v8
	ds_read_u16 v40, v8 offset:32
	ds_read_u16 v44, v8 offset:64
	;; [unrolled: 1-line block ×7, first 2 shown]
	s_waitcnt lgkmcnt(7)
	v_perm_b32 v34, v33, v34, s8
	v_add3_u32 v33, 0, 32, v45
	v_cvt_f16_f32_e32 v7, v6
	v_mfma_f32_16x16x16f16 v[2:5], v[34:35], v[30:31], v[2:5]
	v_add_u32_e32 v34, v33, v28
	v_add3_u32 v35, v33, v26, v80
	v_cvt_f16_f32_e32 v11, v11
	v_cvt_f16_f32_e32 v12, v12
	v_add3_u32 v33, v33, v27, v80
	ds_read_u16 v37, v14 offset:16896
	ds_read_u16 v41, v34 offset:16896
	;; [unrolled: 1-line block ×6, first 2 shown]
	s_waitcnt lgkmcnt(5)
	v_perm_b32 v35, v37, v32, s8
	v_cvt_f16_f32_e32 v2, v2
	v_cvt_f16_f32_e32 v3, v3
	;; [unrolled: 1-line block ×4, first 2 shown]
	v_perm_b32 v34, v15, v36, s8
	v_cvt_f32_f16_e32 v2, v2
	v_cvt_f32_f16_e32 v3, v3
	v_cvt_f32_f16_e32 v4, v4
	v_cvt_f32_f16_e32 v5, v5
	v_pk_mul_f16 v6, v29, v213 op_sel_hi:[0,1]
	v_pack_b32_f16 v32, v7, v10
	v_pack_b32_f16 v33, v11, v12
	v_pk_mul_f16 v15, v29, v110 op_sel_hi:[0,1]
	v_perm_b32 v7, v13, v38, s8
	v_mfma_f32_16x16x16f16 v[34:37], v[34:35], v[32:33], v[2:5]
	v_pk_mul_f16 v10, v29, v198 op_sel_hi:[0,1]
	v_pk_mul_f16 v11, v29, v197 op_sel_hi:[0,1]
	s_add_i32 s16, 0, 0x60
	ds_read_u16 v83, v9 offset:1536
	v_add_f32_e32 v18, v18, v0
	s_nop 1
	v_cvt_f32_f16_e32 v2, v6
	v_cvt_f32_f16_sdwa v3, v6 dst_sel:DWORD dst_unused:UNUSED_PAD src0_sel:WORD_1
	v_perm_b32 v6, v39, v40, s8
	v_cvt_f32_f16_e32 v4, v15
	v_cvt_f32_f16_sdwa v5, v15 dst_sel:DWORD dst_unused:UNUSED_PAD src0_sel:WORD_1
	v_cndmask_b32_e64 v0, v0, v18, s[14:15]
	s_add_i32 s14, 0, 0x180
	v_mfma_f32_16x16x16f16 v[2:5], v[6:7], v[30:31], v[2:5]
	s_waitcnt lgkmcnt(2)
	v_perm_b32 v7, v52, v49, s8
	v_perm_b32 v6, v48, v41, s8
	s_nop 7
	v_cvt_f16_f32_e32 v2, v2
	v_cvt_f16_f32_e32 v3, v3
	;; [unrolled: 1-line block ×4, first 2 shown]
	v_cvt_f32_f16_e32 v2, v2
	v_cvt_f32_f16_e32 v3, v3
	;; [unrolled: 1-line block ×4, first 2 shown]
	s_nop 1
	v_mfma_f32_16x16x16f16 v[38:41], v[6:7], v[32:33], v[2:5]
	v_perm_b32 v7, v16, v42, s8
	v_perm_b32 v6, v43, v44, s8
	s_nop 4
	v_cvt_f32_f16_e32 v2, v10
	v_cvt_f32_f16_sdwa v3, v10 dst_sel:DWORD dst_unused:UNUSED_PAD src0_sel:WORD_1
	v_cvt_f32_f16_e32 v4, v11
	v_cvt_f32_f16_sdwa v5, v11 dst_sel:DWORD dst_unused:UNUSED_PAD src0_sel:WORD_1
	v_mov_b32_e32 v11, s16
	v_mad_u32_u24 v11, v81, s9, v11
	v_mfma_f32_16x16x16f16 v[2:5], v[6:7], v[30:31], v[2:5]
	v_add3_u32 v6, 0, 64, v45
	v_add_u32_e32 v7, v6, v28
	v_add3_u32 v10, v6, v26, v80
	v_add3_u32 v6, v6, v27, v80
	v_add_u32_e32 v12, v11, v28
	v_add3_u32 v13, v11, v26, v80
	v_add3_u32 v11, v11, v27, v80
	s_nop 3
	v_cvt_f16_f32_e32 v2, v2
	v_cvt_f16_f32_e32 v3, v3
	;; [unrolled: 1-line block ×4, first 2 shown]
	ds_read_u16 v15, v7 offset:16896
	ds_read_u16 v16, v10 offset:17424
	;; [unrolled: 1-line block ×8, first 2 shown]
	s_waitcnt lgkmcnt(4)
	v_perm_b32 v7, v6, v7, s8
	v_perm_b32 v6, v16, v15, s8
	v_cvt_f32_f16_e32 v2, v2
	v_cvt_f32_f16_e32 v3, v3
	;; [unrolled: 1-line block ×4, first 2 shown]
	v_pk_mul_f16 v15, v29, v200 op_sel_hi:[0,1]
	v_pk_mul_f16 v16, v29, v199 op_sel_hi:[0,1]
	v_mfma_f32_16x16x16f16 v[42:45], v[6:7], v[32:33], v[2:5]
	v_perm_b32 v7, v17, v25, s8
	v_perm_b32 v6, v46, v47, s8
	s_add_i32 s16, 0, 0x80
	s_nop 3
	v_cvt_f32_f16_e32 v2, v15
	v_cvt_f32_f16_sdwa v3, v15 dst_sel:DWORD dst_unused:UNUSED_PAD src0_sel:WORD_1
	v_cvt_f32_f16_e32 v4, v16
	v_cvt_f32_f16_sdwa v5, v16 dst_sel:DWORD dst_unused:UNUSED_PAD src0_sel:WORD_1
	s_nop 1
	v_mfma_f32_16x16x16f16 v[2:5], v[6:7], v[30:31], v[2:5]
	s_waitcnt lgkmcnt(0)
	v_perm_b32 v7, v11, v13, s8
	v_perm_b32 v6, v12, v10, s8
	v_pk_mul_f16 v10, v29, v202 op_sel_hi:[0,1]
	v_pk_mul_f16 v11, v29, v201 op_sel_hi:[0,1]
	s_nop 5
	v_cvt_f16_f32_e32 v2, v2
	v_cvt_f16_f32_e32 v3, v3
	;; [unrolled: 1-line block ×4, first 2 shown]
	v_cvt_f32_f16_e32 v2, v2
	v_cvt_f32_f16_e32 v3, v3
	;; [unrolled: 1-line block ×4, first 2 shown]
	s_nop 1
	v_mfma_f32_16x16x16f16 v[46:49], v[6:7], v[32:33], v[2:5]
	v_perm_b32 v7, v20, v24, s8
	v_perm_b32 v6, v50, v51, s8
	s_nop 4
	v_cvt_f32_f16_e32 v2, v10
	v_cvt_f32_f16_sdwa v3, v10 dst_sel:DWORD dst_unused:UNUSED_PAD src0_sel:WORD_1
	v_cvt_f32_f16_e32 v4, v11
	v_cvt_f32_f16_sdwa v5, v11 dst_sel:DWORD dst_unused:UNUSED_PAD src0_sel:WORD_1
	s_nop 1
	v_mfma_f32_16x16x16f16 v[2:5], v[6:7], v[30:31], v[2:5]
	v_mov_b32_e32 v6, s16
	s_add_i32 s16, 0, 0xa0
	v_mov_b32_e32 v11, s16
	v_mad_u32_u24 v6, v81, s9, v6
	v_mad_u32_u24 v11, v81, s9, v11
	v_add_u32_e32 v7, v6, v28
	v_add3_u32 v10, v6, v26, v80
	s_nop 3
	v_cvt_f16_f32_e32 v2, v2
	v_cvt_f16_f32_e32 v3, v3
	;; [unrolled: 1-line block ×4, first 2 shown]
	v_add3_u32 v6, v6, v27, v80
	v_add_u32_e32 v12, v11, v28
	v_add3_u32 v13, v11, v26, v80
	v_add3_u32 v11, v11, v27, v80
	ds_read_u16 v15, v7 offset:16896
	ds_read_u16 v16, v10 offset:17424
	;; [unrolled: 1-line block ×8, first 2 shown]
	s_waitcnt lgkmcnt(4)
	v_perm_b32 v7, v6, v7, s8
	v_perm_b32 v6, v16, v15, s8
	v_cvt_f32_f16_e32 v2, v2
	v_cvt_f32_f16_e32 v3, v3
	;; [unrolled: 1-line block ×4, first 2 shown]
	v_pk_mul_f16 v15, v29, v204 op_sel_hi:[0,1]
	v_pk_mul_f16 v16, v29, v203 op_sel_hi:[0,1]
	v_mfma_f32_16x16x16f16 v[50:53], v[6:7], v[32:33], v[2:5]
	v_perm_b32 v6, v54, v55, s8
	s_add_i32 s16, 0, 0xc0
	s_nop 4
	v_cvt_f32_f16_e32 v2, v15
	v_cvt_f32_f16_sdwa v3, v15 dst_sel:DWORD dst_unused:UNUSED_PAD src0_sel:WORD_1
	ds_read_u16 v5, v14 offset:160
	ds_read_u16 v15, v14 offset:192
	;; [unrolled: 1-line block ×8, first 2 shown]
	s_waitcnt lgkmcnt(7)
	v_perm_b32 v7, v5, v21, s8
	v_cvt_f32_f16_e32 v4, v16
	v_cvt_f32_f16_sdwa v5, v16 dst_sel:DWORD dst_unused:UNUSED_PAD src0_sel:WORD_1
	s_nop 1
	v_mfma_f32_16x16x16f16 v[2:5], v[6:7], v[30:31], v[2:5]
	v_perm_b32 v7, v11, v13, s8
	v_perm_b32 v6, v12, v10, s8
	v_pk_mul_f16 v10, v29, v206 op_sel_hi:[0,1]
	v_pk_mul_f16 v11, v29, v205 op_sel_hi:[0,1]
	s_nop 6
	v_cvt_f16_f32_e32 v2, v2
	v_cvt_f16_f32_e32 v3, v3
	;; [unrolled: 1-line block ×4, first 2 shown]
	v_cvt_f32_f16_e32 v2, v2
	v_cvt_f32_f16_e32 v3, v3
	;; [unrolled: 1-line block ×4, first 2 shown]
	s_nop 1
	v_mfma_f32_16x16x16f16 v[54:57], v[6:7], v[32:33], v[2:5]
	s_waitcnt lgkmcnt(6)
	v_perm_b32 v7, v15, v58, s8
	v_perm_b32 v6, v59, v60, s8
	s_nop 3
	v_cvt_f32_f16_e32 v2, v10
	v_cvt_f32_f16_sdwa v3, v10 dst_sel:DWORD dst_unused:UNUSED_PAD src0_sel:WORD_1
	v_cvt_f32_f16_e32 v4, v11
	v_cvt_f32_f16_sdwa v5, v11 dst_sel:DWORD dst_unused:UNUSED_PAD src0_sel:WORD_1
	s_nop 1
	v_mfma_f32_16x16x16f16 v[2:5], v[6:7], v[30:31], v[2:5]
	v_mov_b32_e32 v6, s16
	s_add_i32 s16, 0, 0xe0
	v_mov_b32_e32 v11, s16
	v_mad_u32_u24 v6, v81, s9, v6
	v_mad_u32_u24 v11, v81, s9, v11
	v_add_u32_e32 v7, v6, v28
	v_add3_u32 v10, v6, v26, v80
	s_nop 3
	v_cvt_f16_f32_e32 v2, v2
	v_cvt_f16_f32_e32 v3, v3
	;; [unrolled: 1-line block ×4, first 2 shown]
	v_add3_u32 v6, v6, v27, v80
	v_add_u32_e32 v12, v11, v28
	v_add3_u32 v13, v11, v26, v80
	v_add3_u32 v11, v11, v27, v80
	ds_read_u16 v15, v7 offset:16896
	ds_read_u16 v16, v10 offset:17424
	;; [unrolled: 1-line block ×8, first 2 shown]
	s_waitcnt lgkmcnt(4)
	v_perm_b32 v7, v6, v7, s8
	v_perm_b32 v6, v16, v15, s8
	v_cvt_f32_f16_e32 v2, v2
	v_cvt_f32_f16_e32 v3, v3
	;; [unrolled: 1-line block ×4, first 2 shown]
	v_pk_mul_f16 v15, v29, v221 op_sel_hi:[0,1]
	v_pk_mul_f16 v16, v29, v220 op_sel_hi:[0,1]
	v_mfma_f32_16x16x16f16 v[58:61], v[6:7], v[32:33], v[2:5]
	s_add_i32 s16, 0, 0x100
	s_nop 5
	v_cvt_f32_f16_e32 v2, v15
	v_cvt_f32_f16_sdwa v3, v15 dst_sel:DWORD dst_unused:UNUSED_PAD src0_sel:WORD_1
	ds_read_u16 v5, v9 offset:1280
	ds_read_u16 v15, v9 offset:1312
	;; [unrolled: 1-line block ×8, first 2 shown]
	s_waitcnt lgkmcnt(7)
	v_perm_b32 v7, v17, v5, s8
	ds_read_u16 v5, v9 offset:752
	ds_read_u16 v17, v9 offset:784
	;; [unrolled: 1-line block ×8, first 2 shown]
	s_waitcnt lgkmcnt(7)
	v_perm_b32 v6, v5, v62, s8
	v_cvt_f32_f16_e32 v4, v16
	v_cvt_f32_f16_sdwa v5, v16 dst_sel:DWORD dst_unused:UNUSED_PAD src0_sel:WORD_1
	v_pk_mul_f16 v9, v29, v219 op_sel_hi:[0,1]
	s_nop 0
	v_mfma_f32_16x16x16f16 v[2:5], v[6:7], v[30:31], v[2:5]
	v_perm_b32 v7, v11, v13, s8
	v_perm_b32 v6, v12, v10, s8
	v_pk_mul_f16 v10, v29, v218 op_sel_hi:[0,1]
	s_nop 7
	v_cvt_f16_f32_e32 v2, v2
	v_cvt_f16_f32_e32 v3, v3
	;; [unrolled: 1-line block ×4, first 2 shown]
	v_cvt_f32_f16_e32 v2, v2
	v_cvt_f32_f16_e32 v3, v3
	;; [unrolled: 1-line block ×4, first 2 shown]
	s_nop 1
	v_mfma_f32_16x16x16f16 v[62:65], v[6:7], v[32:33], v[2:5]
	v_perm_b32 v7, v20, v15, s8
	s_nop 5
	v_cvt_f32_f16_e32 v2, v9
	v_cvt_f32_f16_sdwa v3, v9 dst_sel:DWORD dst_unused:UNUSED_PAD src0_sel:WORD_1
	ds_read_u16 v5, v8 offset:256
	ds_read_u16 v9, v8 offset:288
	;; [unrolled: 1-line block ×8, first 2 shown]
	s_waitcnt lgkmcnt(7)
	v_perm_b32 v6, v17, v5, s8
	v_cvt_f32_f16_e32 v4, v10
	v_cvt_f32_f16_sdwa v5, v10 dst_sel:DWORD dst_unused:UNUSED_PAD src0_sel:WORD_1
	s_waitcnt lgkmcnt(3)
	v_perm_b32 v20, v92, v20, s8
	v_mfma_f32_16x16x16f16 v[2:5], v[6:7], v[30:31], v[2:5]
	v_mov_b32_e32 v6, s16
	s_add_i32 s16, 0, 0x120
	v_mov_b32_e32 v10, s16
	v_mad_u32_u24 v6, v81, s9, v6
	v_mad_u32_u24 v10, v81, s9, v10
	v_add_u32_e32 v7, v6, v28
	v_add3_u32 v8, v6, v26, v80
	s_nop 3
	v_cvt_f16_f32_e32 v2, v2
	v_cvt_f16_f32_e32 v3, v3
	;; [unrolled: 1-line block ×4, first 2 shown]
	v_add3_u32 v6, v6, v27, v80
	v_add3_u32 v12, v10, v26, v80
	v_add_u32_e32 v11, v10, v28
	v_add3_u32 v10, v10, v27, v80
	ds_read_u16 v16, v7 offset:16896
	ds_read_u16 v17, v8 offset:17424
	;; [unrolled: 1-line block ×8, first 2 shown]
	s_waitcnt lgkmcnt(4)
	v_perm_b32 v7, v6, v7, s8
	v_perm_b32 v6, v17, v16, s8
	v_cvt_f32_f16_e32 v2, v2
	v_cvt_f32_f16_e32 v3, v3
	;; [unrolled: 1-line block ×4, first 2 shown]
	v_pk_mul_f16 v8, v29, v211 op_sel_hi:[0,1]
	v_pk_mul_f16 v16, v29, v209 op_sel_hi:[0,1]
	v_perm_b32 v11, v24, v21, s8
	v_perm_b32 v10, v85, v9, s8
	v_mfma_f32_16x16x16f16 v[2:5], v[6:7], v[32:33], v[2:5]
	v_cvt_f32_f16_e32 v6, v8
	v_cvt_f32_f16_sdwa v7, v8 dst_sel:DWORD dst_unused:UNUSED_PAD src0_sel:WORD_1
	v_cvt_f32_f16_e32 v8, v16
	v_cvt_f32_f16_sdwa v9, v16 dst_sel:DWORD dst_unused:UNUSED_PAD src0_sel:WORD_1
	v_pk_mul_f16 v21, v29, v216 op_sel_hi:[0,1]
	v_perm_b32 v17, v25, v84, s8
	v_perm_b32 v16, v86, v13, s8
	v_mfma_f32_16x16x16f16 v[6:9], v[10:11], v[30:31], v[6:9]
	s_waitcnt lgkmcnt(0)
	v_perm_b32 v11, v100, v12, s8
	v_perm_b32 v10, v99, v98, s8
	v_pk_mul_f16 v12, v29, v217 op_sel_hi:[0,1]
	v_cvt_f32_f16_sdwa v13, v21 dst_sel:DWORD dst_unused:UNUSED_PAD src0_sel:WORD_1
	s_add_i32 s16, 0, 0x140
	v_pk_mul_f16 v99, v29, v210 op_sel_hi:[0,1]
	s_nop 3
	v_cvt_f16_f32_e32 v6, v6
	v_cvt_f16_f32_e32 v7, v7
	;; [unrolled: 1-line block ×4, first 2 shown]
	v_cvt_f32_f16_e32 v6, v6
	v_cvt_f32_f16_e32 v7, v7
	v_cvt_f32_f16_e32 v8, v8
	v_cvt_f32_f16_e32 v9, v9
	s_nop 1
	v_mfma_f32_16x16x16f16 v[6:9], v[10:11], v[32:33], v[6:9]
	v_cvt_f32_f16_e32 v10, v12
	v_cvt_f32_f16_sdwa v11, v12 dst_sel:DWORD dst_unused:UNUSED_PAD src0_sel:WORD_1
	v_cvt_f32_f16_e32 v12, v21
	s_nop 1
	v_mfma_f32_16x16x16f16 v[10:13], v[16:17], v[30:31], v[10:13]
	v_mov_b32_e32 v16, s16
	s_add_i32 s16, 0, 0x160
	v_mov_b32_e32 v24, s16
	v_mad_u32_u24 v16, v81, s9, v16
	v_mad_u32_u24 v24, v81, s9, v24
	v_add_u32_e32 v17, v16, v28
	v_add3_u32 v21, v16, v26, v80
	s_nop 3
	v_cvt_f16_f32_e32 v10, v10
	v_cvt_f16_f32_e32 v11, v11
	;; [unrolled: 1-line block ×4, first 2 shown]
	v_add3_u32 v16, v16, v27, v80
	v_add_u32_e32 v25, v24, v28
	v_add3_u32 v84, v24, v26, v80
	v_add3_u32 v24, v24, v27, v80
	ds_read_u16 v85, v17 offset:16896
	ds_read_u16 v86, v21 offset:17424
	;; [unrolled: 1-line block ×8, first 2 shown]
	s_waitcnt lgkmcnt(4)
	v_perm_b32 v17, v16, v17, s8
	v_perm_b32 v16, v86, v85, s8
	v_cvt_f32_f16_e32 v10, v10
	v_cvt_f32_f16_e32 v11, v11
	;; [unrolled: 1-line block ×4, first 2 shown]
	v_pk_mul_f16 v85, v29, v212 op_sel_hi:[0,1]
	v_cvt_f32_f16_e32 v84, v85
	v_mfma_f32_16x16x16f16 v[10:13], v[16:17], v[32:33], v[10:13]
	v_perm_b32 v17, v76, v87, s8
	v_perm_b32 v16, v91, v15, s8
	v_cvt_f32_f16_sdwa v85, v85 dst_sel:DWORD dst_unused:UNUSED_PAD src0_sel:WORD_1
	v_cvt_f32_f16_e32 v86, v99
	v_cvt_f32_f16_sdwa v87, v99 dst_sel:DWORD dst_unused:UNUSED_PAD src0_sel:WORD_1
	s_nop 1
	v_mfma_f32_16x16x16f16 v[84:87], v[16:17], v[30:31], v[84:87]
	s_nop 7
	s_nop 2
	v_cvt_f16_f32_e32 v16, v85
	v_cvt_f16_f32_e32 v17, v86
	;; [unrolled: 1-line block ×4, first 2 shown]
	v_cvt_f32_f16_e32 v85, v16
	v_cvt_f32_f16_e32 v86, v17
	s_waitcnt lgkmcnt(0)
	v_perm_b32 v17, v24, v98, s8
	v_perm_b32 v16, v25, v21, s8
	v_cvt_f32_f16_e32 v84, v15
	v_cvt_f32_f16_e32 v87, v76
	v_pk_mul_f16 v21, v29, v215 op_sel_hi:[0,1]
	ds_read_u16 v76, v14 offset:416
	ds_read_u16 v91, v14 offset:448
	v_pk_mul_f16 v24, v29, v214 op_sel_hi:[0,1]
	v_mfma_f32_16x16x16f16 v[14:17], v[16:17], v[32:33], v[84:87]
	s_nop 6
	v_cvt_f32_f16_e32 v84, v21
	v_cvt_f32_f16_sdwa v85, v21 dst_sel:DWORD dst_unused:UNUSED_PAD src0_sel:WORD_1
	v_perm_b32 v21, v77, v88, s8
	v_cvt_f32_f16_e32 v86, v24
	v_cvt_f32_f16_sdwa v87, v24 dst_sel:DWORD dst_unused:UNUSED_PAD src0_sel:WORD_1
	v_add_f32_e32 v77, v0, v19
	v_mov_b32_e32 v24, s14
	v_mfma_f32_16x16x16f16 v[18:21], v[20:21], v[30:31], v[84:87]
	s_add_i32 s14, 0, 0x1a0
	v_mad_u32_u24 v24, v81, s9, v24
	v_add_u32_e32 v25, v24, v28
	v_cndmask_b32_e64 v0, v0, v77, s[10:11]
	s_nop 2
	v_mov_b32_e32 v85, s14
	v_add3_u32 v84, v24, v26, v80
	v_add3_u32 v24, v24, v27, v80
	s_nop 0
	v_cvt_f16_f32_e32 v18, v18
	v_cvt_f16_f32_e32 v19, v19
	;; [unrolled: 1-line block ×4, first 2 shown]
	v_mad_u32_u24 v85, v81, s9, v85
	v_add_u32_e32 v86, v85, v28
	v_add3_u32 v87, v85, v26, v80
	v_add3_u32 v85, v85, v27, v80
	ds_read_u16 v88, v25 offset:16896
	ds_read_u16 v92, v84 offset:17424
	;; [unrolled: 1-line block ×8, first 2 shown]
	s_waitcnt lgkmcnt(4)
	v_perm_b32 v25, v24, v25, s8
	v_perm_b32 v24, v92, v88, s8
	v_cvt_f32_f16_e32 v18, v18
	v_cvt_f32_f16_e32 v19, v19
	;; [unrolled: 1-line block ×4, first 2 shown]
	v_pk_mul_f16 v77, v29, v223 op_sel_hi:[0,1]
	v_pk_mul_f16 v87, v29, v222 op_sel_hi:[0,1]
	v_mfma_f32_16x16x16f16 v[18:21], v[24:25], v[32:33], v[18:21]
	v_perm_b32 v25, v76, v89, s8
	v_perm_b32 v24, v93, v95, s8
	v_cvt_f32_f16_e32 v84, v77
	v_cvt_f32_f16_sdwa v85, v77 dst_sel:DWORD dst_unused:UNUSED_PAD src0_sel:WORD_1
	v_cvt_f32_f16_e32 v86, v87
	v_cvt_f32_f16_sdwa v87, v87 dst_sel:DWORD dst_unused:UNUSED_PAD src0_sel:WORD_1
	v_add_f32_e32 v22, v0, v22
	v_cndmask_b32_e64 v0, v0, v22, s[12:13]
	v_add_f32_e32 v88, v23, v0
	v_mfma_f32_16x16x16f16 v[22:25], v[24:25], v[30:31], v[84:87]
	s_waitcnt lgkmcnt(0)
	v_perm_b32 v77, v101, v100, s8
	v_perm_b32 v76, v99, v98, s8
	v_cndmask_b32_e64 v0, v0, v88, s[20:21]
	v_add_f32_e32 v72, v72, v0
	v_cndmask_b32_e64 v0, v0, v72, s[6:7]
	s_nop 0
	v_pk_mul_f16 v85, v29, v225 op_sel_hi:[0,1]
	v_pk_mul_f16 v87, v29, v224 op_sel_hi:[0,1]
	s_nop 1
	v_cvt_f16_f32_e32 v22, v22
	v_cvt_f16_f32_e32 v23, v23
	;; [unrolled: 1-line block ×4, first 2 shown]
	v_cvt_f32_f16_e32 v22, v22
	v_cvt_f32_f16_e32 v23, v23
	v_cvt_f32_f16_e32 v24, v24
	v_cvt_f32_f16_e32 v25, v25
	v_cvt_f32_f16_e32 v84, v85
	v_cvt_f32_f16_sdwa v85, v85 dst_sel:DWORD dst_unused:UNUSED_PAD src0_sel:WORD_1
	v_mfma_f32_16x16x16f16 v[22:25], v[76:77], v[32:33], v[22:25]
	v_perm_b32 v77, v91, v90, s8
	v_perm_b32 v76, v94, v96, s8
	v_cvt_f32_f16_e32 v86, v87
	v_cvt_f32_f16_sdwa v87, v87 dst_sel:DWORD dst_unused:UNUSED_PAD src0_sel:WORD_1
	v_add_f32_e32 v72, v73, v0
	s_add_i32 s6, 0, 0x1c0
	v_cndmask_b32_e64 v0, v0, v72, s[4:5]
	v_mfma_f32_16x16x16f16 v[84:87], v[76:77], v[30:31], v[84:87]
	v_pk_mul_f16 v72, v29, v227 op_sel_hi:[0,1]
	v_add_f32_e32 v1, v1, v0
	v_cmp_gt_u32_e64 s[4:5], 16, v66
	s_nop 7
	v_cvt_f16_f32_e32 v73, v84
	v_cvt_f16_f32_e32 v76, v85
	;; [unrolled: 1-line block ×3, first 2 shown]
	v_mov_b32_e32 v84, s6
	v_mad_u32_u24 v84, v81, s9, v84
	s_add_i32 s6, 0, 0x1e0
	v_cvt_f16_f32_e32 v87, v87
	v_add_u32_e32 v88, v84, v28
	v_add3_u32 v89, v84, v26, v80
	v_add3_u32 v90, v84, v27, v80
	v_cvt_f32_f16_e32 v84, v73
	v_mov_b32_e32 v73, s6
	v_mad_u32_u24 v73, v81, s9, v73
	v_cvt_f32_f16_e32 v85, v76
	v_cvt_f32_f16_e32 v86, v77
	v_add_u32_e32 v28, v73, v28
	v_add3_u32 v26, v73, v26, v80
	v_add3_u32 v27, v73, v27, v80
	ds_read_u16 v73, v88 offset:16896
	ds_read_u16 v76, v89 offset:17424
	;; [unrolled: 1-line block ×8, first 2 shown]
	s_waitcnt lgkmcnt(4)
	v_perm_b32 v27, v80, v77, s8
	v_perm_b32 v26, v76, v73, s8
	v_cvt_f32_f16_e32 v87, v87
	v_pk_mul_f16 v76, v29, v226 op_sel_hi:[0,1]
	v_perm_b32 v73, v75, v83, s8
	v_mfma_f32_16x16x16f16 v[26:29], v[26:27], v[32:33], v[84:87]
	s_waitcnt lgkmcnt(0)
	s_barrier
	s_nop 4
	v_cvt_f32_f16_e32 v84, v72
	v_cvt_f32_f16_sdwa v85, v72 dst_sel:DWORD dst_unused:UNUSED_PAD src0_sel:WORD_1
	v_perm_b32 v72, v74, v97, s8
	v_cvt_f32_f16_e32 v86, v76
	v_cvt_f32_f16_sdwa v87, v76 dst_sel:DWORD dst_unused:UNUSED_PAD src0_sel:WORD_1
	v_cndmask_b32_e32 v76, v0, v1, vcc
	v_fmac_f32_e32 v76, v82, v71
	v_mfma_f32_16x16x16f16 v[72:75], v[72:73], v[30:31], v[84:87]
	v_perm_b32 v31, v90, v89, s8
	ds_bpermute_b32 v68, v68, v76
	s_nop 7
	s_nop 0
	v_cvt_f16_f32_e32 v30, v74
	v_cvt_f16_f32_e32 v0, v72
	;; [unrolled: 1-line block ×4, first 2 shown]
	v_cvt_f32_f16_e32 v74, v30
	v_perm_b32 v30, v88, v81, s8
	v_cvt_f32_f16_e32 v72, v0
	v_cvt_f32_f16_e32 v73, v1
	;; [unrolled: 1-line block ×3, first 2 shown]
	s_waitcnt lgkmcnt(0)
	v_add_f32_e32 v0, v76, v68
	ds_bpermute_b32 v1, v69, v0
	v_mfma_f32_16x16x16f16 v[30:33], v[30:31], v[32:33], v[72:75]
	s_and_saveexec_b64 s[6:7], s[4:5]
	s_cbranch_execz .LBB29_553
; %bb.552:
	s_waitcnt lgkmcnt(0)
	v_add_f32_e32 v0, v0, v1
	v_or_b32_e32 v1, v108, v66
	s_movk_i32 s8, 0x110
	v_mad_u32_u24 v1, v1, s8, 0
	ds_write2_b32 v1, v70, v0 offset0:64 offset1:65
.LBB29_553:
	s_or_b64 exec, exec, s[6:7]
	v_cmp_eq_u32_e32 vcc, 0, v245
	v_cmp_eq_u32_e64 s[6:7], 1, v245
	s_waitcnt lgkmcnt(0)
	s_barrier
	s_and_saveexec_b64 s[8:9], s[6:7]
	v_readlane_b32 s12, v254, 24
	v_readlane_b32 s18, v254, 30
	;; [unrolled: 1-line block ×5, first 2 shown]
	s_xor_b64 s[6:7], exec, s[8:9]
	s_mov_b64 s[18:19], s[26:27]
	v_readlane_b32 s13, v254, 25
	v_readlane_b32 s14, v254, 26
	;; [unrolled: 1-line block ×11, first 2 shown]
	s_cbranch_execz .LBB29_555
; %bb.554:
	s_barrier
	s_waitcnt lgkmcnt(0)
                                        ; implicit-def: $vgpr244
                                        ; implicit-def: $vgpr69
.LBB29_555:
	s_andn2_saveexec_b64 s[8:9], s[6:7]
	s_cbranch_execz .LBB29_561
; %bb.556:
	v_and_or_b32 v1, v66, 31, v108
	s_movk_i32 s6, 0x110
	v_mad_u32_u24 v0, v1, s6, 0
	ds_read_b64 v[70:71], v0 offset:256
	s_mov_b32 s6, 0x3fb8aa3b
	s_mov_b32 s10, 0x42b17218
	s_waitcnt lgkmcnt(0)
	s_barrier
	ds_bpermute_b32 v0, v69, v70
	v_max_f32_e32 v68, v70, v70
	s_waitcnt lgkmcnt(0)
	v_max_f32_e32 v0, v0, v0
	v_max_f32_e32 v0, v68, v0
	v_sub_f32_e32 v68, v70, v0
	v_mul_f32_e32 v70, 0x3fb8aa3b, v68
	v_fma_f32 v72, v68, s6, -v70
	v_rndne_f32_e32 v73, v70
	v_fmac_f32_e32 v72, 0x32a5705f, v68
	v_sub_f32_e32 v70, v70, v73
	v_add_f32_e32 v70, v70, v72
	v_cvt_i32_f32_e32 v73, v73
	v_exp_f32_e32 v70, v70
	s_mov_b32 s6, 0xc2ce8ed0
	v_cmp_ngt_f32_e64 s[6:7], s6, v68
	v_mov_b32_e32 v72, 0x7f800000
	v_ldexp_f32 v70, v70, v73
	v_cndmask_b32_e64 v70, 0, v70, s[6:7]
	v_cmp_nlt_f32_e64 s[6:7], s10, v68
	v_cndmask_b32_e64 v68, v72, v70, s[6:7]
	v_mul_f32_e32 v70, v71, v68
	ds_bpermute_b32 v69, v69, v70
	v_cmp_gt_u32_e64 s[6:7], 32, v66
	s_waitcnt lgkmcnt(0)
	v_fmac_f32_e32 v69, v71, v68
	s_and_saveexec_b64 s[10:11], s[6:7]
	s_cbranch_execz .LBB29_558
; %bb.557:
	v_mul_u32_u24_e32 v1, 0x110, v1
	v_add_u32_e32 v1, 0, v1
	ds_write_b64 v1, v[68:69] offset:256
.LBB29_558:
	s_or_b64 exec, exec, s[10:11]
	s_and_saveexec_b64 s[6:7], s[4:5]
	s_cbranch_execz .LBB29_560
; %bb.559:
	s_add_i32 s4, s60, s34
	s_lshl_b32 s4, s4, 6
	s_mov_b32 s5, 0
	s_lshl_b64 s[4:5], s[4:5], 3
	s_add_u32 s4, s18, s4
	v_or_b32_e32 v1, v244, v66
	s_addc_u32 s5, s19, s5
	v_lshlrev_b32_e32 v68, 3, v1
	v_mov_b32_e32 v1, v69
	global_store_dwordx2 v68, v[0:1], s[4:5]
.LBB29_560:
	s_or_b64 exec, exec, s[6:7]
.LBB29_561:
	s_or_b64 exec, exec, s[8:9]
	v_cvt_f16_f32_e32 v0, v34
	v_cvt_f16_f32_e32 v1, v35
	;; [unrolled: 1-line block ×8, first 2 shown]
	v_pack_b32_f16 v34, v34, v35
	v_pack_b32_f16 v1, v0, v1
	v_pack_b32_f16 v35, v37, v38
	v_pack_b32_f16 v36, v36, v39
	v_cvt_f16_f32_e32 v0, v42
	v_cvt_f16_f32_e32 v37, v43
	;; [unrolled: 1-line block ×8, first 2 shown]
	v_pack_b32_f16 v38, v38, v39
	v_pack_b32_f16 v37, v0, v37
	;; [unrolled: 1-line block ×4, first 2 shown]
	v_cvt_f16_f32_e32 v0, v50
	v_cvt_f16_f32_e32 v41, v51
	v_cvt_f16_f32_e32 v42, v52
	v_cvt_f16_f32_e32 v43, v53
	v_cvt_f16_f32_e32 v45, v56
	v_cvt_f16_f32_e32 v46, v57
	v_cvt_f16_f32_e32 v44, v54
	v_cvt_f16_f32_e32 v47, v55
	v_pack_b32_f16 v42, v42, v43
	v_pack_b32_f16 v41, v0, v41
	;; [unrolled: 1-line block ×3, first 2 shown]
	v_cvt_f16_f32_e32 v0, v58
	v_cvt_f16_f32_e32 v45, v59
	v_pack_b32_f16 v44, v44, v47
	v_cvt_f16_f32_e32 v46, v60
	v_cvt_f16_f32_e32 v47, v61
	;; [unrolled: 1-line block ×6, first 2 shown]
	v_pack_b32_f16 v45, v0, v45
	v_or_b32_e32 v0, v108, v78
	s_movk_i32 s4, 0x44
	s_lshl_b32 s6, s34, 13
	s_mov_b32 s7, 0
	v_mad_u32_u24 v0, v0, s4, v79
	s_lshl_b64 s[4:5], s[6:7], 3
	s_add_u32 s8, s18, s4
	s_addc_u32 s9, s19, s5
	v_lshl_add_u32 v0, v0, 2, 0
	v_pack_b32_f16 v46, v46, v47
	v_pack_b32_f16 v47, v49, v50
	;; [unrolled: 1-line block ×3, first 2 shown]
	ds_write2_b32 v0, v1, v34 offset1:1
	ds_write2_b32 v0, v36, v35 offset0:8 offset1:9
	ds_write2_b32 v0, v37, v38 offset0:16 offset1:17
	;; [unrolled: 1-line block ×7, first 2 shown]
	s_waitcnt lgkmcnt(0)
	s_barrier
	s_and_saveexec_b64 s[4:5], vcc
	s_cbranch_execz .LBB29_563
; %bb.562:
	v_bfe_u32 v1, v246, 1, 4
	s_movk_i32 s11, 0x3e0
	s_movk_i32 s10, 0x110
	v_and_or_b32 v34, v246, s11, v1
	v_mad_u32_u24 v36, v34, s10, 0
	v_add_u32_e32 v34, v36, v67
	ds_read2st64_b32 v[34:35], v34 offset1:17
	s_load_dword s6, s[58:59], 0x10
	ds_read2st64_b32 v[36:37], v36 offset0:1 offset1:18
	s_movk_i32 s11, 0x7e0
	v_lshlrev_b32_e32 v40, 6, v246
	s_waitcnt lgkmcnt(0)
	v_cvt_f32_f16_e32 v38, v34
	v_cvt_f32_f16_sdwa v39, v34 dst_sel:DWORD dst_unused:UNUSED_PAD src0_sel:WORD_1
	v_cvt_f32_f16_e32 v34, v35
	v_cvt_f32_f16_sdwa v35, v35 dst_sel:DWORD dst_unused:UNUSED_PAD src0_sel:WORD_1
	s_lshr_b32 s6, s6, 16
	s_cmp_lg_u32 s6, 0
	v_pk_fma_f32 v[38:39], v[36:37], v[38:39], 0 op_sel_hi:[0,1,0]
	v_mov_b32_e32 v36, v37
	s_cselect_b64 s[12:13], -1, 0
	v_pk_fma_f32 v[34:35], v[36:37], v[34:35], v[38:39] op_sel_hi:[0,1,1]
	v_add_u32_e32 v38, 4, v243
	s_cmp_lg_u64 s[12:13], 0
	v_lshlrev_b32_e32 v36, 1, v38
	v_and_b32_e32 v37, 15, v38
	s_addc_u32 s6, s60, 0
	v_and_or_b32 v36, v36, s11, v37
	s_lshl_b32 s6, s6, 7
	v_mad_u32_u24 v39, v36, s10, 0
	s_lshl_b64 s[6:7], s[6:7], 3
	v_add_u32_e32 v36, v39, v67
	s_add_u32 s6, s8, s6
	ds_read2st64_b32 v[36:37], v36 offset1:17
	s_addc_u32 s7, s9, s7
	v_add_lshl_u32 v40, v40, v66, 3
	v_add_u32_e32 v43, 8, v243
	global_store_dwordx2 v40, v[34:35], s[6:7]
	v_lshlrev_b32_e32 v40, 1, v43
	v_and_b32_e32 v41, 15, v43
	v_and_or_b32 v40, v40, s11, v41
	v_lshlrev_b32_e32 v38, 7, v38
	ds_read2st64_b32 v[34:35], v39 offset0:1 offset1:18
	v_mad_u32_u24 v44, v40, s10, 0
	v_add_lshl_u32 v42, v38, v66, 3
	s_waitcnt lgkmcnt(1)
	v_cvt_f32_f16_e32 v38, v36
	v_cvt_f32_f16_sdwa v39, v36 dst_sel:DWORD dst_unused:UNUSED_PAD src0_sel:WORD_1
	v_add_u32_e32 v40, v44, v67
	v_cvt_f32_f16_e32 v36, v37
	v_cvt_f32_f16_sdwa v37, v37 dst_sel:DWORD dst_unused:UNUSED_PAD src0_sel:WORD_1
	ds_read2st64_b32 v[40:41], v40 offset1:17
	s_waitcnt lgkmcnt(1)
	v_pk_fma_f32 v[38:39], v[34:35], v[38:39], 0 op_sel_hi:[0,1,0]
	v_mov_b32_e32 v34, v35
	v_pk_fma_f32 v[34:35], v[34:35], v[36:37], v[38:39] op_sel_hi:[0,1,1]
	ds_read2st64_b32 v[36:37], v44 offset0:1 offset1:18
	s_waitcnt lgkmcnt(1)
	v_cvt_f32_f16_e32 v38, v40
	v_cvt_f32_f16_sdwa v39, v40 dst_sel:DWORD dst_unused:UNUSED_PAD src0_sel:WORD_1
	global_store_dwordx2 v42, v[34:35], s[6:7]
	v_lshlrev_b32_e32 v34, 7, v43
	v_add_lshl_u32 v42, v34, v66, 3
	s_waitcnt lgkmcnt(0)
	v_pk_fma_f32 v[34:35], v[36:37], v[38:39], 0 op_sel_hi:[0,1,0]
	v_mov_b32_e32 v36, v37
	v_add_u32_e32 v37, 12, v243
	v_cvt_f32_f16_e32 v38, v41
	v_cvt_f32_f16_sdwa v39, v41 dst_sel:DWORD dst_unused:UNUSED_PAD src0_sel:WORD_1
	v_lshlrev_b32_e32 v40, 1, v37
	v_and_b32_e32 v41, 15, v37
	v_and_or_b32 v40, v40, s11, v41
	v_mad_u32_u24 v43, v40, s10, 0
	v_add_u32_e32 v40, v43, v67
	ds_read2st64_b32 v[40:41], v40 offset1:17
	v_pk_fma_f32 v[34:35], v[36:37], v[38:39], v[34:35] op_sel_hi:[0,1,1]
	global_store_dwordx2 v42, v[34:35], s[6:7]
	ds_read2st64_b32 v[34:35], v43 offset0:1 offset1:18
	v_lshlrev_b32_e32 v42, 7, v37
	s_waitcnt lgkmcnt(1)
	v_cvt_f32_f16_e32 v36, v40
	v_cvt_f32_f16_sdwa v37, v40 dst_sel:DWORD dst_unused:UNUSED_PAD src0_sel:WORD_1
	v_cvt_f32_f16_e32 v38, v41
	v_cvt_f32_f16_sdwa v39, v41 dst_sel:DWORD dst_unused:UNUSED_PAD src0_sel:WORD_1
	v_add_lshl_u32 v40, v42, v66, 3
	s_waitcnt lgkmcnt(0)
	v_pk_fma_f32 v[36:37], v[34:35], v[36:37], 0 op_sel_hi:[0,1,0]
	v_mov_b32_e32 v34, v35
	v_pk_fma_f32 v[34:35], v[34:35], v[38:39], v[36:37] op_sel_hi:[0,1,1]
	v_add_u32_e32 v38, 16, v243
	v_lshlrev_b32_e32 v36, 1, v38
	v_and_or_b32 v36, v36, s11, v1
	v_mad_u32_u24 v39, v36, s10, 0
	v_add_u32_e32 v36, v39, v67
	ds_read2st64_b32 v[36:37], v36 offset1:17
	v_add_u32_e32 v43, 20, v243
	global_store_dwordx2 v40, v[34:35], s[6:7]
	v_lshlrev_b32_e32 v40, 1, v43
	v_and_b32_e32 v41, 15, v43
	v_and_or_b32 v40, v40, s11, v41
	v_lshlrev_b32_e32 v38, 7, v38
	ds_read2st64_b32 v[34:35], v39 offset0:1 offset1:18
	v_mad_u32_u24 v44, v40, s10, 0
	v_add_lshl_u32 v42, v38, v66, 3
	s_waitcnt lgkmcnt(1)
	v_cvt_f32_f16_e32 v38, v36
	v_cvt_f32_f16_sdwa v39, v36 dst_sel:DWORD dst_unused:UNUSED_PAD src0_sel:WORD_1
	v_add_u32_e32 v40, v44, v67
	v_cvt_f32_f16_e32 v36, v37
	v_cvt_f32_f16_sdwa v37, v37 dst_sel:DWORD dst_unused:UNUSED_PAD src0_sel:WORD_1
	ds_read2st64_b32 v[40:41], v40 offset1:17
	s_waitcnt lgkmcnt(1)
	v_pk_fma_f32 v[38:39], v[34:35], v[38:39], 0 op_sel_hi:[0,1,0]
	v_mov_b32_e32 v34, v35
	v_pk_fma_f32 v[34:35], v[34:35], v[36:37], v[38:39] op_sel_hi:[0,1,1]
	ds_read2st64_b32 v[36:37], v44 offset0:1 offset1:18
	s_waitcnt lgkmcnt(1)
	v_cvt_f32_f16_e32 v38, v40
	v_cvt_f32_f16_sdwa v39, v40 dst_sel:DWORD dst_unused:UNUSED_PAD src0_sel:WORD_1
	global_store_dwordx2 v42, v[34:35], s[6:7]
	v_lshlrev_b32_e32 v34, 7, v43
	v_add_lshl_u32 v42, v34, v66, 3
	s_waitcnt lgkmcnt(0)
	v_pk_fma_f32 v[34:35], v[36:37], v[38:39], 0 op_sel_hi:[0,1,0]
	v_mov_b32_e32 v36, v37
	v_add_u32_e32 v37, 24, v243
	v_cvt_f32_f16_e32 v38, v41
	v_cvt_f32_f16_sdwa v39, v41 dst_sel:DWORD dst_unused:UNUSED_PAD src0_sel:WORD_1
	v_lshlrev_b32_e32 v40, 1, v37
	v_and_b32_e32 v41, 15, v37
	v_and_or_b32 v40, v40, s11, v41
	v_mad_u32_u24 v43, v40, s10, 0
	v_add_u32_e32 v40, v43, v67
	ds_read2st64_b32 v[40:41], v40 offset1:17
	v_pk_fma_f32 v[34:35], v[36:37], v[38:39], v[34:35] op_sel_hi:[0,1,1]
	global_store_dwordx2 v42, v[34:35], s[6:7]
	ds_read2st64_b32 v[34:35], v43 offset0:1 offset1:18
	v_lshlrev_b32_e32 v42, 7, v37
	s_waitcnt lgkmcnt(1)
	v_cvt_f32_f16_e32 v36, v40
	v_cvt_f32_f16_sdwa v37, v40 dst_sel:DWORD dst_unused:UNUSED_PAD src0_sel:WORD_1
	v_cvt_f32_f16_e32 v38, v41
	v_cvt_f32_f16_sdwa v39, v41 dst_sel:DWORD dst_unused:UNUSED_PAD src0_sel:WORD_1
	v_add_lshl_u32 v40, v42, v66, 3
	s_waitcnt lgkmcnt(0)
	v_pk_fma_f32 v[36:37], v[34:35], v[36:37], 0 op_sel_hi:[0,1,0]
	v_mov_b32_e32 v34, v35
	v_pk_fma_f32 v[34:35], v[34:35], v[38:39], v[36:37] op_sel_hi:[0,1,1]
	v_add_u32_e32 v38, 28, v243
	v_lshlrev_b32_e32 v36, 1, v38
	v_and_b32_e32 v37, 15, v38
	v_and_or_b32 v36, v36, s11, v37
	v_mad_u32_u24 v39, v36, s10, 0
	v_add_u32_e32 v36, v39, v67
	ds_read2st64_b32 v[36:37], v36 offset1:17
	v_add_u32_e32 v43, 32, v243
	global_store_dwordx2 v40, v[34:35], s[6:7]
	v_lshlrev_b32_e32 v40, 1, v43
	v_and_or_b32 v40, v40, s11, v1
	v_lshlrev_b32_e32 v38, 7, v38
	ds_read2st64_b32 v[34:35], v39 offset0:1 offset1:18
	v_mad_u32_u24 v44, v40, s10, 0
	v_add_lshl_u32 v42, v38, v66, 3
	s_waitcnt lgkmcnt(1)
	v_cvt_f32_f16_e32 v38, v36
	v_cvt_f32_f16_sdwa v39, v36 dst_sel:DWORD dst_unused:UNUSED_PAD src0_sel:WORD_1
	v_add_u32_e32 v40, v44, v67
	v_cvt_f32_f16_e32 v36, v37
	v_cvt_f32_f16_sdwa v37, v37 dst_sel:DWORD dst_unused:UNUSED_PAD src0_sel:WORD_1
	ds_read2st64_b32 v[40:41], v40 offset1:17
	s_waitcnt lgkmcnt(1)
	v_pk_fma_f32 v[38:39], v[34:35], v[38:39], 0 op_sel_hi:[0,1,0]
	v_mov_b32_e32 v34, v35
	v_pk_fma_f32 v[34:35], v[34:35], v[36:37], v[38:39] op_sel_hi:[0,1,1]
	ds_read2st64_b32 v[36:37], v44 offset0:1 offset1:18
	s_waitcnt lgkmcnt(1)
	v_cvt_f32_f16_e32 v38, v40
	v_cvt_f32_f16_sdwa v39, v40 dst_sel:DWORD dst_unused:UNUSED_PAD src0_sel:WORD_1
	global_store_dwordx2 v42, v[34:35], s[6:7]
	v_lshlrev_b32_e32 v34, 7, v43
	v_add_lshl_u32 v42, v34, v66, 3
	s_waitcnt lgkmcnt(0)
	v_pk_fma_f32 v[34:35], v[36:37], v[38:39], 0 op_sel_hi:[0,1,0]
	v_mov_b32_e32 v36, v37
	v_add_u32_e32 v37, 36, v243
	v_cvt_f32_f16_e32 v38, v41
	v_cvt_f32_f16_sdwa v39, v41 dst_sel:DWORD dst_unused:UNUSED_PAD src0_sel:WORD_1
	v_lshlrev_b32_e32 v40, 1, v37
	v_and_b32_e32 v41, 15, v37
	v_and_or_b32 v40, v40, s11, v41
	v_mad_u32_u24 v43, v40, s10, 0
	v_add_u32_e32 v40, v43, v67
	ds_read2st64_b32 v[40:41], v40 offset1:17
	v_pk_fma_f32 v[34:35], v[36:37], v[38:39], v[34:35] op_sel_hi:[0,1,1]
	global_store_dwordx2 v42, v[34:35], s[6:7]
	ds_read2st64_b32 v[34:35], v43 offset0:1 offset1:18
	v_lshlrev_b32_e32 v42, 7, v37
	s_waitcnt lgkmcnt(1)
	v_cvt_f32_f16_e32 v36, v40
	v_cvt_f32_f16_sdwa v37, v40 dst_sel:DWORD dst_unused:UNUSED_PAD src0_sel:WORD_1
	v_cvt_f32_f16_e32 v38, v41
	v_cvt_f32_f16_sdwa v39, v41 dst_sel:DWORD dst_unused:UNUSED_PAD src0_sel:WORD_1
	v_add_lshl_u32 v40, v42, v66, 3
	s_waitcnt lgkmcnt(0)
	v_pk_fma_f32 v[36:37], v[34:35], v[36:37], 0 op_sel_hi:[0,1,0]
	v_mov_b32_e32 v34, v35
	v_pk_fma_f32 v[34:35], v[34:35], v[38:39], v[36:37] op_sel_hi:[0,1,1]
	v_add_u32_e32 v38, 40, v243
	v_lshlrev_b32_e32 v36, 1, v38
	v_and_b32_e32 v37, 15, v38
	v_and_or_b32 v36, v36, s11, v37
	v_mad_u32_u24 v39, v36, s10, 0
	v_add_u32_e32 v36, v39, v67
	ds_read2st64_b32 v[36:37], v36 offset1:17
	v_add_u32_e32 v43, 44, v243
	global_store_dwordx2 v40, v[34:35], s[6:7]
	v_lshlrev_b32_e32 v40, 1, v43
	v_and_b32_e32 v41, 15, v43
	v_and_or_b32 v40, v40, s11, v41
	v_lshlrev_b32_e32 v38, 7, v38
	ds_read2st64_b32 v[34:35], v39 offset0:1 offset1:18
	v_mad_u32_u24 v44, v40, s10, 0
	v_add_lshl_u32 v42, v38, v66, 3
	s_waitcnt lgkmcnt(1)
	v_cvt_f32_f16_e32 v38, v36
	v_cvt_f32_f16_sdwa v39, v36 dst_sel:DWORD dst_unused:UNUSED_PAD src0_sel:WORD_1
	v_add_u32_e32 v40, v44, v67
	v_cvt_f32_f16_e32 v36, v37
	v_cvt_f32_f16_sdwa v37, v37 dst_sel:DWORD dst_unused:UNUSED_PAD src0_sel:WORD_1
	ds_read2st64_b32 v[40:41], v40 offset1:17
	s_waitcnt lgkmcnt(1)
	v_pk_fma_f32 v[38:39], v[34:35], v[38:39], 0 op_sel_hi:[0,1,0]
	v_mov_b32_e32 v34, v35
	v_pk_fma_f32 v[34:35], v[34:35], v[36:37], v[38:39] op_sel_hi:[0,1,1]
	ds_read2st64_b32 v[36:37], v44 offset0:1 offset1:18
	s_waitcnt lgkmcnt(1)
	v_cvt_f32_f16_e32 v38, v40
	v_cvt_f32_f16_sdwa v39, v40 dst_sel:DWORD dst_unused:UNUSED_PAD src0_sel:WORD_1
	global_store_dwordx2 v42, v[34:35], s[6:7]
	v_lshlrev_b32_e32 v34, 7, v43
	v_add_lshl_u32 v42, v34, v66, 3
	s_waitcnt lgkmcnt(0)
	v_pk_fma_f32 v[34:35], v[36:37], v[38:39], 0 op_sel_hi:[0,1,0]
	v_mov_b32_e32 v36, v37
	v_add_u32_e32 v37, 48, v243
	v_lshlrev_b32_e32 v40, 1, v37
	v_and_or_b32 v1, v40, s11, v1
	v_mad_u32_u24 v1, v1, s10, 0
	v_cvt_f32_f16_e32 v38, v41
	v_cvt_f32_f16_sdwa v39, v41 dst_sel:DWORD dst_unused:UNUSED_PAD src0_sel:WORD_1
	v_add_u32_e32 v40, v1, v67
	ds_read2st64_b32 v[40:41], v40 offset1:17
	v_pk_fma_f32 v[34:35], v[36:37], v[38:39], v[34:35] op_sel_hi:[0,1,1]
	global_store_dwordx2 v42, v[34:35], s[6:7]
	ds_read2st64_b32 v[34:35], v1 offset0:1 offset1:18
	v_lshlrev_b32_e32 v42, 7, v37
	s_waitcnt lgkmcnt(1)
	v_cvt_f32_f16_e32 v36, v40
	v_cvt_f32_f16_sdwa v37, v40 dst_sel:DWORD dst_unused:UNUSED_PAD src0_sel:WORD_1
	v_cvt_f32_f16_e32 v38, v41
	v_cvt_f32_f16_sdwa v39, v41 dst_sel:DWORD dst_unused:UNUSED_PAD src0_sel:WORD_1
	v_add_lshl_u32 v1, v42, v66, 3
	s_waitcnt lgkmcnt(0)
	v_pk_fma_f32 v[36:37], v[34:35], v[36:37], 0 op_sel_hi:[0,1,0]
	v_mov_b32_e32 v34, v35
	v_pk_fma_f32 v[34:35], v[34:35], v[38:39], v[36:37] op_sel_hi:[0,1,1]
	v_add_u32_e32 v38, 52, v243
	v_lshlrev_b32_e32 v36, 1, v38
	v_and_b32_e32 v37, 15, v38
	v_and_or_b32 v36, v36, s11, v37
	v_mad_u32_u24 v39, v36, s10, 0
	v_add_u32_e32 v36, v39, v67
	ds_read2st64_b32 v[36:37], v36 offset1:17
	v_add_u32_e32 v42, 56, v243
	v_lshlrev_b32_e32 v40, 1, v42
	v_and_b32_e32 v41, 15, v42
	v_and_or_b32 v40, v40, s11, v41
	global_store_dwordx2 v1, v[34:35], s[6:7]
	ds_read2st64_b32 v[34:35], v39 offset0:1 offset1:18
	v_mad_u32_u24 v43, v40, s10, 0
	v_lshlrev_b32_e32 v1, 7, v38
	s_waitcnt lgkmcnt(1)
	v_cvt_f32_f16_e32 v38, v36
	v_cvt_f32_f16_sdwa v39, v36 dst_sel:DWORD dst_unused:UNUSED_PAD src0_sel:WORD_1
	v_add_u32_e32 v40, v43, v67
	v_cvt_f32_f16_e32 v36, v37
	v_cvt_f32_f16_sdwa v37, v37 dst_sel:DWORD dst_unused:UNUSED_PAD src0_sel:WORD_1
	ds_read2st64_b32 v[40:41], v40 offset1:17
	s_waitcnt lgkmcnt(1)
	v_pk_fma_f32 v[38:39], v[34:35], v[38:39], 0 op_sel_hi:[0,1,0]
	v_mov_b32_e32 v34, v35
	v_pk_fma_f32 v[34:35], v[34:35], v[36:37], v[38:39] op_sel_hi:[0,1,1]
	ds_read2st64_b32 v[36:37], v43 offset0:1 offset1:18
	s_waitcnt lgkmcnt(1)
	v_cvt_f32_f16_e32 v38, v40
	v_cvt_f32_f16_sdwa v39, v40 dst_sel:DWORD dst_unused:UNUSED_PAD src0_sel:WORD_1
	v_add_lshl_u32 v1, v1, v66, 3
	global_store_dwordx2 v1, v[34:35], s[6:7]
	v_lshlrev_b32_e32 v1, 7, v42
	s_waitcnt lgkmcnt(0)
	v_pk_fma_f32 v[34:35], v[36:37], v[38:39], 0 op_sel_hi:[0,1,0]
	v_mov_b32_e32 v36, v37
	v_add_u32_e32 v37, 60, v243
	v_cvt_f32_f16_e32 v38, v41
	v_cvt_f32_f16_sdwa v39, v41 dst_sel:DWORD dst_unused:UNUSED_PAD src0_sel:WORD_1
	v_lshlrev_b32_e32 v40, 1, v37
	v_and_b32_e32 v41, 15, v37
	v_and_or_b32 v40, v40, s11, v41
	v_mad_u32_u24 v42, v40, s10, 0
	v_add_u32_e32 v40, v42, v67
	ds_read2st64_b32 v[40:41], v40 offset1:17
	v_add_lshl_u32 v1, v1, v66, 3
	v_pk_fma_f32 v[34:35], v[36:37], v[38:39], v[34:35] op_sel_hi:[0,1,1]
	global_store_dwordx2 v1, v[34:35], s[6:7]
	ds_read2st64_b32 v[34:35], v42 offset0:1 offset1:18
	v_lshlrev_b32_e32 v1, 7, v37
	s_waitcnt lgkmcnt(1)
	v_cvt_f32_f16_e32 v36, v40
	v_cvt_f32_f16_sdwa v37, v40 dst_sel:DWORD dst_unused:UNUSED_PAD src0_sel:WORD_1
	v_cvt_f32_f16_e32 v38, v41
	v_cvt_f32_f16_sdwa v39, v41 dst_sel:DWORD dst_unused:UNUSED_PAD src0_sel:WORD_1
	v_add_lshl_u32 v1, v1, v66, 3
	s_waitcnt lgkmcnt(0)
	v_pk_fma_f32 v[36:37], v[34:35], v[36:37], 0 op_sel_hi:[0,1,0]
	v_mov_b32_e32 v34, v35
	v_pk_fma_f32 v[34:35], v[34:35], v[38:39], v[36:37] op_sel_hi:[0,1,1]
	global_store_dwordx2 v1, v[34:35], s[6:7]
.LBB29_563:
	s_or_b64 exec, exec, s[4:5]
	v_cvt_f16_f32_e32 v1, v2
	v_cvt_f16_f32_e32 v2, v3
	v_cvt_f16_f32_e32 v3, v4
	v_cvt_f16_f32_e32 v4, v5
	v_cvt_f16_f32_e32 v5, v6
	v_cvt_f16_f32_e32 v6, v8
	v_cvt_f16_f32_e32 v8, v9
	v_cvt_f16_f32_e32 v7, v7
	v_pack_b32_f16 v3, v3, v4
	v_pack_b32_f16 v1, v1, v2
	v_pack_b32_f16 v2, v6, v8
	v_pack_b32_f16 v4, v5, v7
	v_cvt_f16_f32_e32 v5, v10
	v_cvt_f16_f32_e32 v6, v11
	v_cvt_f16_f32_e32 v7, v12
	v_cvt_f16_f32_e32 v8, v13
	v_cvt_f16_f32_e32 v9, v14
	v_cvt_f16_f32_e32 v10, v16
	v_cvt_f16_f32_e32 v11, v17
	v_cvt_f16_f32_e32 v12, v15
	v_pack_b32_f16 v7, v7, v8
	v_pack_b32_f16 v5, v5, v6
	v_pack_b32_f16 v6, v10, v11
	v_pack_b32_f16 v8, v9, v12
	;; [unrolled: 12-line block ×4, first 2 shown]
	s_barrier
	ds_write2_b32 v0, v1, v3 offset1:1
	ds_write2_b32 v0, v4, v2 offset0:8 offset1:9
	ds_write2_b32 v0, v5, v7 offset0:16 offset1:17
	;; [unrolled: 1-line block ×7, first 2 shown]
	s_waitcnt lgkmcnt(0)
	s_barrier
	s_and_saveexec_b64 s[4:5], vcc
	s_cbranch_execz .LBB29_565
; %bb.564:
	s_load_dword s6, s[58:59], 0x10
	v_bfe_u32 v8, v246, 1, 4
	s_movk_i32 s10, 0x3e0
	v_and_or_b32 v0, v246, s10, v8
	s_mov_b32 s7, 0
	s_waitcnt lgkmcnt(0)
	s_lshr_b32 s6, s6, 16
	s_cmp_lg_u32 s6, 0
	s_cselect_b64 s[10:11], -1, 0
	s_cmp_lg_u64 s[10:11], 0
	s_movk_i32 s10, 0x110
	v_mad_u32_u24 v2, v0, s10, 0
	v_add_u32_e32 v0, v2, v67
	ds_read2st64_b32 v[0:1], v0 offset1:17
	ds_read2st64_b32 v[2:3], v2 offset0:1 offset1:18
	s_addc_u32 s6, s60, 0
	s_lshl_b32 s6, s6, 7
	s_lshl_b64 s[6:7], s[6:7], 3
	s_waitcnt lgkmcnt(1)
	v_cvt_f32_f16_e32 v4, v0
	v_cvt_f32_f16_sdwa v5, v0 dst_sel:DWORD dst_unused:UNUSED_PAD src0_sel:WORD_1
	v_cvt_f32_f16_e32 v0, v1
	v_cvt_f32_f16_sdwa v1, v1 dst_sel:DWORD dst_unused:UNUSED_PAD src0_sel:WORD_1
	s_add_u32 s6, s8, s6
	s_waitcnt lgkmcnt(0)
	v_pk_fma_f32 v[4:5], v[2:3], v[4:5], 0 op_sel_hi:[0,1,0]
	v_mov_b32_e32 v2, v3
	v_pk_fma_f32 v[0:1], v[2:3], v[0:1], v[4:5] op_sel_hi:[0,1,1]
	v_add_u32_e32 v4, 4, v243
	v_lshlrev_b32_e32 v2, 1, v4
	v_and_b32_e32 v3, 15, v4
	s_movk_i32 s8, 0x7e0
	v_and_or_b32 v2, v2, s8, v3
	v_mad_u32_u24 v5, v2, s10, 0
	v_add_u32_e32 v2, v5, v67
	v_lshlrev_b32_e32 v6, 6, v246
	ds_read2st64_b32 v[2:3], v2 offset1:17
	s_addc_u32 s7, s9, s7
	v_add_lshl_u32 v6, v66, v6, 3
	v_add_u32_e32 v10, 8, v243
	global_store_dwordx2 v6, v[0:1], s[6:7] offset:512
	v_lshlrev_b32_e32 v6, 1, v10
	v_and_b32_e32 v7, 15, v10
	v_and_or_b32 v6, v6, s8, v7
	v_lshlrev_b32_e32 v4, 7, v4
	ds_read2st64_b32 v[0:1], v5 offset0:1 offset1:18
	v_mad_u32_u24 v11, v6, s10, 0
	v_add_lshl_u32 v9, v66, v4, 3
	s_waitcnt lgkmcnt(1)
	v_cvt_f32_f16_e32 v4, v2
	v_cvt_f32_f16_sdwa v5, v2 dst_sel:DWORD dst_unused:UNUSED_PAD src0_sel:WORD_1
	v_add_u32_e32 v6, v11, v67
	v_cvt_f32_f16_e32 v2, v3
	v_cvt_f32_f16_sdwa v3, v3 dst_sel:DWORD dst_unused:UNUSED_PAD src0_sel:WORD_1
	ds_read2st64_b32 v[6:7], v6 offset1:17
	s_waitcnt lgkmcnt(1)
	v_pk_fma_f32 v[4:5], v[0:1], v[4:5], 0 op_sel_hi:[0,1,0]
	v_mov_b32_e32 v0, v1
	v_pk_fma_f32 v[0:1], v[0:1], v[2:3], v[4:5] op_sel_hi:[0,1,1]
	ds_read2st64_b32 v[2:3], v11 offset0:1 offset1:18
	s_waitcnt lgkmcnt(1)
	v_cvt_f32_f16_e32 v4, v6
	v_cvt_f32_f16_sdwa v5, v6 dst_sel:DWORD dst_unused:UNUSED_PAD src0_sel:WORD_1
	global_store_dwordx2 v9, v[0:1], s[6:7] offset:512
	v_lshlrev_b32_e32 v0, 7, v10
	v_add_lshl_u32 v9, v66, v0, 3
	s_waitcnt lgkmcnt(0)
	v_pk_fma_f32 v[0:1], v[2:3], v[4:5], 0 op_sel_hi:[0,1,0]
	v_mov_b32_e32 v2, v3
	v_add_u32_e32 v3, 12, v243
	v_cvt_f32_f16_e32 v4, v7
	v_cvt_f32_f16_sdwa v5, v7 dst_sel:DWORD dst_unused:UNUSED_PAD src0_sel:WORD_1
	v_lshlrev_b32_e32 v6, 1, v3
	v_and_b32_e32 v7, 15, v3
	v_and_or_b32 v6, v6, s8, v7
	v_mad_u32_u24 v10, v6, s10, 0
	v_add_u32_e32 v6, v10, v67
	ds_read2st64_b32 v[6:7], v6 offset1:17
	v_pk_fma_f32 v[0:1], v[2:3], v[4:5], v[0:1] op_sel_hi:[0,1,1]
	global_store_dwordx2 v9, v[0:1], s[6:7] offset:512
	ds_read2st64_b32 v[0:1], v10 offset0:1 offset1:18
	v_lshlrev_b32_e32 v9, 7, v3
	s_waitcnt lgkmcnt(1)
	v_cvt_f32_f16_e32 v2, v6
	v_cvt_f32_f16_sdwa v3, v6 dst_sel:DWORD dst_unused:UNUSED_PAD src0_sel:WORD_1
	v_cvt_f32_f16_e32 v4, v7
	v_cvt_f32_f16_sdwa v5, v7 dst_sel:DWORD dst_unused:UNUSED_PAD src0_sel:WORD_1
	v_add_lshl_u32 v6, v66, v9, 3
	s_waitcnt lgkmcnt(0)
	v_pk_fma_f32 v[2:3], v[0:1], v[2:3], 0 op_sel_hi:[0,1,0]
	v_mov_b32_e32 v0, v1
	v_pk_fma_f32 v[0:1], v[0:1], v[4:5], v[2:3] op_sel_hi:[0,1,1]
	v_add_u32_e32 v4, 16, v243
	v_lshlrev_b32_e32 v2, 1, v4
	v_and_or_b32 v2, v2, s8, v8
	v_mad_u32_u24 v5, v2, s10, 0
	v_add_u32_e32 v2, v5, v67
	ds_read2st64_b32 v[2:3], v2 offset1:17
	v_add_u32_e32 v10, 20, v243
	global_store_dwordx2 v6, v[0:1], s[6:7] offset:512
	v_lshlrev_b32_e32 v6, 1, v10
	v_and_b32_e32 v7, 15, v10
	v_and_or_b32 v6, v6, s8, v7
	v_lshlrev_b32_e32 v4, 7, v4
	ds_read2st64_b32 v[0:1], v5 offset0:1 offset1:18
	v_mad_u32_u24 v11, v6, s10, 0
	v_add_lshl_u32 v9, v66, v4, 3
	s_waitcnt lgkmcnt(1)
	v_cvt_f32_f16_e32 v4, v2
	v_cvt_f32_f16_sdwa v5, v2 dst_sel:DWORD dst_unused:UNUSED_PAD src0_sel:WORD_1
	v_add_u32_e32 v6, v11, v67
	v_cvt_f32_f16_e32 v2, v3
	v_cvt_f32_f16_sdwa v3, v3 dst_sel:DWORD dst_unused:UNUSED_PAD src0_sel:WORD_1
	ds_read2st64_b32 v[6:7], v6 offset1:17
	s_waitcnt lgkmcnt(1)
	v_pk_fma_f32 v[4:5], v[0:1], v[4:5], 0 op_sel_hi:[0,1,0]
	v_mov_b32_e32 v0, v1
	v_pk_fma_f32 v[0:1], v[0:1], v[2:3], v[4:5] op_sel_hi:[0,1,1]
	ds_read2st64_b32 v[2:3], v11 offset0:1 offset1:18
	s_waitcnt lgkmcnt(1)
	v_cvt_f32_f16_e32 v4, v6
	v_cvt_f32_f16_sdwa v5, v6 dst_sel:DWORD dst_unused:UNUSED_PAD src0_sel:WORD_1
	global_store_dwordx2 v9, v[0:1], s[6:7] offset:512
	v_lshlrev_b32_e32 v0, 7, v10
	v_add_lshl_u32 v9, v66, v0, 3
	s_waitcnt lgkmcnt(0)
	v_pk_fma_f32 v[0:1], v[2:3], v[4:5], 0 op_sel_hi:[0,1,0]
	v_mov_b32_e32 v2, v3
	v_add_u32_e32 v3, 24, v243
	v_cvt_f32_f16_e32 v4, v7
	v_cvt_f32_f16_sdwa v5, v7 dst_sel:DWORD dst_unused:UNUSED_PAD src0_sel:WORD_1
	v_lshlrev_b32_e32 v6, 1, v3
	v_and_b32_e32 v7, 15, v3
	v_and_or_b32 v6, v6, s8, v7
	v_mad_u32_u24 v10, v6, s10, 0
	v_add_u32_e32 v6, v10, v67
	ds_read2st64_b32 v[6:7], v6 offset1:17
	v_pk_fma_f32 v[0:1], v[2:3], v[4:5], v[0:1] op_sel_hi:[0,1,1]
	global_store_dwordx2 v9, v[0:1], s[6:7] offset:512
	ds_read2st64_b32 v[0:1], v10 offset0:1 offset1:18
	v_lshlrev_b32_e32 v9, 7, v3
	s_waitcnt lgkmcnt(1)
	v_cvt_f32_f16_e32 v2, v6
	v_cvt_f32_f16_sdwa v3, v6 dst_sel:DWORD dst_unused:UNUSED_PAD src0_sel:WORD_1
	v_cvt_f32_f16_e32 v4, v7
	v_cvt_f32_f16_sdwa v5, v7 dst_sel:DWORD dst_unused:UNUSED_PAD src0_sel:WORD_1
	v_add_lshl_u32 v6, v66, v9, 3
	s_waitcnt lgkmcnt(0)
	v_pk_fma_f32 v[2:3], v[0:1], v[2:3], 0 op_sel_hi:[0,1,0]
	v_mov_b32_e32 v0, v1
	v_pk_fma_f32 v[0:1], v[0:1], v[4:5], v[2:3] op_sel_hi:[0,1,1]
	v_add_u32_e32 v4, 28, v243
	v_lshlrev_b32_e32 v2, 1, v4
	v_and_b32_e32 v3, 15, v4
	v_and_or_b32 v2, v2, s8, v3
	v_mad_u32_u24 v5, v2, s10, 0
	v_add_u32_e32 v2, v5, v67
	ds_read2st64_b32 v[2:3], v2 offset1:17
	v_add_u32_e32 v10, 32, v243
	global_store_dwordx2 v6, v[0:1], s[6:7] offset:512
	v_lshlrev_b32_e32 v6, 1, v10
	v_and_or_b32 v6, v6, s8, v8
	v_lshlrev_b32_e32 v4, 7, v4
	ds_read2st64_b32 v[0:1], v5 offset0:1 offset1:18
	v_mad_u32_u24 v11, v6, s10, 0
	v_add_lshl_u32 v9, v66, v4, 3
	s_waitcnt lgkmcnt(1)
	v_cvt_f32_f16_e32 v4, v2
	v_cvt_f32_f16_sdwa v5, v2 dst_sel:DWORD dst_unused:UNUSED_PAD src0_sel:WORD_1
	v_add_u32_e32 v6, v11, v67
	v_cvt_f32_f16_e32 v2, v3
	v_cvt_f32_f16_sdwa v3, v3 dst_sel:DWORD dst_unused:UNUSED_PAD src0_sel:WORD_1
	ds_read2st64_b32 v[6:7], v6 offset1:17
	s_waitcnt lgkmcnt(1)
	v_pk_fma_f32 v[4:5], v[0:1], v[4:5], 0 op_sel_hi:[0,1,0]
	v_mov_b32_e32 v0, v1
	v_pk_fma_f32 v[0:1], v[0:1], v[2:3], v[4:5] op_sel_hi:[0,1,1]
	ds_read2st64_b32 v[2:3], v11 offset0:1 offset1:18
	s_waitcnt lgkmcnt(1)
	v_cvt_f32_f16_e32 v4, v6
	v_cvt_f32_f16_sdwa v5, v6 dst_sel:DWORD dst_unused:UNUSED_PAD src0_sel:WORD_1
	global_store_dwordx2 v9, v[0:1], s[6:7] offset:512
	v_lshlrev_b32_e32 v0, 7, v10
	v_add_lshl_u32 v9, v66, v0, 3
	s_waitcnt lgkmcnt(0)
	v_pk_fma_f32 v[0:1], v[2:3], v[4:5], 0 op_sel_hi:[0,1,0]
	v_mov_b32_e32 v2, v3
	v_add_u32_e32 v3, 36, v243
	v_cvt_f32_f16_e32 v4, v7
	v_cvt_f32_f16_sdwa v5, v7 dst_sel:DWORD dst_unused:UNUSED_PAD src0_sel:WORD_1
	v_lshlrev_b32_e32 v6, 1, v3
	v_and_b32_e32 v7, 15, v3
	v_and_or_b32 v6, v6, s8, v7
	v_mad_u32_u24 v10, v6, s10, 0
	v_add_u32_e32 v6, v10, v67
	ds_read2st64_b32 v[6:7], v6 offset1:17
	v_pk_fma_f32 v[0:1], v[2:3], v[4:5], v[0:1] op_sel_hi:[0,1,1]
	global_store_dwordx2 v9, v[0:1], s[6:7] offset:512
	ds_read2st64_b32 v[0:1], v10 offset0:1 offset1:18
	v_lshlrev_b32_e32 v9, 7, v3
	s_waitcnt lgkmcnt(1)
	v_cvt_f32_f16_e32 v2, v6
	v_cvt_f32_f16_sdwa v3, v6 dst_sel:DWORD dst_unused:UNUSED_PAD src0_sel:WORD_1
	v_cvt_f32_f16_e32 v4, v7
	v_cvt_f32_f16_sdwa v5, v7 dst_sel:DWORD dst_unused:UNUSED_PAD src0_sel:WORD_1
	v_add_lshl_u32 v6, v66, v9, 3
	s_waitcnt lgkmcnt(0)
	v_pk_fma_f32 v[2:3], v[0:1], v[2:3], 0 op_sel_hi:[0,1,0]
	v_mov_b32_e32 v0, v1
	v_pk_fma_f32 v[0:1], v[0:1], v[4:5], v[2:3] op_sel_hi:[0,1,1]
	v_add_u32_e32 v4, 40, v243
	v_lshlrev_b32_e32 v2, 1, v4
	v_and_b32_e32 v3, 15, v4
	v_and_or_b32 v2, v2, s8, v3
	v_mad_u32_u24 v5, v2, s10, 0
	v_add_u32_e32 v2, v5, v67
	ds_read2st64_b32 v[2:3], v2 offset1:17
	v_add_u32_e32 v10, 44, v243
	global_store_dwordx2 v6, v[0:1], s[6:7] offset:512
	v_lshlrev_b32_e32 v6, 1, v10
	v_and_b32_e32 v7, 15, v10
	v_and_or_b32 v6, v6, s8, v7
	v_lshlrev_b32_e32 v4, 7, v4
	ds_read2st64_b32 v[0:1], v5 offset0:1 offset1:18
	v_mad_u32_u24 v11, v6, s10, 0
	v_add_lshl_u32 v9, v66, v4, 3
	s_waitcnt lgkmcnt(1)
	v_cvt_f32_f16_e32 v4, v2
	v_cvt_f32_f16_sdwa v5, v2 dst_sel:DWORD dst_unused:UNUSED_PAD src0_sel:WORD_1
	v_add_u32_e32 v6, v11, v67
	v_cvt_f32_f16_e32 v2, v3
	v_cvt_f32_f16_sdwa v3, v3 dst_sel:DWORD dst_unused:UNUSED_PAD src0_sel:WORD_1
	ds_read2st64_b32 v[6:7], v6 offset1:17
	s_waitcnt lgkmcnt(1)
	v_pk_fma_f32 v[4:5], v[0:1], v[4:5], 0 op_sel_hi:[0,1,0]
	v_mov_b32_e32 v0, v1
	v_pk_fma_f32 v[0:1], v[0:1], v[2:3], v[4:5] op_sel_hi:[0,1,1]
	ds_read2st64_b32 v[2:3], v11 offset0:1 offset1:18
	s_waitcnt lgkmcnt(1)
	v_cvt_f32_f16_e32 v4, v6
	v_cvt_f32_f16_sdwa v5, v6 dst_sel:DWORD dst_unused:UNUSED_PAD src0_sel:WORD_1
	global_store_dwordx2 v9, v[0:1], s[6:7] offset:512
	v_lshlrev_b32_e32 v0, 7, v10
	v_add_lshl_u32 v9, v66, v0, 3
	s_waitcnt lgkmcnt(0)
	v_pk_fma_f32 v[0:1], v[2:3], v[4:5], 0 op_sel_hi:[0,1,0]
	v_mov_b32_e32 v2, v3
	v_add_u32_e32 v3, 48, v243
	v_lshlrev_b32_e32 v6, 1, v3
	v_and_or_b32 v6, v6, s8, v8
	v_mad_u32_u24 v8, v6, s10, 0
	v_cvt_f32_f16_e32 v4, v7
	v_cvt_f32_f16_sdwa v5, v7 dst_sel:DWORD dst_unused:UNUSED_PAD src0_sel:WORD_1
	v_add_u32_e32 v6, v8, v67
	ds_read2st64_b32 v[6:7], v6 offset1:17
	v_pk_fma_f32 v[0:1], v[2:3], v[4:5], v[0:1] op_sel_hi:[0,1,1]
	global_store_dwordx2 v9, v[0:1], s[6:7] offset:512
	ds_read2st64_b32 v[0:1], v8 offset0:1 offset1:18
	v_lshlrev_b32_e32 v9, 7, v3
	s_waitcnt lgkmcnt(1)
	v_cvt_f32_f16_e32 v2, v6
	v_cvt_f32_f16_sdwa v3, v6 dst_sel:DWORD dst_unused:UNUSED_PAD src0_sel:WORD_1
	v_cvt_f32_f16_e32 v4, v7
	v_cvt_f32_f16_sdwa v5, v7 dst_sel:DWORD dst_unused:UNUSED_PAD src0_sel:WORD_1
	v_add_lshl_u32 v6, v66, v9, 3
	s_waitcnt lgkmcnt(0)
	v_pk_fma_f32 v[2:3], v[0:1], v[2:3], 0 op_sel_hi:[0,1,0]
	v_mov_b32_e32 v0, v1
	v_pk_fma_f32 v[0:1], v[0:1], v[4:5], v[2:3] op_sel_hi:[0,1,1]
	v_add_u32_e32 v4, 52, v243
	v_lshlrev_b32_e32 v2, 1, v4
	v_and_b32_e32 v3, 15, v4
	v_and_or_b32 v2, v2, s8, v3
	v_mad_u32_u24 v5, v2, s10, 0
	v_add_u32_e32 v2, v5, v67
	ds_read2st64_b32 v[2:3], v2 offset1:17
	v_add_u32_e32 v9, 56, v243
	global_store_dwordx2 v6, v[0:1], s[6:7] offset:512
	v_lshlrev_b32_e32 v6, 1, v9
	v_and_b32_e32 v7, 15, v9
	v_and_or_b32 v6, v6, s8, v7
	v_lshlrev_b32_e32 v4, 7, v4
	ds_read2st64_b32 v[0:1], v5 offset0:1 offset1:18
	v_mad_u32_u24 v10, v6, s10, 0
	v_add_lshl_u32 v8, v66, v4, 3
	s_waitcnt lgkmcnt(1)
	v_cvt_f32_f16_e32 v4, v2
	v_cvt_f32_f16_sdwa v5, v2 dst_sel:DWORD dst_unused:UNUSED_PAD src0_sel:WORD_1
	v_add_u32_e32 v6, v10, v67
	v_cvt_f32_f16_e32 v2, v3
	v_cvt_f32_f16_sdwa v3, v3 dst_sel:DWORD dst_unused:UNUSED_PAD src0_sel:WORD_1
	ds_read2st64_b32 v[6:7], v6 offset1:17
	s_waitcnt lgkmcnt(1)
	v_pk_fma_f32 v[4:5], v[0:1], v[4:5], 0 op_sel_hi:[0,1,0]
	v_mov_b32_e32 v0, v1
	v_pk_fma_f32 v[0:1], v[0:1], v[2:3], v[4:5] op_sel_hi:[0,1,1]
	ds_read2st64_b32 v[2:3], v10 offset0:1 offset1:18
	s_waitcnt lgkmcnt(1)
	v_cvt_f32_f16_e32 v4, v6
	v_cvt_f32_f16_sdwa v5, v6 dst_sel:DWORD dst_unused:UNUSED_PAD src0_sel:WORD_1
	global_store_dwordx2 v8, v[0:1], s[6:7] offset:512
	v_lshlrev_b32_e32 v0, 7, v9
	v_add_lshl_u32 v8, v66, v0, 3
	s_waitcnt lgkmcnt(0)
	v_pk_fma_f32 v[0:1], v[2:3], v[4:5], 0 op_sel_hi:[0,1,0]
	v_mov_b32_e32 v2, v3
	v_add_u32_e32 v3, 60, v243
	v_cvt_f32_f16_e32 v4, v7
	v_cvt_f32_f16_sdwa v5, v7 dst_sel:DWORD dst_unused:UNUSED_PAD src0_sel:WORD_1
	v_lshlrev_b32_e32 v6, 1, v3
	v_and_b32_e32 v7, 15, v3
	v_and_or_b32 v6, v6, s8, v7
	v_mad_u32_u24 v9, v6, s10, 0
	v_add_u32_e32 v6, v9, v67
	ds_read2st64_b32 v[6:7], v6 offset1:17
	v_pk_fma_f32 v[0:1], v[2:3], v[4:5], v[0:1] op_sel_hi:[0,1,1]
	global_store_dwordx2 v8, v[0:1], s[6:7] offset:512
	ds_read2st64_b32 v[0:1], v9 offset0:1 offset1:18
	v_lshlrev_b32_e32 v8, 7, v3
	s_waitcnt lgkmcnt(1)
	v_cvt_f32_f16_e32 v2, v6
	v_cvt_f32_f16_sdwa v3, v6 dst_sel:DWORD dst_unused:UNUSED_PAD src0_sel:WORD_1
	v_cvt_f32_f16_e32 v4, v7
	v_cvt_f32_f16_sdwa v5, v7 dst_sel:DWORD dst_unused:UNUSED_PAD src0_sel:WORD_1
	v_add_lshl_u32 v6, v66, v8, 3
	s_waitcnt lgkmcnt(0)
	v_pk_fma_f32 v[2:3], v[0:1], v[2:3], 0 op_sel_hi:[0,1,0]
	v_mov_b32_e32 v0, v1
	v_pk_fma_f32 v[0:1], v[0:1], v[4:5], v[2:3] op_sel_hi:[0,1,1]
	global_store_dwordx2 v6, v[0:1], s[6:7] offset:512
.LBB29_565:
	s_or_b64 exec, exec, s[4:5]
	s_barrier
	s_endpgm
	.section	.rodata,"a",@progbits
	.p2align	6, 0x0
	.amdhsa_kernel _ZL18flash_attn_ext_f16ILi256ELi256ELi64ELi1ELb0ELb0EEvPKcS1_S1_S1_S1_PKiPfP15HIP_vector_typeIfLj2EEffffjfiS5_IjLj3EEiiiiiiiiiiiliiliiiiil
		.amdhsa_group_segment_fixed_size 0
		.amdhsa_private_segment_fixed_size 368
		.amdhsa_kernarg_size 464
		.amdhsa_user_sgpr_count 8
		.amdhsa_user_sgpr_private_segment_buffer 1
		.amdhsa_user_sgpr_dispatch_ptr 0
		.amdhsa_user_sgpr_queue_ptr 0
		.amdhsa_user_sgpr_kernarg_segment_ptr 1
		.amdhsa_user_sgpr_dispatch_id 0
		.amdhsa_user_sgpr_flat_scratch_init 1
		.amdhsa_user_sgpr_kernarg_preload_length 0
		.amdhsa_user_sgpr_kernarg_preload_offset 0
		.amdhsa_user_sgpr_private_segment_size 0
		.amdhsa_uses_dynamic_stack 0
		.amdhsa_system_sgpr_private_segment_wavefront_offset 1
		.amdhsa_system_sgpr_workgroup_id_x 1
		.amdhsa_system_sgpr_workgroup_id_y 0
		.amdhsa_system_sgpr_workgroup_id_z 0
		.amdhsa_system_sgpr_workgroup_info 0
		.amdhsa_system_vgpr_workitem_id 1
		.amdhsa_next_free_vgpr 256
		.amdhsa_next_free_sgpr 100
		.amdhsa_accum_offset 256
		.amdhsa_reserve_vcc 1
		.amdhsa_reserve_flat_scratch 1
		.amdhsa_float_round_mode_32 0
		.amdhsa_float_round_mode_16_64 0
		.amdhsa_float_denorm_mode_32 3
		.amdhsa_float_denorm_mode_16_64 3
		.amdhsa_dx10_clamp 1
		.amdhsa_ieee_mode 1
		.amdhsa_fp16_overflow 0
		.amdhsa_tg_split 0
		.amdhsa_exception_fp_ieee_invalid_op 0
		.amdhsa_exception_fp_denorm_src 0
		.amdhsa_exception_fp_ieee_div_zero 0
		.amdhsa_exception_fp_ieee_overflow 0
		.amdhsa_exception_fp_ieee_underflow 0
		.amdhsa_exception_fp_ieee_inexact 0
		.amdhsa_exception_int_div_zero 0
	.end_amdhsa_kernel
	.section	.text._ZL18flash_attn_ext_f16ILi256ELi256ELi64ELi1ELb0ELb0EEvPKcS1_S1_S1_S1_PKiPfP15HIP_vector_typeIfLj2EEffffjfiS5_IjLj3EEiiiiiiiiiiiliiliiiiil,"axG",@progbits,_ZL18flash_attn_ext_f16ILi256ELi256ELi64ELi1ELb0ELb0EEvPKcS1_S1_S1_S1_PKiPfP15HIP_vector_typeIfLj2EEffffjfiS5_IjLj3EEiiiiiiiiiiiliiliiiiil,comdat
.Lfunc_end29:
	.size	_ZL18flash_attn_ext_f16ILi256ELi256ELi64ELi1ELb0ELb0EEvPKcS1_S1_S1_S1_PKiPfP15HIP_vector_typeIfLj2EEffffjfiS5_IjLj3EEiiiiiiiiiiiliiliiiiil, .Lfunc_end29-_ZL18flash_attn_ext_f16ILi256ELi256ELi64ELi1ELb0ELb0EEvPKcS1_S1_S1_S1_PKiPfP15HIP_vector_typeIfLj2EEffffjfiS5_IjLj3EEiiiiiiiiiiiliiliiiiil
                                        ; -- End function
	.section	.AMDGPU.csdata,"",@progbits
; Kernel info:
; codeLenInByte = 89796
; NumSgprs: 106
; NumVgprs: 256
; NumAgprs: 0
; TotalNumVgprs: 256
; ScratchSize: 368
; MemoryBound: 0
; FloatMode: 240
; IeeeMode: 1
; LDSByteSize: 0 bytes/workgroup (compile time only)
; SGPRBlocks: 13
; VGPRBlocks: 31
; NumSGPRsForWavesPerEU: 106
; NumVGPRsForWavesPerEU: 256
; AccumOffset: 256
; Occupancy: 2
; WaveLimiterHint : 1
; COMPUTE_PGM_RSRC2:SCRATCH_EN: 1
; COMPUTE_PGM_RSRC2:USER_SGPR: 8
; COMPUTE_PGM_RSRC2:TRAP_HANDLER: 0
; COMPUTE_PGM_RSRC2:TGID_X_EN: 1
; COMPUTE_PGM_RSRC2:TGID_Y_EN: 0
; COMPUTE_PGM_RSRC2:TGID_Z_EN: 0
; COMPUTE_PGM_RSRC2:TIDIG_COMP_CNT: 1
; COMPUTE_PGM_RSRC3_GFX90A:ACCUM_OFFSET: 63
; COMPUTE_PGM_RSRC3_GFX90A:TG_SPLIT: 0
	.section	.text._ZL18flash_attn_ext_f16ILi256ELi256ELi64ELi1ELb1ELb0EEvPKcS1_S1_S1_S1_PKiPfP15HIP_vector_typeIfLj2EEffffjfiS5_IjLj3EEiiiiiiiiiiiliiliiiiil,"axG",@progbits,_ZL18flash_attn_ext_f16ILi256ELi256ELi64ELi1ELb1ELb0EEvPKcS1_S1_S1_S1_PKiPfP15HIP_vector_typeIfLj2EEffffjfiS5_IjLj3EEiiiiiiiiiiiliiliiiiil,comdat
	.globl	_ZL18flash_attn_ext_f16ILi256ELi256ELi64ELi1ELb1ELb0EEvPKcS1_S1_S1_S1_PKiPfP15HIP_vector_typeIfLj2EEffffjfiS5_IjLj3EEiiiiiiiiiiiliiliiiiil ; -- Begin function _ZL18flash_attn_ext_f16ILi256ELi256ELi64ELi1ELb1ELb0EEvPKcS1_S1_S1_S1_PKiPfP15HIP_vector_typeIfLj2EEffffjfiS5_IjLj3EEiiiiiiiiiiiliiliiiiil
	.p2align	8
	.type	_ZL18flash_attn_ext_f16ILi256ELi256ELi64ELi1ELb1ELb0EEvPKcS1_S1_S1_S1_PKiPfP15HIP_vector_typeIfLj2EEffffjfiS5_IjLj3EEiiiiiiiiiiiliiliiiiil,@function
_ZL18flash_attn_ext_f16ILi256ELi256ELi64ELi1ELb1ELb0EEvPKcS1_S1_S1_S1_PKiPfP15HIP_vector_typeIfLj2EEffffjfiS5_IjLj3EEiiiiiiiiiiiliiliiiiil: ; @_ZL18flash_attn_ext_f16ILi256ELi256ELi64ELi1ELb1ELb0EEvPKcS1_S1_S1_S1_PKiPfP15HIP_vector_typeIfLj2EEffffjfiS5_IjLj3EEiiiiiiiiiiiliiliiiiil
; %bb.0:
	s_load_dwordx2 s[14:15], s[4:5], 0x80
	s_load_dwordx4 s[84:87], s[4:5], 0x64
	s_add_u32 flat_scratch_lo, s6, s9
	s_addc_u32 flat_scratch_hi, s7, 0
	s_add_u32 s0, s0, s9
	s_addc_u32 s1, s1, 0
	s_waitcnt lgkmcnt(0)
	s_abs_i32 s7, s15
	v_mov_b32_e32 v245, v0
	v_cvt_f32_u32_e32 v0, s7
	s_sub_i32 s10, 0, s7
	s_abs_i32 s9, s85
	s_mov_b32 s76, s8
	v_rcp_iflag_f32_e32 v0, v0
	s_xor_b32 s8, s85, s15
	s_ashr_i32 s8, s8, 31
                                        ; implicit-def: $vgpr254 : SGPR spill to VGPR lane
	s_load_dword s77, s[4:5], 0xd0
	v_mul_f32_e32 v0, 0x4f7ffffe, v0
	v_cvt_u32_f32_e32 v0, v0
	s_mov_b32 s6, 0
	v_cvt_f32_ubyte0_e32 v2, 0
	s_waitcnt lgkmcnt(0)
	v_cvt_f32_u32_e32 v1, s77
	v_readfirstlane_b32 s11, v0
	s_mul_i32 s10, s10, s11
	s_mul_hi_u32 s10, s11, s10
	s_add_i32 s11, s11, s10
	s_mul_hi_u32 s10, s9, s11
	s_mul_i32 s11, s10, s7
	s_sub_i32 s9, s9, s11
	s_add_i32 s12, s10, 1
	s_sub_i32 s11, s9, s7
	s_cmp_ge_u32 s9, s7
	s_cselect_b32 s10, s12, s10
	s_cselect_b32 s9, s11, s9
	s_add_i32 s11, s10, 1
	s_cmp_ge_u32 s9, s7
	s_cselect_b32 s7, s11, s10
	s_add_i32 s9, s14, 63
	s_xor_b32 s7, s7, s8
	s_ashr_i32 s10, s9, 31
	s_sub_i32 s8, s7, s8
	s_lshr_b32 s7, s10, 26
	s_add_i32 s9, s9, s7
	s_add_i32 s7, s84, 63
	s_lshr_b32 s7, s7, 6
	s_ashr_i32 s9, s9, 6
	v_writelane_b32 v254, s7, 0
	v_writelane_b32 v254, s9, 1
	s_mul_i32 s7, s7, s9
	v_writelane_b32 v254, s8, 2
	v_writelane_b32 v254, s7, 3
	s_mul_i32 s7, s7, s8
	s_mov_b32 s8, s14
	v_writelane_b32 v254, s8, 4
	v_writelane_b32 v254, s9, 5
	;; [unrolled: 1-line block ×3, first 2 shown]
	s_mul_i32 s7, s7, s15
	s_mul_i32 s10, s7, s86
	s_ashr_i32 s11, s10, 31
	v_writelane_b32 v254, s7, 7
	s_mul_i32 s7, s11, s76
	s_mul_hi_u32 s8, s10, s76
	s_add_i32 s7, s8, s7
	s_add_u32 s80, s4, 0xd0
	s_addc_u32 s81, s5, 0
	s_mul_i32 s12, s10, s76
	s_cmp_lg_u64 s[6:7], 0
	s_cbranch_scc0 .LBB30_2
; %bb.1:
	v_madmk_f32 v0, v2, 0x4f800000, v1
	v_rcp_f32_e32 v0, v0
	s_sub_u32 s6, 0, s77
	s_subb_u32 s13, 0, 0
	s_mov_b64 s[8:9], 0
	v_mul_f32_e32 v0, 0x5f7ffffc, v0
	v_mul_f32_e32 v3, 0x2f800000, v0
	v_trunc_f32_e32 v3, v3
	v_madmk_f32 v0, v3, 0xcf800000, v0
	v_cvt_u32_f32_e32 v3, v3
	v_cvt_u32_f32_e32 v0, v0
	v_readfirstlane_b32 s14, v3
	v_readfirstlane_b32 s15, v0
	s_mul_hi_u32 s17, s6, s15
	s_mul_i32 s18, s6, s14
	s_mul_i32 s16, s13, s15
	s_add_i32 s17, s17, s18
	s_add_i32 s17, s17, s16
	s_mul_i32 s19, s6, s15
	s_mul_hi_u32 s16, s15, s17
	s_mul_i32 s18, s15, s17
	s_mul_hi_u32 s15, s15, s19
	s_add_u32 s15, s15, s18
	s_addc_u32 s16, 0, s16
	s_mul_hi_u32 s20, s14, s19
	s_mul_i32 s19, s14, s19
	s_add_u32 s15, s15, s19
	s_mul_hi_u32 s18, s14, s17
	s_addc_u32 s15, s16, s20
	s_addc_u32 s16, s18, 0
	s_mul_i32 s17, s14, s17
	s_add_u32 s15, s15, s17
	s_addc_u32 s16, 0, s16
	v_add_co_u32_e32 v0, vcc, s15, v0
	s_cmp_lg_u64 vcc, 0
	s_addc_u32 s14, s14, s16
	v_readfirstlane_b32 s16, v0
	s_mul_i32 s15, s6, s14
	s_mul_hi_u32 s17, s6, s16
	s_add_i32 s15, s17, s15
	s_mul_i32 s13, s13, s16
	s_add_i32 s15, s15, s13
	s_mul_i32 s6, s6, s16
	s_mul_hi_u32 s17, s14, s6
	s_mul_i32 s18, s14, s6
	s_mul_i32 s20, s16, s15
	s_mul_hi_u32 s6, s16, s6
	s_mul_hi_u32 s19, s16, s15
	s_add_u32 s6, s6, s20
	s_addc_u32 s16, 0, s19
	s_add_u32 s6, s6, s18
	s_mul_hi_u32 s13, s14, s15
	s_addc_u32 s6, s16, s17
	s_addc_u32 s13, s13, 0
	s_mul_i32 s15, s14, s15
	s_add_u32 s6, s6, s15
	s_addc_u32 s13, 0, s13
	v_add_co_u32_e32 v0, vcc, s6, v0
	s_cmp_lg_u64 vcc, 0
	s_addc_u32 s13, s14, s13
	s_ashr_i32 s14, s7, 31
	s_add_u32 s6, s12, s14
	s_mov_b32 s15, s14
	s_addc_u32 s7, s7, s14
	s_xor_b64 s[6:7], s[6:7], s[14:15]
	v_readfirstlane_b32 s18, v0
	s_mul_i32 s17, s6, s13
	s_mul_hi_u32 s19, s6, s18
	s_mul_hi_u32 s16, s6, s13
	s_add_u32 s17, s19, s17
	s_addc_u32 s16, 0, s16
	s_mul_hi_u32 s20, s7, s18
	s_mul_i32 s18, s7, s18
	s_add_u32 s17, s17, s18
	s_mul_hi_u32 s19, s7, s13
	s_addc_u32 s16, s16, s20
	s_addc_u32 s17, s19, 0
	s_mul_i32 s13, s7, s13
	s_add_u32 s13, s16, s13
	s_addc_u32 s16, 0, s17
	s_add_u32 s17, s13, 1
	s_addc_u32 s18, s16, 0
	s_add_u32 s19, s13, 2
	s_mul_i32 s21, s77, s16
	s_mul_hi_u32 s22, s77, s13
	s_addc_u32 s20, s16, 0
	s_add_i32 s22, s22, s21
	s_mul_i32 s21, s77, s13
	v_mov_b32_e32 v0, s21
	v_sub_co_u32_e32 v0, vcc, s6, v0
	s_cmp_lg_u64 vcc, 0
	s_subb_u32 s6, s7, s22
	v_subrev_co_u32_e32 v3, vcc, s77, v0
	s_cmp_lg_u64 vcc, 0
	s_subb_u32 s7, s6, 0
	v_readfirstlane_b32 s21, v3
	s_cmp_ge_u32 s21, s77
	s_cselect_b32 s21, -1, 0
	s_cmp_eq_u32 s7, 0
	s_cselect_b32 s7, s21, -1
	s_cmp_lg_u32 s7, 0
	s_cselect_b32 s7, s20, s18
	v_readfirstlane_b32 s18, v0
	s_cselect_b32 s17, s19, s17
	s_cmp_ge_u32 s18, s77
	s_cselect_b32 s18, -1, 0
	s_cmp_eq_u32 s6, 0
	s_cselect_b32 s6, s18, -1
	s_cmp_lg_u32 s6, 0
	s_cselect_b32 s7, s7, s16
	s_cselect_b32 s6, s17, s13
	s_xor_b64 s[6:7], s[6:7], s[14:15]
	s_sub_u32 s98, s6, s14
	s_branch .LBB30_3
.LBB30_2:
	s_mov_b64 s[8:9], -1
                                        ; implicit-def: $sgpr98_sgpr99
.LBB30_3:
	s_load_dwordx2 s[6:7], s[4:5], 0x74
	v_cvt_f32_u32_e32 v0, s77
	s_andn2_b64 vcc, exec, s[8:9]
	s_waitcnt lgkmcnt(0)
	v_writelane_b32 v254, s6, 8
	v_writelane_b32 v254, s7, 9
	s_cbranch_vccnz .LBB30_5
; %bb.4:
	v_rcp_iflag_f32_e32 v3, v0
	s_sub_i32 s6, 0, s77
	v_mul_f32_e32 v3, 0x4f7ffffe, v3
	v_cvt_u32_f32_e32 v3, v3
	v_readfirstlane_b32 s7, v3
	s_mul_i32 s6, s6, s7
	s_mul_hi_u32 s6, s7, s6
	s_add_i32 s7, s7, s6
	s_mul_hi_u32 s6, s12, s7
	s_mul_i32 s8, s6, s77
	s_sub_i32 s8, s12, s8
	s_add_i32 s7, s6, 1
	s_sub_i32 s9, s8, s77
	s_cmp_ge_u32 s8, s77
	s_cselect_b32 s6, s7, s6
	s_cselect_b32 s8, s9, s8
	s_add_i32 s7, s6, 1
	s_cmp_ge_u32 s8, s77
	s_cselect_b32 s98, s7, s6
.LBB30_5:
	s_add_i32 s6, s76, 1
	s_mul_i32 s7, s11, s6
	s_mul_hi_u32 s8, s10, s6
	s_add_i32 s9, s8, s7
	s_mov_b32 s8, 0
	s_cmp_lg_u64 s[8:9], 0
	s_mul_i32 s8, s10, s6
	s_cbranch_scc0 .LBB30_7
; %bb.6:
	v_madmk_f32 v1, v2, 0x4f800000, v1
	v_rcp_f32_e32 v1, v1
	s_sub_u32 s10, 0, s77
	s_subb_u32 s11, 0, 0
	s_mov_b64 s[6:7], 0
	v_mul_f32_e32 v1, 0x5f7ffffc, v1
	v_mul_f32_e32 v2, 0x2f800000, v1
	v_trunc_f32_e32 v2, v2
	v_madmk_f32 v1, v2, 0xcf800000, v1
	v_cvt_u32_f32_e32 v2, v2
	v_cvt_u32_f32_e32 v1, v1
	v_readfirstlane_b32 s12, v2
	v_readfirstlane_b32 s13, v1
	s_mul_hi_u32 s15, s10, s13
	s_mul_i32 s16, s10, s12
	s_mul_i32 s14, s11, s13
	s_add_i32 s15, s15, s16
	s_add_i32 s15, s15, s14
	s_mul_i32 s17, s10, s13
	s_mul_hi_u32 s14, s13, s15
	s_mul_i32 s16, s13, s15
	s_mul_hi_u32 s13, s13, s17
	s_add_u32 s13, s13, s16
	s_addc_u32 s14, 0, s14
	s_mul_hi_u32 s18, s12, s17
	s_mul_i32 s17, s12, s17
	s_add_u32 s13, s13, s17
	s_mul_hi_u32 s16, s12, s15
	s_addc_u32 s13, s14, s18
	s_addc_u32 s14, s16, 0
	s_mul_i32 s15, s12, s15
	s_add_u32 s13, s13, s15
	s_addc_u32 s14, 0, s14
	v_add_co_u32_e32 v1, vcc, s13, v1
	s_cmp_lg_u64 vcc, 0
	s_addc_u32 s12, s12, s14
	v_readfirstlane_b32 s14, v1
	s_mul_i32 s13, s10, s12
	s_mul_hi_u32 s15, s10, s14
	s_add_i32 s13, s15, s13
	s_mul_i32 s11, s11, s14
	s_add_i32 s13, s13, s11
	s_mul_i32 s10, s10, s14
	s_mul_hi_u32 s15, s12, s10
	s_mul_i32 s16, s12, s10
	s_mul_i32 s18, s14, s13
	s_mul_hi_u32 s10, s14, s10
	s_mul_hi_u32 s17, s14, s13
	s_add_u32 s10, s10, s18
	s_addc_u32 s14, 0, s17
	s_add_u32 s10, s10, s16
	s_mul_hi_u32 s11, s12, s13
	s_addc_u32 s10, s14, s15
	s_addc_u32 s11, s11, 0
	s_mul_i32 s13, s12, s13
	s_add_u32 s10, s10, s13
	s_addc_u32 s11, 0, s11
	v_add_co_u32_e32 v1, vcc, s10, v1
	s_cmp_lg_u64 vcc, 0
	s_addc_u32 s14, s12, s11
	s_ashr_i32 s10, s9, 31
	s_add_u32 s12, s8, s10
	s_mov_b32 s11, s10
	s_addc_u32 s13, s9, s10
	s_xor_b64 s[12:13], s[12:13], s[10:11]
	v_readfirstlane_b32 s16, v1
	s_mul_i32 s15, s12, s14
	s_mul_hi_u32 s17, s12, s16
	s_mul_hi_u32 s9, s12, s14
	s_add_u32 s15, s17, s15
	s_addc_u32 s9, 0, s9
	s_mul_hi_u32 s18, s13, s16
	s_mul_i32 s16, s13, s16
	s_add_u32 s15, s15, s16
	s_mul_hi_u32 s17, s13, s14
	s_addc_u32 s9, s9, s18
	s_addc_u32 s15, s17, 0
	s_mul_i32 s14, s13, s14
	s_add_u32 s9, s9, s14
	s_addc_u32 s14, 0, s15
	s_add_u32 s15, s9, 1
	s_addc_u32 s16, s14, 0
	s_add_u32 s17, s9, 2
	s_mul_i32 s19, s77, s14
	s_mul_hi_u32 s20, s77, s9
	s_addc_u32 s18, s14, 0
	s_add_i32 s20, s20, s19
	s_mul_i32 s19, s77, s9
	v_mov_b32_e32 v1, s19
	v_sub_co_u32_e32 v1, vcc, s12, v1
	s_cmp_lg_u64 vcc, 0
	s_subb_u32 s12, s13, s20
	v_subrev_co_u32_e32 v2, vcc, s77, v1
	s_cmp_lg_u64 vcc, 0
	s_subb_u32 s13, s12, 0
	v_readfirstlane_b32 s19, v2
	s_cmp_ge_u32 s19, s77
	s_cselect_b32 s19, -1, 0
	s_cmp_eq_u32 s13, 0
	s_cselect_b32 s13, s19, -1
	s_cmp_lg_u32 s13, 0
	s_cselect_b32 s13, s18, s16
	v_readfirstlane_b32 s16, v1
	s_cselect_b32 s15, s17, s15
	s_cmp_ge_u32 s16, s77
	s_cselect_b32 s16, -1, 0
	s_cmp_eq_u32 s12, 0
	s_cselect_b32 s12, s16, -1
	s_cmp_lg_u32 s12, 0
	s_cselect_b32 s13, s13, s14
	s_cselect_b32 s12, s15, s9
	s_xor_b64 s[12:13], s[12:13], s[10:11]
	s_sub_u32 s10, s12, s10
	v_writelane_b32 v254, s10, 12
	v_writelane_b32 v254, s11, 13
	s_branch .LBB30_8
.LBB30_7:
	s_mov_b64 s[6:7], -1
                                        ; implicit-def: $sgpr10_sgpr11
                                        ; kill: killed $sgpr10_sgpr11
.LBB30_8:
	s_load_dwordx2 s[10:11], s[4:5], 0x5c
	s_andn2_b64 vcc, exec, s[6:7]
	s_waitcnt lgkmcnt(0)
	v_writelane_b32 v254, s10, 10
	v_writelane_b32 v254, s11, 11
	s_cbranch_vccnz .LBB30_10
; %bb.9:
	v_rcp_iflag_f32_e32 v0, v0
	s_sub_i32 s6, 0, s77
	v_mul_f32_e32 v0, 0x4f7ffffe, v0
	v_cvt_u32_f32_e32 v0, v0
	v_readfirstlane_b32 s7, v0
	s_mul_i32 s6, s6, s7
	s_mul_hi_u32 s6, s7, s6
	s_add_i32 s7, s7, s6
	s_mul_hi_u32 s6, s8, s7
	s_mul_i32 s9, s6, s77
	s_sub_i32 s8, s8, s9
	s_add_i32 s7, s6, 1
	s_sub_i32 s9, s8, s77
	s_cmp_ge_u32 s8, s77
	s_cselect_b32 s6, s7, s6
	s_cselect_b32 s8, s9, s8
	s_add_i32 s7, s6, 1
	s_cmp_ge_u32 s8, s77
	s_cselect_b32 s6, s7, s6
	v_writelane_b32 v254, s6, 12
	v_writelane_b32 v254, s7, 13
.LBB30_10:
	s_load_dwordx16 s[60:75], s[4:5], 0x0
	s_load_dwordx4 s[40:43], s[4:5], 0x40
	s_load_dwordx2 s[96:97], s[4:5], 0x50
	s_load_dwordx2 s[6:7], s[4:5], 0x8c
	s_load_dwordx4 s[8:11], s[4:5], 0x98
	s_load_dwordx2 s[12:13], s[4:5], 0xa8
	s_load_dwordx2 s[44:45], s[4:5], 0xb8
	s_nop 0
	s_load_dwordx2 s[4:5], s[4:5], 0xc8
	v_bfe_u32 v241, v245, 10, 10
	s_waitcnt lgkmcnt(0)
	s_ashr_i32 s38, s6, 2
	s_ashr_i32 s86, s10, 2
	v_writelane_b32 v254, s12, 14
	v_writelane_b32 v254, s13, 15
	;; [unrolled: 1-line block ×4, first 2 shown]
	v_readlane_b32 s12, v254, 1
	s_abs_i32 s33, s12
	v_cvt_f32_u32_e32 v0, s33
	s_ashr_i32 s4, s87, 3
	v_writelane_b32 v254, s4, 18
	s_mov_b32 s5, s7
	v_rcp_iflag_f32_e32 v0, v0
	v_writelane_b32 v254, s4, 19
	v_writelane_b32 v254, s5, 20
	s_mov_b64 s[4:5], s[8:9]
	v_mul_f32_e32 v0, 0x4f7ffffe, v0
	s_mov_b32 s7, s11
	v_cvt_u32_f32_e32 v0, v0
	v_writelane_b32 v254, s4, 21
	v_writelane_b32 v254, s5, 22
	;; [unrolled: 1-line block ×4, first 2 shown]
	s_sub_i32 s6, 0, s33
	v_readfirstlane_b32 s7, v0
	s_mul_i32 s6, s6, s7
	s_ashr_i32 s5, s12, 31
	s_mul_hi_u32 s6, s7, s6
	v_writelane_b32 v254, s5, 25
	s_abs_i32 s5, s98
	s_add_i32 s51, s7, s6
	s_mul_hi_u32 s6, s5, s51
	s_mul_i32 s6, s6, s33
	s_sub_i32 s5, s5, s6
	s_ashr_i32 s82, s45, 1
	s_ashr_i32 s4, s98, 31
	s_sub_i32 s6, s5, s33
	s_cmp_ge_u32 s5, s33
	s_cselect_b32 s5, s6, s5
	s_sub_i32 s6, s5, s33
	s_cmp_ge_u32 s5, s33
	s_cselect_b32 s5, s6, s5
	s_xor_b32 s5, s5, s4
	s_sub_i32 s46, s5, s4
	v_readlane_b32 s4, v254, 12
	v_readlane_b32 s5, v254, 13
	v_writelane_b32 v254, s60, 26
	v_writelane_b32 v254, s61, 27
	;; [unrolled: 1-line block ×7, first 2 shown]
	s_mov_b32 s8, s4
	s_sub_i32 s4, s4, s98
	v_writelane_b32 v254, s67, 33
	s_add_i32 s6, s4, s46
	v_writelane_b32 v254, s68, 34
	s_min_i32 s79, s12, s6
	v_writelane_b32 v254, s69, 35
	s_cmp_gt_i32 s8, s98
	v_writelane_b32 v254, s70, 36
	s_cselect_b64 s[30:31], -1, 0
	s_cmp_le_i32 s8, s98
	v_cvt_f16_f32_e32 v0, s40
	v_writelane_b32 v254, s71, 37
	s_cselect_b64 s[4:5], -1, 0
	s_cmp_gt_i32 s12, s6
	v_writelane_b32 v254, s72, 38
	s_cselect_b64 s[6:7], -1, 0
	v_writelane_b32 v254, s73, 39
	s_or_b64 s[4:5], s[6:7], s[4:5]
	v_writelane_b32 v254, s74, 40
	s_mov_b32 s95, 0
	s_and_b64 vcc, exec, s[4:5]
	v_pack_b32_f16 v119, v0, v0
	v_lshlrev_b32_e32 v251, 3, v241
	v_add_u32_e32 v246, 8, v241
	v_add_u32_e32 v244, 16, v241
	;; [unrolled: 1-line block ×7, first 2 shown]
	v_lshlrev_b32_e32 v250, 4, v241
	v_and_b32_e32 v252, 1, v241
	v_lshrrev_b32_e32 v249, 1, v241
	v_writelane_b32 v254, s75, 41
	buffer_store_dword v241, off, s[0:3], 0 offset:256 ; 4-byte Folded Spill
	s_cbranch_vccz .LBB30_13
; %bb.11:
	s_andn2_b64 vcc, exec, s[30:31]
	s_cbranch_vccz .LBB30_611
.LBB30_12:
	s_endpgm
.LBB30_13:
	v_writelane_b32 v254, s80, 42
	v_writelane_b32 v254, s81, 43
	s_cmp_lg_u64 s[66:67], 0
	v_writelane_b32 v254, s77, 44
	s_cselect_b64 s[4:5], -1, 0
	v_writelane_b32 v254, s4, 45
	v_writelane_b32 v254, s5, 46
	s_mul_i32 s4, s84, s85
	s_cmp_eq_u64 s[68:69], 0
	v_writelane_b32 v254, s4, 47
	s_cselect_b64 s[4:5], -1, 0
	v_writelane_b32 v254, s4, 48
	v_and_b32_e32 v80, 0x3ff, v245
	v_writelane_b32 v254, s5, 49
	s_mov_b64 s[6:7], s[42:43]
	s_mov_b32 s5, s41
	v_add_u32_e32 v0, 64, v80
	v_writelane_b32 v254, s4, 50
	buffer_store_dword v0, off, s[0:3], 0 offset:104 ; 4-byte Folded Spill
	s_nop 0
	buffer_store_dword v1, off, s[0:3], 0 offset:108 ; 4-byte Folded Spill
	v_lshrrev_b32_e32 v3, 3, v80
	v_writelane_b32 v254, s5, 51
	v_and_b32_e32 v1, 15, v80
	v_and_b32_e32 v18, 62, v3
	v_writelane_b32 v254, s6, 52
	v_mul_u32_u24_e32 v2, 0x210, v1
	v_lshlrev_b32_e32 v3, 2, v18
	v_writelane_b32 v254, s7, 53
	v_cmp_nle_f32_e64 s[4:5], s41, 0
	v_and_b32_e32 v0, 0xff0, v251
	s_movk_i32 s8, 0x210
	v_add3_u32 v10, 0, v2, v3
	v_writelane_b32 v254, s4, 54
	s_cmp_lg_u64 s[70:71], 0
	v_mad_u32_u24 v247, v0, s8, v10
	s_movk_i32 s9, 0x90
	v_or_b32_e32 v0, v0, v1
	v_writelane_b32 v254, s5, 55
	s_cselect_b64 s[4:5], -1, 0
	v_mad_u32_u24 v0, v0, s9, 0
	s_add_i32 s9, 0, 0x60
	v_mov_b32_e32 v27, s9
	s_add_i32 s9, 0, 0x80
	v_mov_b32_e32 v29, s9
	;; [unrolled: 2-line block ×7, first 2 shown]
	s_add_i32 s9, 0, 0x140
	v_lshrrev_b32_e32 v2, 5, v80
	v_lshrrev_b32_e32 v19, 2, v80
	v_mov_b32_e32 v41, s9
	s_add_i32 s9, 0, 0x160
	v_lshl_add_u32 v79, v241, 1, v2
	v_and_b32_e32 v11, 16, v250
	v_and_b32_e32 v20, 0x7c, v19
	v_mov_b32_e32 v43, s9
	s_add_i32 s9, 0, 0x180
	v_mad_u32_u24 v139, v11, s8, v10
	v_add_u32_e32 v84, v11, v20
	v_add_u16_e32 v10, v11, v20
	v_mul_lo_u32 v16, s86, v79
	s_lshl_b32 s8, s86, 4
	v_mov_b32_e32 v45, s9
	s_add_i32 s9, 0, 0x1a0
	v_lshrrev_b16_e32 v10, 1, v10
	v_add_u32_e32 v85, 32, v84
	v_add_u32_e32 v86, 34, v84
	;; [unrolled: 1-line block ×3, first 2 shown]
	v_mov_b32_e32 v47, s9
	s_add_i32 s9, 0, 0x1c0
	v_lshl_add_u32 v50, v10, 2, v0
	v_lshl_add_u32 v126, v85, 1, v0
	;; [unrolled: 1-line block ×3, first 2 shown]
	v_add_u32_e32 v12, s8, v14
	v_and_b32_e32 v0, 8, v251
	v_mov_b32_e32 v49, s9
	s_add_i32 s9, 0, 0x1e0
	v_add_u32_e32 v10, s8, v12
	s_movk_i32 s8, 0x420
	v_mul_u32_u24_e32 v21, 0x420, v0
	v_mov_b32_e32 v52, s9
	v_writelane_b32 v254, s4, 56
	v_mad_u32_u24 v22, v0, s8, 0
	v_add3_u32 v24, 0, 32, v21
	v_add3_u32 v21, 0, 64, v21
	v_mad_u32_u24 v27, v0, s8, v27
	v_mad_u32_u24 v29, v0, s8, v29
	v_mad_u32_u24 v31, v0, s8, v31
	v_mad_u32_u24 v33, v0, s8, v33
	v_mad_u32_u24 v35, v0, s8, v35
	v_mad_u32_u24 v37, v0, s8, v37
	v_mad_u32_u24 v39, v0, s8, v39
	v_mad_u32_u24 v41, v0, s8, v41
	v_mad_u32_u24 v43, v0, s8, v43
	v_mad_u32_u24 v45, v0, s8, v45
	v_mad_u32_u24 v47, v0, s8, v47
	v_mad_u32_u24 v49, v0, s8, v49
	v_mad_u32_u24 v0, v0, s8, v52
	v_writelane_b32 v254, s5, 57
	v_lshlrev_b32_e32 v23, 1, v1
	v_add_u32_e32 v25, 0x4200, v24
	v_add_u32_e32 v26, 0x4200, v21
	;; [unrolled: 1-line block ×15, first 2 shown]
	v_cmp_eq_u32_e64 s[8:9], 0, v252
	v_add_u32_e32 v146, v22, v23
	v_add_u32_e32 v149, v25, v23
	;; [unrolled: 1-line block ×16, first 2 shown]
	v_mul_u32_u24_e32 v23, 0x108, v20
	v_writelane_b32 v254, s8, 58
	v_or_b32_e32 v53, v23, v1
	v_or_b32_e32 v19, 3, v19
	v_writelane_b32 v254, s9, 59
	v_cmp_eq_u32_e64 s[8:9], 1, v252
	v_mul_u32_u24_e32 v179, 0x210, v19
	v_lshlrev_b32_e32 v19, 1, v53
	v_writelane_b32 v254, s8, 60
	v_add_u32_e32 v226, v0, v19
	v_writelane_b32 v254, s9, 61
	v_cmp_gt_u32_e64 s[8:9], 16, v80
	v_add_u32_e32 v0, v250, v80
	v_writelane_b32 v254, s8, 62
	v_mul_u32_u24_e32 v0, 0x110, v0
	v_writelane_b32 v254, s9, 63
	buffer_store_dword v0, off, s[0:3], 0 offset:52 ; 4-byte Folded Spill
	v_and_b32_e32 v0, 31, v80
	v_cmp_gt_u32_e64 s[8:9], 32, v80
                                        ; implicit-def: $vgpr255 : SGPR spill to VGPR lane
	v_add_u32_e32 v180, v22, v19
	v_add_u32_e32 v184, v24, v19
	;; [unrolled: 1-line block ×31, first 2 shown]
	v_writelane_b32 v255, s8, 0
	s_lshl_b32 s94, s76, 6
	s_ashr_i32 s83, s82, 31
	s_ashr_i32 s39, s38, 31
	;; [unrolled: 1-line block ×3, first 2 shown]
	s_lshl_b32 s14, s38, 4
	v_mul_u32_u24_e32 v19, 0x110, v19
	v_writelane_b32 v255, s9, 1
	s_lshl_b64 s[8:9], s[94:95], 3
	buffer_store_dword v19, off, s[0:3], 0 offset:56 ; 4-byte Folded Spill
	s_add_u32 s8, s74, s8
	v_or_b32_e32 v19, v251, v80
	v_add_u32_e32 v147, 0x4200, v146
	v_add_u32_e32 v148, 32, v146
	v_add_u32_e32 v150, 64, v146
	v_add_u32_e32 v152, 0x60, v146
	v_add_u32_e32 v154, 0x80, v146
	v_add_u32_e32 v156, 0xa0, v146
	v_add_u32_e32 v158, 0xc0, v146
	v_add_u32_e32 v160, 0xe0, v146
	v_add_u32_e32 v162, 0x100, v146
	v_add_u32_e32 v164, 0x120, v146
	v_add_u32_e32 v166, 0x140, v146
	v_add_u32_e32 v168, 0x160, v146
	v_add_u32_e32 v170, 0x180, v146
	v_add_u32_e32 v172, 0x1a0, v146
	v_add_u32_e32 v174, 0x1c0, v146
	v_add_u32_e32 v176, 0x1e0, v146
	v_mul_u32_u24_e32 v178, 0x210, v20
	v_lshlrev_b32_e32 v20, 1, v23
	s_addc_u32 s9, s75, s9
	v_lshlrev_b32_e32 v19, 3, v19
	v_add_u32_e32 v181, v146, v20
	v_add_u32_e32 v232, v147, v20
	;; [unrolled: 1-line block ×17, first 2 shown]
	v_writelane_b32 v255, s76, 2
	v_add_co_u32_e32 v20, vcc, s8, v19
	v_mov_b32_e32 v19, s9
	v_or_b32_e32 v1, v250, v1
	s_movk_i32 s8, 0x44
	s_lshl_b32 s9, s85, 7
	v_mad_u32_u24 v1, v1, s8, v18
	v_writelane_b32 v255, s9, 3
	s_movk_i32 s9, 0x84
	v_lshl_add_u32 v230, v1, 2, 0
	v_mad_u32_u24 v1, v241, s9, v80
	s_movk_i32 s30, 0x1e0
	v_lshl_add_u32 v88, v1, 2, 0
	v_bfe_u32 v1, v241, 1, 4
	v_and_or_b32 v18, v241, s30, v1
	v_addc_co_u32_e32 v21, vcc, 0, v19, vcc
	v_mul_u32_u24_e32 v19, 0x110, v18
	v_mad_u32_u24 v18, v18, s8, v80
	buffer_store_dword v252, off, s[0:3], 0 offset:280 ; 4-byte Folded Spill
	buffer_store_dword v251, off, s[0:3], 0 offset:276 ; 4-byte Folded Spill
	;; [unrolled: 1-line block ×3, first 2 shown]
	s_nop 0
	buffer_store_dword v21, off, s[0:3], 0 offset:228 ; 4-byte Folded Spill
	buffer_store_dword v250, off, s[0:3], 0 offset:272 ; 4-byte Folded Spill
	;; [unrolled: 1-line block ×3, first 2 shown]
	v_lshl_add_u32 v18, v18, 2, 0
	v_add_u32_e32 v19, 4, v249
	buffer_store_dword v18, off, s[0:3], 0 offset:92 ; 4-byte Folded Spill
	v_lshlrev_b32_e32 v18, 1, v19
	buffer_store_dword v19, off, s[0:3], 0 offset:96 ; 4-byte Folded Spill
	v_and_b32_e32 v19, 15, v19
	s_movk_i32 s9, 0x3e0
	v_and_or_b32 v18, v18, s9, v19
	v_mul_u32_u24_e32 v19, 0x110, v18
	v_mad_u32_u24 v18, v18, s8, v80
	buffer_store_dword v19, off, s[0:3], 0 offset:144 ; 4-byte Folded Spill
	v_lshl_add_u32 v18, v18, 2, 0
	v_add_u32_e32 v19, 8, v249
	buffer_store_dword v18, off, s[0:3], 0 offset:148 ; 4-byte Folded Spill
	v_lshlrev_b32_e32 v18, 1, v19
	buffer_store_dword v19, off, s[0:3], 0 offset:152 ; 4-byte Folded Spill
	v_and_b32_e32 v19, 15, v19
	v_and_or_b32 v18, v18, s9, v19
	v_mul_u32_u24_e32 v19, 0x110, v18
	v_mad_u32_u24 v18, v18, s8, v80
	buffer_store_dword v19, off, s[0:3], 0 offset:232 ; 4-byte Folded Spill
	v_lshl_add_u32 v18, v18, 2, 0
	v_add_u32_e32 v19, 12, v249
	buffer_store_dword v18, off, s[0:3], 0 offset:236 ; 4-byte Folded Spill
	v_lshlrev_b32_e32 v18, 1, v19
	buffer_store_dword v19, off, s[0:3], 0 offset:240 ; 4-byte Folded Spill
	v_and_b32_e32 v19, 15, v19
	v_and_or_b32 v18, v18, s9, v19
	v_mul_u32_u24_e32 v19, 0x110, v18
	v_mad_u32_u24 v18, v18, s8, v80
	v_lshl_add_u32 v18, v18, 2, 0
	buffer_store_dword v18, off, s[0:3], 0 offset:248 ; 4-byte Folded Spill
	v_add_u32_e32 v18, 16, v249
	buffer_store_dword v18, off, s[0:3], 0 offset:252 ; 4-byte Folded Spill
	v_lshlrev_b32_e32 v18, 1, v18
	v_and_or_b32 v18, v18, s9, v1
	buffer_store_dword v19, off, s[0:3], 0 offset:244 ; 4-byte Folded Spill
	v_mul_u32_u24_e32 v19, 0x110, v18
	v_mad_u32_u24 v18, v18, s8, v80
	buffer_store_dword v19, off, s[0:3], 0 offset:260 ; 4-byte Folded Spill
	v_lshl_add_u32 v18, v18, 2, 0
	v_add_u32_e32 v19, 20, v249
	buffer_store_dword v18, off, s[0:3], 0 offset:264 ; 4-byte Folded Spill
	v_lshlrev_b32_e32 v18, 1, v19
	buffer_store_dword v19, off, s[0:3], 0 offset:268 ; 4-byte Folded Spill
	v_and_b32_e32 v19, 15, v19
	v_and_or_b32 v18, v18, s9, v19
	v_mul_u32_u24_e32 v19, 0x110, v18
	v_mad_u32_u24 v18, v18, s8, v80
	buffer_store_dword v19, off, s[0:3], 0 offset:284 ; 4-byte Folded Spill
	v_lshl_add_u32 v18, v18, 2, 0
	v_add_u32_e32 v19, 24, v249
	buffer_store_dword v18, off, s[0:3], 0 offset:288 ; 4-byte Folded Spill
	v_lshlrev_b32_e32 v18, 1, v19
	buffer_store_dword v19, off, s[0:3], 0 offset:292 ; 4-byte Folded Spill
	v_and_b32_e32 v19, 15, v19
	v_and_or_b32 v18, v18, s9, v19
	;; [unrolled: 10-line block ×3, first 2 shown]
	v_mul_u32_u24_e32 v19, 0x110, v18
	v_mad_u32_u24 v18, v18, s8, v80
	v_lshl_add_u32 v18, v18, 2, 0
	buffer_store_dword v18, off, s[0:3], 0 offset:312 ; 4-byte Folded Spill
	v_add_u32_e32 v18, 32, v249
	buffer_store_dword v18, off, s[0:3], 0 offset:316 ; 4-byte Folded Spill
	v_lshlrev_b32_e32 v18, 1, v18
	v_and_or_b32 v18, v18, s9, v1
	buffer_store_dword v19, off, s[0:3], 0 offset:308 ; 4-byte Folded Spill
	v_mul_u32_u24_e32 v19, 0x110, v18
	v_mad_u32_u24 v18, v18, s8, v80
	buffer_store_dword v19, off, s[0:3], 0 offset:320 ; 4-byte Folded Spill
	v_lshl_add_u32 v18, v18, 2, 0
	v_add_u32_e32 v19, 36, v249
	buffer_store_dword v18, off, s[0:3], 0 offset:324 ; 4-byte Folded Spill
	v_lshlrev_b32_e32 v18, 1, v19
	buffer_store_dword v19, off, s[0:3], 0 offset:328 ; 4-byte Folded Spill
	v_and_b32_e32 v19, 15, v19
	v_and_or_b32 v18, v18, s9, v19
	v_mul_u32_u24_e32 v19, 0x110, v18
	v_mad_u32_u24 v18, v18, s8, v80
	buffer_store_dword v19, off, s[0:3], 0 offset:332 ; 4-byte Folded Spill
	v_lshl_add_u32 v18, v18, 2, 0
	v_add_u32_e32 v19, 40, v249
	buffer_store_dword v18, off, s[0:3], 0 offset:336 ; 4-byte Folded Spill
	v_lshlrev_b32_e32 v18, 1, v19
	buffer_store_dword v19, off, s[0:3], 0 offset:340 ; 4-byte Folded Spill
	v_and_b32_e32 v19, 15, v19
	v_and_or_b32 v18, v18, s9, v19
	;; [unrolled: 10-line block ×3, first 2 shown]
	v_mul_u32_u24_e32 v19, 0x110, v18
	v_mad_u32_u24 v18, v18, s8, v80
	v_lshl_add_u32 v18, v18, 2, 0
	buffer_store_dword v18, off, s[0:3], 0 offset:360 ; 4-byte Folded Spill
	v_add_u32_e32 v18, 48, v249
	buffer_store_dword v18, off, s[0:3], 0 offset:364 ; 4-byte Folded Spill
	v_lshlrev_b32_e32 v18, 1, v18
	v_and_or_b32 v1, v18, s9, v1
	v_mul_u32_u24_e32 v18, 0x110, v1
	v_mad_u32_u24 v1, v1, s8, v80
	buffer_store_dword v18, off, s[0:3], 0 offset:368 ; 4-byte Folded Spill
	v_lshl_add_u32 v1, v1, 2, 0
	v_add_u32_e32 v18, 52, v249
	buffer_store_dword v1, off, s[0:3], 0 offset:372 ; 4-byte Folded Spill
	v_lshlrev_b32_e32 v1, 1, v18
	buffer_store_dword v18, off, s[0:3], 0 offset:376 ; 4-byte Folded Spill
	v_and_b32_e32 v18, 15, v18
	v_and_or_b32 v1, v1, s9, v18
	v_mul_u32_u24_e32 v18, 0x110, v1
	v_mad_u32_u24 v1, v1, s8, v80
	buffer_store_dword v18, off, s[0:3], 0 offset:380 ; 4-byte Folded Spill
	v_lshl_add_u32 v1, v1, 2, 0
	v_add_u32_e32 v18, 56, v249
	buffer_store_dword v1, off, s[0:3], 0 offset:384 ; 4-byte Folded Spill
	v_lshlrev_b32_e32 v1, 1, v18
	buffer_store_dword v18, off, s[0:3], 0 offset:388 ; 4-byte Folded Spill
	v_and_b32_e32 v18, 15, v18
	;; [unrolled: 10-line block ×3, first 2 shown]
	v_and_or_b32 v1, v1, s9, v18
	v_mul_u32_u24_e32 v18, 0x110, v1
	v_mad_u32_u24 v1, v1, s8, v80
	v_readlane_b32 s8, v254, 7
	v_lshl_add_u32 v1, v1, 2, 0
	s_ashr_i32 s9, s8, 31
	s_abs_i32 s8, s8
	buffer_store_dword v1, off, s[0:3], 0 offset:408 ; 4-byte Folded Spill
	v_cvt_f32_u32_e32 v1, s8
	v_writelane_b32 v255, s9, 4
	v_writelane_b32 v255, s8, 5
	s_sub_i32 s8, 0, s8
	v_rcp_iflag_f32_e32 v1, v1
	v_ashrrev_i32_e32 v17, 31, v16
	v_lshlrev_b64 v[62:63], 2, v[16:17]
	v_lshlrev_b32_e32 v60, 4, v0
	v_mul_f32_e32 v1, 0x4f7ffffe, v1
	v_cvt_u32_f32_e32 v1, v1
	v_add_co_u32_e32 v0, vcc, s64, v62
	v_ashrrev_i32_e32 v15, 31, v14
	v_readfirstlane_b32 s9, v1
	s_mul_i32 s8, s8, s9
	s_mul_hi_u32 s8, s9, s8
	s_add_i32 s8, s9, s8
	v_writelane_b32 v255, s8, 6
	v_readlane_b32 s8, v254, 6
	s_ashr_i32 s9, s8, 31
	s_abs_i32 s8, s8
	v_cvt_f32_u32_e32 v1, s8
	v_writelane_b32 v255, s9, 7
	v_writelane_b32 v255, s8, 8
	s_sub_i32 s8, 0, s8
	v_rcp_iflag_f32_e32 v1, v1
	buffer_store_dword v0, off, s[0:3], 0 offset:160 ; 4-byte Folded Spill
	v_mov_b32_e32 v0, s65
	v_addc_co_u32_e32 v0, vcc, v0, v63, vcc
	v_mul_f32_e32 v1, 0x4f7ffffe, v1
	v_cvt_u32_f32_e32 v1, v1
	v_lshlrev_b64 v[64:65], 2, v[14:15]
	buffer_store_dword v0, off, s[0:3], 0 offset:164 ; 4-byte Folded Spill
	v_add_co_u32_e32 v0, vcc, s64, v64
	v_readfirstlane_b32 s9, v1
	s_mul_i32 s8, s8, s9
	s_mul_hi_u32 s8, s9, s8
	s_add_i32 s8, s9, s8
	v_writelane_b32 v255, s8, 9
	v_readlane_b32 s8, v254, 3
	s_ashr_i32 s9, s8, 31
	s_abs_i32 s8, s8
	v_cvt_f32_u32_e32 v1, s8
	v_writelane_b32 v255, s9, 10
	v_writelane_b32 v255, s8, 11
	s_sub_i32 s8, 0, s8
	v_rcp_iflag_f32_e32 v1, v1
	v_ashrrev_i32_e32 v13, 31, v12
	buffer_store_dword v0, off, s[0:3], 0 offset:168 ; 4-byte Folded Spill
	v_mov_b32_e32 v0, s65
	v_mul_f32_e32 v1, 0x4f7ffffe, v1
	v_cvt_u32_f32_e32 v1, v1
	v_addc_co_u32_e32 v0, vcc, v0, v65, vcc
	v_lshlrev_b64 v[66:67], 2, v[12:13]
	v_readfirstlane_b32 s9, v1
	s_mul_i32 s8, s8, s9
	s_mul_hi_u32 s8, s9, s8
	s_add_i32 s8, s9, s8
	v_writelane_b32 v255, s8, 12
	s_mov_b32 s8, s44
	v_writelane_b32 v255, s8, 13
	v_writelane_b32 v255, s9, 14
	s_abs_i32 s8, s44
	v_cvt_f32_u32_e32 v1, s8
	buffer_store_dword v0, off, s[0:3], 0 offset:172 ; 4-byte Folded Spill
	v_add_co_u32_e32 v0, vcc, s64, v66
	v_rcp_iflag_f32_e32 v1, v1
	v_ashrrev_i32_e32 v11, 31, v10
	buffer_store_dword v0, off, s[0:3], 0 offset:176 ; 4-byte Folded Spill
	v_mov_b32_e32 v0, s65
	v_addc_co_u32_e32 v0, vcc, v0, v67, vcc
	v_lshlrev_b64 v[68:69], 2, v[10:11]
	v_mul_lo_u32 v8, s38, v79
	buffer_store_dword v0, off, s[0:3], 0 offset:180 ; 4-byte Folded Spill
	v_add_co_u32_e32 v0, vcc, s64, v68
	v_ashrrev_i32_e32 v9, 31, v8
	v_mul_f32_e32 v1, 0x4f7ffffe, v1
	buffer_store_dword v0, off, s[0:3], 0 offset:184 ; 4-byte Folded Spill
	v_mov_b32_e32 v0, s65
	v_cvt_u32_f32_e32 v1, v1
	v_addc_co_u32_e32 v0, vcc, v0, v69, vcc
	v_lshlrev_b64 v[70:71], 2, v[8:9]
	v_add_u32_e32 v6, s14, v8
	buffer_store_dword v0, off, s[0:3], 0 offset:188 ; 4-byte Folded Spill
	v_add_co_u32_e32 v0, vcc, s62, v70
	v_ashrrev_i32_e32 v7, 31, v6
	buffer_store_dword v0, off, s[0:3], 0 offset:192 ; 4-byte Folded Spill
	v_mov_b32_e32 v0, s63
	v_addc_co_u32_e32 v0, vcc, v0, v71, vcc
	v_lshlrev_b64 v[72:73], 2, v[6:7]
	v_lshlrev_b32_e32 v3, 2, v80
	v_add_u32_e32 v4, s14, v6
	v_writelane_b32 v255, s8, 15
	s_sub_i32 s8, 0, s8
	v_readfirstlane_b32 s9, v1
	buffer_store_dword v0, off, s[0:3], 0 offset:196 ; 4-byte Folded Spill
	v_add_co_u32_e32 v0, vcc, s62, v72
	v_and_b32_e32 v56, 0x7c, v3
	v_ashrrev_i32_e32 v5, 31, v4
	s_mul_i32 s8, s8, s9
	buffer_store_dword v0, off, s[0:3], 0 offset:200 ; 4-byte Folded Spill
	v_mov_b32_e32 v0, s63
	v_mul_u32_u24_e32 v2, 0x210, v79
	v_lshlrev_b32_e32 v3, 2, v56
	s_mul_hi_u32 s8, s9, s8
	v_addc_co_u32_e32 v0, vcc, v0, v73, vcc
	v_lshlrev_b64 v[74:75], 2, v[4:5]
	v_add3_u32 v132, 0, v2, v3
	v_add_u32_e32 v2, s14, v4
	s_add_i32 s8, s9, s8
	buffer_store_dword v0, off, s[0:3], 0 offset:204 ; 4-byte Folded Spill
	v_add_co_u32_e32 v0, vcc, s62, v74
	v_ashrrev_i32_e32 v3, 31, v2
	v_writelane_b32 v255, s8, 16
	buffer_store_dword v0, off, s[0:3], 0 offset:208 ; 4-byte Folded Spill
	v_mov_b32_e32 v0, s63
	s_mov_b32 s8, s82
	v_addc_co_u32_e32 v0, vcc, v0, v75, vcc
	v_lshlrev_b64 v[76:77], 2, v[2:3]
	v_writelane_b32 v255, s8, 17
	buffer_store_dword v0, off, s[0:3], 0 offset:212 ; 4-byte Folded Spill
	v_add_co_u32_e32 v0, vcc, s62, v76
	v_writelane_b32 v255, s9, 18
	s_lshl_b64 s[8:9], s[82:83], 1
	buffer_store_dword v0, off, s[0:3], 0 offset:216 ; 4-byte Folded Spill
	v_mov_b32_e32 v0, s63
	v_writelane_b32 v255, s8, 19
	v_lshlrev_b32_e32 v54, 1, v80
	s_mov_b64 s[36:37], src_private_base
	v_addc_co_u32_e32 v0, vcc, v0, v77, vcc
	v_writelane_b32 v255, s9, 20
	v_mbcnt_lo_u32_b32 v1, -1, 0
	v_mov_b32_e32 v127, 0
	v_cmp_lt_u32_e64 s[4:5], 63, v80
	v_add_u32_e32 v129, 0, v54
	v_mul_u32_u24_e32 v130, 0x90, v241
	s_mov_b32 s36, 0
	v_cmp_gt_u32_e64 s[6:7], 64, v79
	v_add_u32_e32 v81, 16, v79
	v_add_u32_e32 v134, 0x2100, v132
	v_cmp_gt_u32_e64 s[88:89], 48, v79
	v_add_u32_e32 v82, 32, v79
	v_add_u32_e32 v136, 0x4200, v132
	;; [unrolled: 3-line block ×3, first 2 shown]
	v_cmp_gt_u32_e64 s[12:13], 16, v79
	s_movk_i32 s99, 0x80
	v_cmp_gt_u32_e64 s[14:15], 64, v84
	v_cmp_gt_u32_e64 s[16:17], 63, v84
	;; [unrolled: 1-line block ×8, first 2 shown]
	v_add_u32_e32 v90, 0x1080, v88
	v_or_b32_e32 v92, 1, v84
	v_or_b32_e32 v94, 2, v84
	;; [unrolled: 1-line block ×3, first 2 shown]
	v_add_u32_e32 v100, 33, v84
	v_add_u32_e32 v101, 35, v84
	s_lshl_b64 s[92:93], s[86:87], 8
	s_lshl_b64 s[34:35], s[38:39], 8
	buffer_store_dword v0, off, s[0:3], 0 offset:220 ; 4-byte Folded Spill
	s_mov_b32 s9, 0x42b17218
	s_mov_b32 s85, 0x3fb8aa3b
	;; [unrolled: 1-line block ×3, first 2 shown]
	s_brev_b32 s68, -2
	s_mov_b32 s69, 0x3f200000
	v_mov_b32_e32 v58, 0xbd5c1c4e
	v_mov_b32_e32 v59, 0x3e088382
	;; [unrolled: 1-line block ×3, first 2 shown]
	s_mov_b32 s70, 0xc1a00000
	s_mov_b32 s71, 0x5040100
	v_mov_b32_e32 v251, 0x7f800000
	v_mbcnt_hi_u32_b32 v103, -1, v1
	v_writelane_b32 v255, s51, 21
	v_mov_b32_e32 v2, v80
	buffer_store_dword v19, off, s[0:3], 0 offset:356 ; 4-byte Folded Spill
	buffer_store_dword v18, off, s[0:3], 0 offset:404 ; 4-byte Folded Spill
	;; [unrolled: 1-line block ×3, first 2 shown]
	s_nop 0
	buffer_store_dword v3, off, s[0:3], 0 offset:20 ; 4-byte Folded Spill
	buffer_store_dword v79, off, s[0:3], 0 offset:24 ; 4-byte Folded Spill
	;; [unrolled: 1-line block ×25, first 2 shown]
	s_branch .LBB30_16
.LBB30_14:                              ;   in Loop: Header=BB30_16 Depth=1
	s_or_b64 exec, exec, s[40:41]
	s_barrier
.LBB30_15:                              ;   in Loop: Header=BB30_16 Depth=1
	v_readlane_b32 s42, v254, 1
	s_add_i32 s30, s98, s42
	s_abs_i32 s40, s30
	v_readlane_b32 s51, v255, 21
	s_mul_hi_u32 s41, s40, s51
	s_mul_i32 s41, s41, s33
	s_sub_i32 s40, s40, s41
	s_ashr_i32 s31, s30, 31
	s_sub_i32 s41, s40, s33
	s_cmp_ge_u32 s40, s33
	s_cselect_b32 s40, s41, s40
	s_sub_i32 s41, s40, s33
	s_cmp_ge_u32 s40, s33
	s_cselect_b32 s40, s41, s40
	s_xor_b32 s40, s40, s31
	s_sub_i32 s31, s31, s40
	s_add_i32 s98, s30, s31
	v_readlane_b32 s30, v254, 12
	s_sub_i32 s40, s30, s98
	s_min_i32 s79, s42, s40
	v_readlane_b32 s31, v254, 13
	s_cmp_gt_i32 s30, s98
	s_cselect_b64 s[30:31], -1, 0
	s_cmp_le_i32 s42, s40
	s_cselect_b64 s[40:41], -1, 0
	s_and_b64 s[40:41], s[40:41], s[30:31]
	s_mov_b32 s46, 0
	s_and_b64 vcc, exec, s[40:41]
	s_waitcnt vmcnt(63) expcnt(7) lgkmcnt(15)
	s_cbranch_vccz .LBB30_610
.LBB30_16:                              ; =>This Loop Header: Depth=1
                                        ;     Child Loop BB30_357 Depth 2
                                        ;     Child Loop BB30_63 Depth 2
	s_ashr_i32 s30, s98, 31
	v_readlane_b32 s31, v255, 4
	s_xor_b32 s30, s30, s31
	s_abs_i32 s31, s98
	v_readlane_b32 s40, v255, 6
	s_mul_hi_u32 s40, s31, s40
	v_readlane_b32 s43, v255, 5
	s_mul_i32 s41, s40, s43
	s_sub_i32 s31, s31, s41
	s_add_i32 s41, s40, 1
	s_sub_i32 s42, s31, s43
	s_cmp_ge_u32 s31, s43
	s_cselect_b32 s40, s41, s40
	s_cselect_b32 s31, s42, s31
	s_add_i32 s41, s40, 1
	s_cmp_ge_u32 s31, s43
	s_cselect_b32 s31, s41, s40
	s_xor_b32 s31, s31, s30
	s_sub_i32 s47, s31, s30
	v_readlane_b32 s30, v254, 45
	v_readlane_b32 s31, v254, 46
	s_ashr_i32 s48, s47, 31
	s_andn2_b64 vcc, exec, s[30:31]
	s_mov_b64 s[90:91], 0
	s_cbranch_vccnz .LBB30_18
; %bb.17:                               ;   in Loop: Header=BB30_16 Depth=1
	s_abs_i32 s30, s47
	v_readlane_b32 s31, v255, 16
	s_mul_hi_u32 s31, s30, s31
	v_readlane_b32 s40, v255, 15
	s_mul_i32 s31, s31, s40
	s_sub_i32 s30, s30, s31
	s_sub_i32 s31, s30, s40
	s_cmp_ge_u32 s30, s40
	s_cselect_b32 s30, s31, s30
	s_sub_i32 s31, s30, s40
	s_cmp_ge_u32 s30, s40
	s_cselect_b32 s30, s31, s30
	s_xor_b32 s30, s30, s48
	v_readlane_b32 s42, v254, 16
	s_sub_i32 s30, s30, s48
	v_readlane_b32 s43, v254, 17
	s_ashr_i32 s31, s30, 31
	s_mul_i32 s40, s30, s43
	s_mul_hi_u32 s41, s30, s42
	s_add_i32 s40, s41, s40
	s_mul_i32 s31, s31, s42
	v_readlane_b32 s52, v254, 26
	s_add_i32 s40, s40, s31
	s_mul_i32 s30, s30, s42
	v_readlane_b32 s58, v254, 32
	v_readlane_b32 s59, v254, 33
	s_add_u32 s90, s58, s30
	s_addc_u32 s91, s59, s40
	v_readlane_b32 s53, v254, 27
	v_readlane_b32 s54, v254, 28
	;; [unrolled: 1-line block ×13, first 2 shown]
.LBB30_18:                              ;   in Loop: Header=BB30_16 Depth=1
	v_readlane_b32 s30, v254, 7
	s_mul_i32 s30, s47, s30
	s_sub_i32 s30, s98, s30
	s_ashr_i32 s31, s30, 31
	v_readlane_b32 s40, v255, 7
	s_xor_b32 s31, s31, s40
	s_abs_i32 s40, s30
	v_readlane_b32 s41, v255, 9
	s_mul_hi_u32 s41, s40, s41
	v_readlane_b32 s44, v255, 8
	s_mul_i32 s42, s41, s44
	s_sub_i32 s40, s40, s42
	s_add_i32 s42, s41, 1
	s_sub_i32 s43, s40, s44
	s_cmp_ge_u32 s40, s44
	s_cselect_b32 s41, s42, s41
	s_cselect_b32 s40, s43, s40
	s_add_i32 s42, s41, 1
	s_cmp_ge_u32 s40, s44
	s_cselect_b32 s40, s42, s41
	s_xor_b32 s40, s40, s31
	s_sub_i32 s49, s40, s31
	v_readlane_b32 s31, v254, 6
	s_mul_i32 s31, s49, s31
	s_sub_i32 s31, s30, s31
	s_ashr_i32 s30, s31, 31
	v_readlane_b32 s40, v255, 10
	s_xor_b32 s30, s30, s40
	s_abs_i32 s40, s31
	v_readlane_b32 s41, v255, 12
	s_mul_hi_u32 s41, s40, s41
	v_readlane_b32 s44, v255, 11
	s_mul_i32 s42, s41, s44
	s_sub_i32 s40, s40, s42
	s_add_i32 s42, s41, 1
	s_sub_i32 s43, s40, s44
	s_cmp_ge_u32 s40, s44
	s_cselect_b32 s41, s42, s41
	s_cselect_b32 s40, s43, s40
	s_add_i32 s42, s41, 1
	s_cmp_ge_u32 s40, s44
	s_cselect_b32 s40, s42, s41
	s_xor_b32 s40, s40, s30
	s_sub_i32 s50, s40, s30
	v_readlane_b32 s30, v254, 2
	v_readlane_b32 s40, v254, 54
	s_mul_i32 s30, s49, s30
	v_readlane_b32 s41, v254, 55
	s_add_i32 s30, s30, s50
	s_andn2_b64 vcc, exec, s[40:41]
	v_mov_b32_e32 v78, 1.0
	s_cbranch_vccnz .LBB30_20
; %bb.19:                               ;   in Loop: Header=BB30_16 Depth=1
	s_sub_i32 s40, s30, s96
	s_lshl_b32 s40, s40, 1
	s_add_i32 s42, s30, 1
	s_or_b32 s43, s40, 1
	s_cmp_lt_u32 s30, s96
	v_readlane_b32 s52, v254, 50
	s_cselect_b64 vcc, -1, 0
	v_readlane_b32 s54, v254, 52
	v_readlane_b32 s55, v254, 53
	s_and_b64 s[40:41], vcc, exec
	v_mov_b32_e32 v1, s55
	v_mov_b32_e32 v2, s54
	s_cselect_b32 s40, s42, s43
	v_cndmask_b32_e32 v18, v1, v2, vcc
	v_cvt_f32_i32_e32 v1, s40
	v_cmp_neq_f32_e32 vcc, 1.0, v18
	s_mov_b32 s40, 0x3f2aaaab
	s_movk_i32 s42, 0x204
	v_cndmask_b32_e32 v19, 1.0, v1, vcc
	v_cmp_eq_f32_e32 vcc, 0, v19
	v_cndmask_b32_e64 v20, |v18|, 1.0, vcc
	v_frexp_mant_f32_e32 v1, v20
	v_cmp_gt_f32_e64 s[40:41], s40, v1
	v_cndmask_b32_e64 v2, 1.0, 2.0, s[40:41]
	v_mul_f32_e32 v1, v1, v2
	v_add_f32_e32 v2, 1.0, v1
	v_rcp_f32_e32 v10, v2
	v_add_f32_e32 v3, -1.0, v2
	v_sub_f32_e32 v5, v1, v3
	v_add_f32_e32 v3, -1.0, v1
	v_mul_f32_e32 v1, v3, v10
	v_mul_f32_e32 v4, v2, v1
	v_fma_f32 v6, v1, v2, -v4
	v_fmac_f32_e32 v6, v1, v5
	v_add_f32_e32 v2, v4, v6
	v_sub_f32_e32 v5, v3, v2
	v_pk_add_f32 v[8:9], v[2:3], v[4:5] neg_lo:[0,1] neg_hi:[0,1]
	v_mov_b32_e32 v7, v2
	v_pk_add_f32 v[2:3], v[8:9], v[6:7] neg_lo:[0,1] neg_hi:[0,1]
	v_add_f32_e32 v2, v2, v3
	v_add_f32_e32 v2, v5, v2
	v_mul_f32_e32 v3, v10, v2
	v_add_f32_e32 v2, v1, v3
	v_sub_f32_e32 v1, v2, v1
	v_sub_f32_e32 v1, v3, v1
	v_mul_f32_e32 v3, v2, v2
	v_fma_f32 v5, v2, v2, -v3
	v_add_f32_e32 v4, v1, v1
	v_fmac_f32_e32 v5, v2, v4
	v_add_f32_e32 v4, v3, v5
	v_mov_b32_e32 v6, 0x3e91f4c4
	v_fmac_f32_e32 v6, 0x3e76c4e1, v4
	v_mov_b32_e32 v7, 0x3ecccdef
	v_fma_f32 v6, v4, v6, v7
	v_sub_f32_e32 v3, v4, v3
	v_sub_f32_e32 v12, v5, v3
	v_mul_f32_e32 v3, v4, v6
	v_fma_f32 v5, v4, v6, -v3
	v_fmac_f32_e32 v5, v12, v6
	v_add_f32_e32 v6, v3, v5
	v_add_f32_e32 v7, 0x3f2aaaaa, v6
	v_sub_f32_e32 v3, v6, v3
	v_sub_f32_e32 v3, v5, v3
	v_add_f32_e32 v5, 0xbf2aaaaa, v7
	v_add_f32_e32 v3, 0x31739010, v3
	v_sub_f32_e32 v5, v6, v5
	v_pk_mul_f32 v[8:9], v[2:3], v[4:5]
	v_fma_f32 v6, v4, v2, -v8
	v_pk_add_f32 v[10:11], v[2:3], v[4:5]
	v_fmac_f32_e32 v6, v4, v1
	v_mov_b32_e32 v9, v11
	v_fmac_f32_e32 v6, v12, v2
	v_pk_add_f32 v[4:5], v[8:9], v[6:7]
	v_sub_f32_e32 v3, v4, v8
	v_sub_f32_e32 v3, v6, v3
	;; [unrolled: 1-line block ×3, first 2 shown]
	v_add_f32_e32 v10, v11, v6
	v_mov_b32_e32 v6, v5
	v_pk_mul_f32 v[6:7], v[4:5], v[6:7]
	v_cvt_f64_f32_e32 v[8:9], v20
	v_frexp_exp_i32_f64_e32 v7, v[8:9]
	v_subbrev_co_u32_e64 v7, s[40:41], 0, v7, s[40:41]
	v_cvt_f32_i32_e32 v7, v7
	v_fma_f32 v8, v4, v5, -v6
	v_fmac_f32_e32 v8, v4, v10
	s_mov_b32 s40, 0x3f317218
	v_mul_f32_e32 v4, 0x3f317218, v7
	v_fmac_f32_e32 v8, v3, v5
	v_fma_f32 v10, v7, s40, -v4
	v_fmac_f32_e32 v10, 0xb102e308, v7
	v_ldexp_f32 v11, v2, 1
	v_add_f32_e32 v5, v6, v8
	v_pk_add_f32 v[2:3], v[4:5], v[10:11]
	v_mov_b32_e32 v12, v5
	v_mov_b32_e32 v13, v3
	;; [unrolled: 1-line block ×3, first 2 shown]
	v_pk_add_f32 v[6:7], v[12:13], v[6:7] neg_lo:[0,1] neg_hi:[0,1]
	v_mov_b32_e32 v9, v5
	v_ldexp_f32 v1, v1, 1
	v_pk_add_f32 v[6:7], v[8:9], v[6:7] neg_lo:[0,1] neg_hi:[0,1]
	v_add_f32_e32 v1, v1, v6
	v_add_f32_e32 v5, v1, v7
	v_pk_add_f32 v[6:7], v[2:3], v[4:5] neg_lo:[0,1] neg_hi:[0,1]
	v_pk_add_f32 v[8:9], v[2:3], v[4:5]
	v_mov_b32_e32 v12, v6
	v_mov_b32_e32 v13, v9
	;; [unrolled: 1-line block ×3, first 2 shown]
	v_pk_add_f32 v[12:13], v[10:11], v[12:13]
	v_mov_b32_e32 v4, v13
	v_pk_add_f32 v[14:15], v[4:5], v[2:3] neg_lo:[0,1] neg_hi:[0,1]
	v_mov_b32_e32 v1, v14
	v_mov_b32_e32 v12, v9
	v_mov_b32_e32 v2, v3
	v_mov_b32_e32 v3, v14
	v_pk_add_f32 v[6:7], v[10:11], v[6:7] neg_lo:[0,1] neg_hi:[0,1]
	v_pk_add_f32 v[16:17], v[8:9], v[0:1] neg_lo:[0,1] neg_hi:[0,1]
	v_pk_add_f32 v[2:3], v[12:13], v[2:3] neg_lo:[0,1] neg_hi:[0,1]
	v_mov_b32_e32 v10, v5
	v_pk_add_f32 v[2:3], v[10:11], v[2:3] neg_lo:[0,1] neg_hi:[0,1]
	v_mov_b32_e32 v16, v6
	v_pk_add_f32 v[8:9], v[16:17], v[2:3]
	v_mov_b32_e32 v10, v9
	v_pk_add_f32 v[10:11], v[8:9], v[10:11]
	v_pk_add_f32 v[4:5], v[4:5], v[10:11]
	v_mov_b32_e32 v7, v13
	v_mov_b32_e32 v9, v4
	v_pk_add_f32 v[12:13], v[8:9], v[6:7] neg_lo:[0,1] neg_hi:[0,1]
	v_mov_b32_e32 v3, v10
	v_sub_f32_e32 v1, v8, v12
	v_pk_add_f32 v[2:3], v[2:3], v[12:13] neg_lo:[0,1] neg_hi:[0,1]
	v_sub_f32_e32 v1, v6, v1
	v_add_f32_e32 v1, v2, v1
	v_add_f32_e32 v1, v1, v3
	;; [unrolled: 1-line block ×3, first 2 shown]
	v_sub_f32_e32 v3, v2, v4
	v_sub_f32_e32 v1, v1, v3
	v_mul_f32_e32 v3, v19, v2
	v_fma_f32 v2, v19, v2, -v3
	v_fmac_f32_e32 v2, v19, v1
	v_add_f32_e32 v1, v3, v2
	v_cmp_class_f32_e64 s[40:41], v3, s42
	v_sub_f32_e32 v4, v1, v3
	v_cndmask_b32_e64 v1, v1, v3, s[40:41]
	v_cmp_eq_f32_e64 s[40:41], s9, v1
	v_mov_b32_e32 v3, 0x37000000
	v_cndmask_b32_e64 v3, 0, v3, s[40:41]
	v_sub_f32_e32 v2, v2, v4
	v_sub_f32_e32 v4, v1, v3
	v_mul_f32_e32 v5, 0x3fb8aa3b, v4
	v_fma_f32 v6, v4, s85, -v5
	v_rndne_f32_e32 v7, v5
	v_fmac_f32_e32 v6, 0x32a5705f, v4
	v_sub_f32_e32 v5, v5, v7
	v_add_f32_e32 v5, v5, v6
	v_exp_f32_e32 v5, v5
	v_cvt_i32_f32_e32 v6, v7
	s_mov_b32 s43, 0x7f800000
	v_cmp_neq_f32_e64 s[40:41], |v1|, s43
	v_cndmask_b32_e64 v1, 0, v2, s[40:41]
	v_ldexp_f32 v2, v5, v6
	v_cmp_ngt_f32_e64 s[40:41], s8, v4
	v_cndmask_b32_e64 v2, 0, v2, s[40:41]
	v_cmp_nlt_f32_e64 s[40:41], s9, v4
	v_add_f32_e32 v1, v3, v1
	v_cndmask_b32_e64 v2, v251, v2, s[40:41]
	v_fma_f32 v1, v2, v1, v2
	v_cmp_class_f32_e64 s[40:41], v2, s42
	v_trunc_f32_e32 v3, v19
	v_cndmask_b32_e64 v1, v1, v2, s[40:41]
	v_cndmask_b32_e64 v2, v18, 1.0, vcc
	v_cmp_eq_f32_e32 vcc, v3, v19
	v_mul_f32_e32 v3, 0.5, v19
	v_trunc_f32_e32 v4, v3
	v_cmp_neq_f32_e64 s[40:41], v4, v3
	s_and_b64 s[40:41], vcc, s[40:41]
	v_cndmask_b32_e64 v3, 1.0, v2, s[40:41]
	v_bfi_b32 v1, s68, v1, v3
	v_mov_b32_e32 v5, 0x7fc00000
	v_cndmask_b32_e32 v3, v5, v1, vcc
	v_cmp_gt_f32_e32 vcc, 0, v2
	v_cndmask_b32_e32 v1, v1, v3, vcc
	v_cmp_eq_f32_e32 vcc, s43, v20
	v_cmp_eq_f32_e64 s[42:43], 0, v2
	v_cmp_gt_f32_e64 s[44:45], 0, v19
	s_xor_b64 s[44:45], s[44:45], s[42:43]
	v_cndmask_b32_e64 v3, v251, 0, s[44:45]
	v_cndmask_b32_e64 v4, 0, v2, s[40:41]
	v_bfi_b32 v3, s68, v3, v4
	s_or_b64 vcc, vcc, s[42:43]
	v_cndmask_b32_e32 v1, v1, v3, vcc
	v_cmp_o_f32_e32 vcc, v2, v2
	v_cndmask_b32_e32 v78, v5, v1, vcc
	v_readlane_b32 s53, v254, 51
.LBB30_20:                              ;   in Loop: Header=BB30_16 Depth=1
	v_readlane_b32 s40, v254, 3
	s_mul_i32 s50, s50, s40
	s_sub_i32 s31, s31, s50
	s_ashr_i32 s40, s31, 31
	v_readlane_b32 s41, v254, 25
	s_abs_i32 s31, s31
	s_xor_b32 s40, s40, s41
	s_mul_hi_u32 s41, s31, s51
	s_mul_i32 s42, s41, s33
	s_sub_i32 s31, s31, s42
	s_add_i32 s42, s41, 1
	s_sub_i32 s43, s31, s33
	s_cmp_ge_u32 s31, s33
	s_cselect_b32 s41, s42, s41
	s_cselect_b32 s31, s43, s31
	s_add_i32 s42, s41, 1
	s_cmp_ge_u32 s31, s33
	s_cselect_b32 s31, s42, s41
	v_readlane_b32 s42, v254, 56
	s_xor_b32 s31, s31, s40
	v_readlane_b32 s43, v254, 57
	s_andn2_b64 vcc, exec, s[42:43]
	s_sub_i32 s80, s31, s40
	s_cbranch_vccnz .LBB30_22
; %bb.21:                               ;   in Loop: Header=BB30_16 Depth=1
	v_readlane_b32 s31, v254, 0
	s_mul_i32 s31, s47, s31
	s_add_i32 s40, s80, s31
	s_ashr_i32 s41, s40, 31
	v_readlane_b32 s52, v254, 26
	s_lshl_b64 s[40:41], s[40:41], 2
	v_readlane_b32 s62, v254, 36
	v_readlane_b32 s63, v254, 37
	s_add_u32 s40, s62, s40
	s_addc_u32 s41, s63, s41
	global_load_dword v1, v127, s[40:41]
	v_readlane_b32 s53, v254, 27
	v_readlane_b32 s54, v254, 28
	;; [unrolled: 1-line block ×13, first 2 shown]
	s_waitcnt vmcnt(0)
	v_readfirstlane_b32 s31, v1
	s_ashr_i32 s40, s31, 31
	s_lshr_b32 s40, s40, 26
	s_add_i32 s31, s31, s40
	s_ashr_i32 s31, s31, 6
	s_min_i32 s79, s79, s31
	s_branch .LBB30_23
.LBB30_22:                              ;   in Loop: Header=BB30_16 Depth=1
	v_readlane_b32 s52, v254, 26
	v_readlane_b32 s53, v254, 27
	;; [unrolled: 1-line block ×16, first 2 shown]
.LBB30_23:                              ;   in Loop: Header=BB30_16 Depth=1
	v_readlane_b32 s31, v254, 47
	s_mul_i32 s31, s31, s47
	s_add_i32 s31, s30, s31
	s_lshl_b32 s94, s31, 7
	v_readlane_b32 s42, v254, 14
	s_lshl_b64 s[40:41], s[94:95], 3
	v_readlane_b32 s43, v254, 15
	s_add_u32 s66, s64, s40
	s_mul_i32 s31, s47, s43
	s_mul_hi_u32 s40, s47, s42
	s_addc_u32 s67, s65, s41
	s_add_i32 s31, s40, s31
	s_mul_i32 s40, s48, s42
	s_add_i32 s81, s31, s40
	s_mul_i32 s31, s47, s42
	v_writelane_b32 v255, s31, 22
	s_add_u32 s31, s56, s31
	s_addc_u32 s40, s57, s81
	v_readlane_b32 s56, v254, 21
	v_readlane_b32 s59, v254, 24
	s_mul_i32 s41, s49, s59
	s_ashr_i32 s94, s41, 31
	s_add_u32 s75, s31, s41
	s_addc_u32 s76, s40, s94
	s_ashr_i32 s31, s30, 31
	v_writelane_b32 v255, s41, 23
	s_lshl_b64 s[40:41], s[30:31], 2
	s_add_u32 s31, s60, s40
	s_addc_u32 s42, s61, s41
	v_readlane_b32 s40, v254, 48
	v_readlane_b32 s41, v254, 49
	s_and_b64 s[40:41], s[40:41], exec
	s_cselect_b32 s59, 0, s42
	v_readlane_b32 s42, v254, 8
	v_readlane_b32 s58, v254, 23
	v_readlane_b32 s43, v254, 9
	s_cselect_b32 s58, 0, s31
	s_mul_i32 s31, s47, s43
	s_ashr_i32 s40, s31, 31
	s_add_u32 s31, s52, s31
	s_mul_i32 s30, s30, s42
	v_readlane_b32 s57, v254, 22
	s_addc_u32 s40, s53, s40
	s_ashr_i32 s41, s30, 31
	s_add_u32 s83, s31, s30
	s_mul_i32 s30, s47, s57
	s_mul_hi_u32 s31, s47, s56
	s_addc_u32 s73, s40, s41
	s_add_i32 s30, s31, s30
	s_mul_i32 s48, s48, s56
	v_readlane_b32 s40, v254, 19
	s_add_i32 s72, s30, s48
	s_mul_i32 s30, s47, s56
	v_readlane_b32 s41, v254, 20
	v_writelane_b32 v255, s30, 24
	s_add_u32 s30, s54, s30
	s_mul_i32 s40, s49, s41
	s_addc_u32 s31, s55, s72
	s_ashr_i32 s82, s40, 31
	s_add_u32 s77, s30, s40
	s_addc_u32 s78, s31, s82
	v_writelane_b32 v255, s40, 25
	s_cmp_lg_u32 s46, 0
	s_cbranch_scc0 .LBB30_101
; %bb.24:                               ;   in Loop: Header=BB30_16 Depth=1
	s_lshl_b32 s74, s80, 6
	v_add_u32_e32 v1, s74, v241
	v_cmp_le_i32_e32 vcc, s84, v1
	s_and_saveexec_b64 s[30:31], vcc
	s_xor_b64 s[30:31], exec, s[30:31]
	s_cbranch_execz .LBB30_26
; %bb.25:                               ;   in Loop: Header=BB30_16 Depth=1
	ds_write2st64_b32 v88, v127, v127 offset1:1
.LBB30_26:                              ;   in Loop: Header=BB30_16 Depth=1
	s_andn2_saveexec_b64 s[30:31], s[30:31]
	s_cbranch_execz .LBB30_28
; %bb.27:                               ;   in Loop: Header=BB30_16 Depth=1
	v_readlane_b32 s40, v254, 18
	v_mad_u64_u32 v[2:3], s[40:41], v1, s40, v[80:81]
	v_ashrrev_i32_e32 v3, 31, v2
	v_lshlrev_b64 v[2:3], 3, v[2:3]
	v_add_co_u32_e32 v2, vcc, s83, v2
	v_mov_b32_e32 v4, s73
	v_addc_co_u32_e32 v3, vcc, v4, v3, vcc
	global_load_dwordx2 v[4:5], v[2:3], off
	s_waitcnt vmcnt(0)
	v_cvt_f16_f32_e32 v4, v4
	global_load_dwordx2 v[2:3], v[2:3], off offset:512
	v_cvt_f16_f32_e32 v5, v5
	v_pack_b32_f16 v4, v4, v5
	v_pk_mul_f16 v4, v119, v4
	s_waitcnt vmcnt(0)
	v_cvt_f16_f32_e32 v2, v2
	v_cvt_f16_f32_e32 v3, v3
	v_pack_b32_f16 v2, v2, v3
	v_pk_mul_f16 v2, v119, v2
	ds_write2st64_b32 v88, v4, v2 offset1:1
.LBB30_28:                              ;   in Loop: Header=BB30_16 Depth=1
	s_or_b64 exec, exec, s[30:31]
	s_waitcnt vmcnt(1)
	v_add_u32_e32 v51, s74, v246
	v_cmp_le_i32_e32 vcc, s84, v51
	s_and_saveexec_b64 s[30:31], vcc
	s_xor_b64 s[30:31], exec, s[30:31]
	s_cbranch_execz .LBB30_30
; %bb.29:                               ;   in Loop: Header=BB30_16 Depth=1
	ds_write2st64_b32 v90, v127, v127 offset1:1
.LBB30_30:                              ;   in Loop: Header=BB30_16 Depth=1
	s_andn2_saveexec_b64 s[30:31], s[30:31]
	s_cbranch_execz .LBB30_32
; %bb.31:                               ;   in Loop: Header=BB30_16 Depth=1
	v_readlane_b32 s40, v254, 18
	v_mad_u64_u32 v[2:3], s[40:41], v51, s40, v[80:81]
	v_ashrrev_i32_e32 v3, 31, v2
	v_lshlrev_b64 v[2:3], 3, v[2:3]
	v_add_co_u32_e32 v2, vcc, s83, v2
	v_mov_b32_e32 v4, s73
	v_addc_co_u32_e32 v3, vcc, v4, v3, vcc
	global_load_dwordx2 v[4:5], v[2:3], off
	s_waitcnt vmcnt(0)
	v_cvt_f16_f32_e32 v4, v4
	global_load_dwordx2 v[2:3], v[2:3], off offset:512
	v_cvt_f16_f32_e32 v5, v5
	v_pack_b32_f16 v4, v4, v5
	v_pk_mul_f16 v4, v119, v4
	s_waitcnt vmcnt(0)
	v_cvt_f16_f32_e32 v2, v2
	v_cvt_f16_f32_e32 v3, v3
	v_pack_b32_f16 v2, v2, v3
	v_pk_mul_f16 v2, v119, v2
	ds_write2st64_b32 v90, v4, v2 offset1:1
.LBB30_32:                              ;   in Loop: Header=BB30_16 Depth=1
	s_or_b64 exec, exec, s[30:31]
	v_add_u32_e32 v55, s74, v244
	v_cmp_le_i32_e32 vcc, s84, v55
	s_and_saveexec_b64 s[30:31], vcc
	s_xor_b64 s[30:31], exec, s[30:31]
	s_cbranch_execz .LBB30_34
; %bb.33:                               ;   in Loop: Header=BB30_16 Depth=1
	v_add_u32_e32 v2, 0x80, v90
	ds_write2st64_b32 v2, v127, v127 offset0:16 offset1:17
.LBB30_34:                              ;   in Loop: Header=BB30_16 Depth=1
	s_andn2_saveexec_b64 s[30:31], s[30:31]
	s_cbranch_execz .LBB30_36
; %bb.35:                               ;   in Loop: Header=BB30_16 Depth=1
	v_readlane_b32 s40, v254, 18
	v_mad_u64_u32 v[2:3], s[40:41], v55, s40, v[80:81]
	v_ashrrev_i32_e32 v3, 31, v2
	v_lshlrev_b64 v[2:3], 3, v[2:3]
	v_add_co_u32_e32 v2, vcc, s83, v2
	v_mov_b32_e32 v4, s73
	v_addc_co_u32_e32 v3, vcc, v4, v3, vcc
	global_load_dwordx2 v[4:5], v[2:3], off
	s_waitcnt vmcnt(0)
	v_cvt_f16_f32_e32 v4, v4
	global_load_dwordx2 v[2:3], v[2:3], off offset:512
	v_cvt_f16_f32_e32 v5, v5
	v_pack_b32_f16 v4, v4, v5
	v_pk_mul_f16 v4, v119, v4
	s_waitcnt vmcnt(0)
	v_cvt_f16_f32_e32 v2, v2
	v_cvt_f16_f32_e32 v3, v3
	v_pack_b32_f16 v2, v2, v3
	v_pk_mul_f16 v2, v119, v2
	v_add_u32_e32 v3, 0x80, v90
	ds_write2st64_b32 v3, v4, v2 offset0:16 offset1:17
.LBB30_36:                              ;   in Loop: Header=BB30_16 Depth=1
	s_or_b64 exec, exec, s[30:31]
	v_add_u32_e32 v57, s74, v243
	v_cmp_le_i32_e32 vcc, s84, v57
	s_and_saveexec_b64 s[30:31], vcc
	s_xor_b64 s[30:31], exec, s[30:31]
	s_cbranch_execz .LBB30_38
; %bb.37:                               ;   in Loop: Header=BB30_16 Depth=1
	ds_write2st64_b32 v90, v127, v127 offset0:33 offset1:34
.LBB30_38:                              ;   in Loop: Header=BB30_16 Depth=1
	s_andn2_saveexec_b64 s[30:31], s[30:31]
	s_cbranch_execz .LBB30_40
; %bb.39:                               ;   in Loop: Header=BB30_16 Depth=1
	v_readlane_b32 s40, v254, 18
	v_mad_u64_u32 v[2:3], s[40:41], v57, s40, v[80:81]
	v_ashrrev_i32_e32 v3, 31, v2
	v_lshlrev_b64 v[2:3], 3, v[2:3]
	v_add_co_u32_e32 v2, vcc, s83, v2
	v_mov_b32_e32 v4, s73
	v_addc_co_u32_e32 v3, vcc, v4, v3, vcc
	global_load_dwordx2 v[4:5], v[2:3], off
	s_waitcnt vmcnt(0)
	v_cvt_f16_f32_e32 v4, v4
	global_load_dwordx2 v[2:3], v[2:3], off offset:512
	v_cvt_f16_f32_e32 v5, v5
	v_pack_b32_f16 v4, v4, v5
	v_pk_mul_f16 v4, v119, v4
	s_waitcnt vmcnt(0)
	v_cvt_f16_f32_e32 v2, v2
	v_cvt_f16_f32_e32 v3, v3
	v_pack_b32_f16 v2, v2, v3
	v_pk_mul_f16 v2, v119, v2
	ds_write2st64_b32 v90, v4, v2 offset0:33 offset1:34
.LBB30_40:                              ;   in Loop: Header=BB30_16 Depth=1
	s_or_b64 exec, exec, s[30:31]
	v_add_u32_e32 v53, s74, v242
	v_cmp_le_i32_e32 vcc, s84, v53
	s_and_saveexec_b64 s[30:31], vcc
	s_xor_b64 s[30:31], exec, s[30:31]
	s_cbranch_execz .LBB30_42
; %bb.41:                               ;   in Loop: Header=BB30_16 Depth=1
	v_add_u32_e32 v2, 0x80, v90
	ds_write2st64_b32 v2, v127, v127 offset0:49 offset1:50
.LBB30_42:                              ;   in Loop: Header=BB30_16 Depth=1
	s_andn2_saveexec_b64 s[30:31], s[30:31]
	s_cbranch_execz .LBB30_44
; %bb.43:                               ;   in Loop: Header=BB30_16 Depth=1
	v_readlane_b32 s40, v254, 18
	v_mad_u64_u32 v[2:3], s[40:41], v53, s40, v[80:81]
	v_ashrrev_i32_e32 v3, 31, v2
	v_lshlrev_b64 v[2:3], 3, v[2:3]
	v_add_co_u32_e32 v2, vcc, s83, v2
	v_mov_b32_e32 v4, s73
	v_addc_co_u32_e32 v3, vcc, v4, v3, vcc
	global_load_dwordx2 v[4:5], v[2:3], off
	s_waitcnt vmcnt(0)
	v_cvt_f16_f32_e32 v4, v4
	global_load_dwordx2 v[2:3], v[2:3], off offset:512
	v_cvt_f16_f32_e32 v5, v5
	v_pack_b32_f16 v4, v4, v5
	v_pk_mul_f16 v4, v119, v4
	s_waitcnt vmcnt(0)
	v_cvt_f16_f32_e32 v2, v2
	v_cvt_f16_f32_e32 v3, v3
	v_pack_b32_f16 v2, v2, v3
	v_pk_mul_f16 v2, v119, v2
	v_add_u32_e32 v3, 0x80, v90
	ds_write2st64_b32 v3, v4, v2 offset0:49 offset1:50
.LBB30_44:                              ;   in Loop: Header=BB30_16 Depth=1
	s_or_b64 exec, exec, s[30:31]
	v_add_u32_e32 v61, s74, v240
	v_cmp_le_i32_e32 vcc, s84, v61
	s_and_saveexec_b64 s[30:31], vcc
	s_xor_b64 s[30:31], exec, s[30:31]
	s_cbranch_execz .LBB30_46
; %bb.45:                               ;   in Loop: Header=BB30_16 Depth=1
	ds_write2st64_b32 v90, v127, v127 offset0:66 offset1:67
.LBB30_46:                              ;   in Loop: Header=BB30_16 Depth=1
	s_andn2_saveexec_b64 s[30:31], s[30:31]
	s_cbranch_execz .LBB30_48
; %bb.47:                               ;   in Loop: Header=BB30_16 Depth=1
	v_readlane_b32 s40, v254, 18
	v_mad_u64_u32 v[2:3], s[40:41], v61, s40, v[80:81]
	v_ashrrev_i32_e32 v3, 31, v2
	v_lshlrev_b64 v[2:3], 3, v[2:3]
	v_add_co_u32_e32 v2, vcc, s83, v2
	v_mov_b32_e32 v4, s73
	v_addc_co_u32_e32 v3, vcc, v4, v3, vcc
	global_load_dwordx2 v[4:5], v[2:3], off
	s_waitcnt vmcnt(0)
	v_cvt_f16_f32_e32 v4, v4
	global_load_dwordx2 v[2:3], v[2:3], off offset:512
	v_cvt_f16_f32_e32 v5, v5
	v_pack_b32_f16 v4, v4, v5
	v_pk_mul_f16 v4, v119, v4
	s_waitcnt vmcnt(0)
	v_cvt_f16_f32_e32 v2, v2
	v_cvt_f16_f32_e32 v3, v3
	v_pack_b32_f16 v2, v2, v3
	v_pk_mul_f16 v2, v119, v2
	ds_write2st64_b32 v90, v4, v2 offset0:66 offset1:67
.LBB30_48:                              ;   in Loop: Header=BB30_16 Depth=1
	s_or_b64 exec, exec, s[30:31]
	v_add_u32_e32 v98, s74, v239
	v_cmp_le_i32_e32 vcc, s84, v98
	s_and_saveexec_b64 s[30:31], vcc
	s_xor_b64 s[30:31], exec, s[30:31]
	s_cbranch_execz .LBB30_50
; %bb.49:                               ;   in Loop: Header=BB30_16 Depth=1
	v_add_u32_e32 v2, 0x80, v90
	ds_write2st64_b32 v2, v127, v127 offset0:82 offset1:83
.LBB30_50:                              ;   in Loop: Header=BB30_16 Depth=1
	s_andn2_saveexec_b64 s[30:31], s[30:31]
	s_cbranch_execz .LBB30_52
; %bb.51:                               ;   in Loop: Header=BB30_16 Depth=1
	v_readlane_b32 s40, v254, 18
	v_mad_u64_u32 v[2:3], s[40:41], v98, s40, v[80:81]
	v_ashrrev_i32_e32 v3, 31, v2
	v_lshlrev_b64 v[2:3], 3, v[2:3]
	v_add_co_u32_e32 v2, vcc, s83, v2
	v_mov_b32_e32 v4, s73
	v_addc_co_u32_e32 v3, vcc, v4, v3, vcc
	global_load_dwordx2 v[4:5], v[2:3], off
	s_waitcnt vmcnt(0)
	v_cvt_f16_f32_e32 v4, v4
	global_load_dwordx2 v[2:3], v[2:3], off offset:512
	v_cvt_f16_f32_e32 v5, v5
	v_pack_b32_f16 v4, v4, v5
	v_pk_mul_f16 v4, v119, v4
	s_waitcnt vmcnt(0)
	v_cvt_f16_f32_e32 v2, v2
	v_cvt_f16_f32_e32 v3, v3
	v_pack_b32_f16 v2, v2, v3
	v_pk_mul_f16 v2, v119, v2
	v_add_u32_e32 v3, 0x80, v90
	ds_write2st64_b32 v3, v4, v2 offset0:82 offset1:83
.LBB30_52:                              ;   in Loop: Header=BB30_16 Depth=1
	s_or_b64 exec, exec, s[30:31]
	v_add_u32_e32 v99, s74, v238
	v_cmp_le_i32_e32 vcc, s84, v99
	s_and_saveexec_b64 s[30:31], vcc
	s_xor_b64 s[30:31], exec, s[30:31]
	s_cbranch_execz .LBB30_54
; %bb.53:                               ;   in Loop: Header=BB30_16 Depth=1
	ds_write2st64_b32 v90, v127, v127 offset0:99 offset1:100
.LBB30_54:                              ;   in Loop: Header=BB30_16 Depth=1
	s_andn2_saveexec_b64 s[30:31], s[30:31]
	s_cbranch_execz .LBB30_56
; %bb.55:                               ;   in Loop: Header=BB30_16 Depth=1
	v_readlane_b32 s40, v254, 18
	v_mad_u64_u32 v[2:3], s[40:41], v99, s40, v[80:81]
	v_ashrrev_i32_e32 v3, 31, v2
	v_lshlrev_b64 v[2:3], 3, v[2:3]
	v_add_co_u32_e32 v2, vcc, s83, v2
	v_mov_b32_e32 v4, s73
	v_addc_co_u32_e32 v3, vcc, v4, v3, vcc
	global_load_dwordx2 v[4:5], v[2:3], off
	s_waitcnt vmcnt(0)
	v_cvt_f16_f32_e32 v4, v4
	global_load_dwordx2 v[2:3], v[2:3], off offset:512
	v_cvt_f16_f32_e32 v5, v5
	v_pack_b32_f16 v4, v4, v5
	v_pk_mul_f16 v4, v119, v4
	s_waitcnt vmcnt(0)
	v_cvt_f16_f32_e32 v2, v2
	v_cvt_f16_f32_e32 v3, v3
	v_pack_b32_f16 v2, v2, v3
	v_pk_mul_f16 v2, v119, v2
	ds_write2st64_b32 v90, v4, v2 offset0:99 offset1:100
.LBB30_56:                              ;   in Loop: Header=BB30_16 Depth=1
	s_or_b64 exec, exec, s[30:31]
	s_waitcnt lgkmcnt(0)
	s_barrier
	s_waitcnt vmcnt(0)
	ds_read2_b64 v[30:33], v247 offset1:4
	ds_read2_b64 v[26:29], v247 offset0:8 offset1:12
	ds_read2_b64 v[22:25], v247 offset0:16 offset1:20
	;; [unrolled: 1-line block ×7, first 2 shown]
	s_add_i32 s44, s79, -1
	s_cmp_le_i32 s44, s46
	v_mov_b32_e32 v104, 0
	s_waitcnt lgkmcnt(0)
	s_barrier
	s_cbranch_scc1 .LBB30_102
; %bb.57:                               ;   in Loop: Header=BB30_16 Depth=1
	v_lshlrev_b32_e32 v34, 1, v80
	v_mov_b32_e32 v35, s91
	v_add_co_u32_e32 v100, vcc, s90, v34
	v_readlane_b32 s42, v254, 10
	v_and_b32_e32 v52, 64, v103
	v_addc_co_u32_e32 v101, vcc, 0, v35, vcc
	v_mul_hi_u32 v34, s42, v1
	v_mul_hi_u32 v36, s42, v51
	;; [unrolled: 1-line block ×8, first 2 shown]
	v_add_u32_e32 v52, 64, v52
	v_xor_b32_e32 v79, 32, v103
	v_readlane_b32 s43, v254, 11
	v_add_u32_e32 v34, v1, v34
	v_add_u32_e32 v36, v51, v36
	;; [unrolled: 1-line block ×8, first 2 shown]
	v_cmp_lt_i32_e32 vcc, v79, v52
	v_lshrrev_b32_e32 v34, s43, v34
	v_lshrrev_b32_e32 v36, s43, v36
	;; [unrolled: 1-line block ×8, first 2 shown]
	v_cndmask_b32_e32 v79, v103, v79, vcc
	v_mul_lo_u32 v34, v34, s84
	v_readlane_b32 s30, v255, 17
	v_mul_lo_u32 v36, v36, s84
	v_mul_lo_u32 v38, v38, s84
	;; [unrolled: 1-line block ×7, first 2 shown]
	v_lshlrev_b32_e32 v102, 2, v79
	v_xor_b32_e32 v79, 16, v103
	v_sub_u32_e32 v34, v1, v34
	v_readlane_b32 s31, v255, 18
	s_mov_b32 s48, s30
	v_sub_u32_e32 v36, v51, v36
	v_sub_u32_e32 v38, v55, v38
	v_sub_u32_e32 v40, v57, v40
	v_sub_u32_e32 v42, v53, v42
	v_sub_u32_e32 v44, v61, v44
	v_sub_u32_e32 v46, v98, v46
	v_sub_u32_e32 v48, v99, v48
	v_cmp_lt_i32_e32 vcc, v79, v52
	s_cmp_lg_u64 s[90:91], 0
	v_mad_i64_i32 v[34:35], s[30:31], v34, s48, 0
	v_mad_i64_i32 v[36:37], s[30:31], v36, s48, 0
	;; [unrolled: 1-line block ×8, first 2 shown]
	v_cndmask_b32_e32 v52, v103, v79, vcc
	s_cselect_b64 s[40:41], -1, 0
	v_mov_b32_e32 v115, 0
	v_lshlrev_b32_e32 v103, 2, v52
	v_mov_b32_e32 v80, v78
	v_mov_b32_e32 v81, v78
	s_lshl_b32 s42, s46, 6
	v_mov_b32_e32 v122, 0
	v_mov_b32_e32 v123, 0xfeffffff
	v_lshlrev_b64 v[82:83], 1, v[34:35]
	v_lshlrev_b64 v[84:85], 1, v[36:37]
	;; [unrolled: 1-line block ×8, first 2 shown]
	v_mov_b32_e32 v120, 0
	v_mov_b32_e32 v140, 0
	;; [unrolled: 1-line block ×31, first 2 shown]
	s_andn2_b64 vcc, exec, s[40:41]
	s_ashr_i32 s43, s42, 31
	s_cbranch_vccnz .LBB30_63
.LBB30_58:                              ;   in Loop: Header=BB30_16 Depth=1
                                        ; implicit-def: $sgpr45
	s_and_saveexec_b64 s[30:31], s[4:5]
	s_xor_b64 s[30:31], exec, s[30:31]
	s_cbranch_execz .LBB30_60
; %bb.59:                               ;   in Loop: Header=BB30_16 Depth=1
	v_add_u32_e32 v34, v129, v130
	ds_write_b16 v34, v127 offset:33792
	ds_write_b16 v34, v127 offset:34944
	;; [unrolled: 1-line block ×4, first 2 shown]
	s_mov_b32 s45, 0
.LBB30_60:                              ;   in Loop: Header=BB30_16 Depth=1
	s_or_saveexec_b64 s[30:31], s[30:31]
	v_mov_b32_e32 v34, s45
	v_mov_b32_e32 v35, s45
	v_mov_b32_e32 v36, s45
	v_mov_b32_e32 v37, s45
	s_xor_b64 exec, exec, s[30:31]
	s_cbranch_execz .LBB30_62
; %bb.61:                               ;   in Loop: Header=BB30_16 Depth=1
	s_lshl_b64 s[48:49], s[42:43], 1
	v_add_co_u32_e32 v38, vcc, s48, v100
	v_mov_b32_e32 v34, s49
	v_addc_co_u32_e32 v39, vcc, v101, v34, vcc
	v_add_co_u32_e32 v34, vcc, v38, v82
	v_addc_co_u32_e32 v35, vcc, v39, v83, vcc
	flat_load_ushort v36, v[34:35]
	v_add_co_u32_e32 v34, vcc, v38, v84
	v_addc_co_u32_e32 v35, vcc, v39, v85, vcc
	flat_load_ushort v37, v[34:35]
	;; [unrolled: 3-line block ×4, first 2 shown]
	v_add_u32_e32 v35, v129, v130
	s_waitcnt vmcnt(0) lgkmcnt(0)
	ds_write_b16 v35, v36 offset:33792
	ds_write_b16 v35, v37 offset:34944
	;; [unrolled: 1-line block ×4, first 2 shown]
	v_add_co_u32_e32 v34, vcc, v38, v90
	v_addc_co_u32_e32 v35, vcc, v39, v91, vcc
	v_add_co_u32_e32 v36, vcc, v38, v92
	v_addc_co_u32_e32 v37, vcc, v39, v93, vcc
	flat_load_ushort v34, v[34:35]
	s_nop 0
	flat_load_ushort v35, v[36:37]
	v_add_co_u32_e32 v36, vcc, v38, v94
	v_addc_co_u32_e32 v37, vcc, v39, v95, vcc
	v_add_co_u32_e32 v38, vcc, v38, v96
	v_addc_co_u32_e32 v39, vcc, v39, v97, vcc
	flat_load_ushort v36, v[36:37]
	s_nop 0
	flat_load_ushort v37, v[38:39]
.LBB30_62:                              ;   in Loop: Header=BB30_16 Depth=1
	s_or_b64 exec, exec, s[30:31]
	v_add_u32_e32 v38, v129, v130
	s_waitcnt vmcnt(0) lgkmcnt(0)
	ds_write_b16 v38, v34 offset:38400
	ds_write_b16 v38, v35 offset:39552
	;; [unrolled: 1-line block ×4, first 2 shown]
.LBB30_63:                              ;   Parent Loop BB30_16 Depth=1
                                        ; =>  This Inner Loop Header: Depth=2
	s_mul_hi_i32 s31, s42, s38
	s_mul_i32 s30, s42, s38
	s_lshl_b64 s[30:31], s[30:31], 2
	s_add_u32 s30, s77, s30
	s_addc_u32 s31, s78, s31
	v_add_co_u32_e32 v34, vcc, s30, v70
	v_mov_b32_e32 v35, s31
	v_addc_co_u32_e32 v35, vcc, v35, v71, vcc
	v_lshlrev_b32_e32 v121, 2, v56
	v_add_co_u32_e32 v34, vcc, v34, v121
	v_addc_co_u32_e32 v35, vcc, 0, v35, vcc
	v_mov_b32_e32 v38, s37
	v_mov_b32_e32 v39, s36
	buffer_store_dword v127, off, s[0:3], 0
	buffer_store_dword v127, off, s[0:3], 0 offset:4
	buffer_store_dword v127, off, s[0:3], 0 offset:8
	;; [unrolled: 1-line block ×3, first 2 shown]
	v_cndmask_b32_e64 v35, v38, v35, s[6:7]
	v_cndmask_b32_e64 v34, v39, v34, s[6:7]
	flat_load_dwordx4 v[34:37], v[34:35]
	v_add_u32_e32 v46, 0x4000, v139
	s_waitcnt vmcnt(0) lgkmcnt(0)
	ds_write_b128 v132, v[34:37]
	v_add_co_u32_e32 v34, vcc, s30, v72
	v_mov_b32_e32 v35, s31
	v_addc_co_u32_e32 v35, vcc, v35, v73, vcc
	v_add_co_u32_e32 v34, vcc, v34, v121
	v_addc_co_u32_e32 v35, vcc, 0, v35, vcc
	v_cndmask_b32_e64 v35, v38, v35, s[88:89]
	v_cndmask_b32_e64 v34, v39, v34, s[88:89]
	flat_load_dwordx4 v[34:37], v[34:35]
	s_waitcnt vmcnt(0) lgkmcnt(0)
	ds_write_b128 v134, v[34:37]
	v_add_co_u32_e32 v34, vcc, s30, v74
	v_mov_b32_e32 v35, s31
	v_addc_co_u32_e32 v35, vcc, v35, v75, vcc
	v_add_co_u32_e32 v34, vcc, v34, v121
	v_addc_co_u32_e32 v35, vcc, 0, v35, vcc
	v_cndmask_b32_e64 v35, v38, v35, s[10:11]
	v_cndmask_b32_e64 v34, v39, v34, s[10:11]
	flat_load_dwordx4 v[34:37], v[34:35]
	;; [unrolled: 10-line block ×3, first 2 shown]
	s_waitcnt vmcnt(0) lgkmcnt(0)
	ds_write_b128 v138, v[34:37]
	s_waitcnt lgkmcnt(0)
	s_barrier
	ds_read2_b64 v[34:37], v139 offset1:4
	s_waitcnt lgkmcnt(0)
	v_mfma_f32_16x16x16f16 v[38:41], v[34:35], v[30:31], 0
	v_mfma_f32_16x16x16f16 v[34:37], v[36:37], v[32:33], v[38:41]
	s_nop 7
	s_nop 1
	ds_read2_b64 v[38:41], v139 offset0:8 offset1:12
	s_waitcnt lgkmcnt(0)
	v_mfma_f32_16x16x16f16 v[34:37], v[38:39], v[26:27], v[34:37]
	v_mfma_f32_16x16x16f16 v[34:37], v[40:41], v[28:29], v[34:37]
	ds_read2_b64 v[38:41], v139 offset0:16 offset1:20
	s_waitcnt lgkmcnt(0)
	v_mfma_f32_16x16x16f16 v[34:37], v[38:39], v[22:23], v[34:37]
	v_mfma_f32_16x16x16f16 v[34:37], v[40:41], v[24:25], v[34:37]
	;; [unrolled: 4-line block ×7, first 2 shown]
	ds_read2_b64 v[38:41], v46 offset0:64 offset1:68
	s_waitcnt lgkmcnt(0)
	v_mfma_f32_16x16x16f16 v[42:45], v[38:39], v[30:31], 0
	s_nop 7
	v_cmp_nlt_f32_e64 s[30:31], |v34|, s69
	v_mfma_f32_16x16x16f16 v[38:41], v[40:41], v[32:33], v[42:45]
	s_nop 6
	ds_read2_b64 v[42:45], v46 offset0:72 offset1:76
	s_waitcnt lgkmcnt(0)
	v_mfma_f32_16x16x16f16 v[38:41], v[42:43], v[26:27], v[38:41]
	v_mfma_f32_16x16x16f16 v[38:41], v[44:45], v[28:29], v[38:41]
	ds_read2_b64 v[42:45], v46 offset0:80 offset1:84
	s_waitcnt lgkmcnt(0)
	v_mfma_f32_16x16x16f16 v[38:41], v[42:43], v[22:23], v[38:41]
	v_mfma_f32_16x16x16f16 v[38:41], v[44:45], v[24:25], v[38:41]
	;; [unrolled: 4-line block ×6, first 2 shown]
	ds_read2_b64 v[42:45], v46 offset0:120 offset1:124
	s_waitcnt lgkmcnt(0)
	s_barrier
	v_mfma_f32_16x16x16f16 v[38:41], v[42:43], v[2:3], v[38:41]
                                        ; implicit-def: $vgpr42
	v_mfma_f32_16x16x16f16 v[38:41], v[44:45], v[4:5], v[38:41]
	s_and_saveexec_b64 s[48:49], s[30:31]
	s_xor_b64 s[30:31], exec, s[48:49]
	s_cbranch_execz .LBB30_65
; %bb.64:                               ;   in Loop: Header=BB30_63 Depth=2
	v_add_f32_e64 v42, |v34|, |v34|
	v_mul_f32_e32 v43, 0x3fb8aa3b, v42
	v_rndne_f32_e32 v44, v43
	v_sub_f32_e32 v45, v43, v44
	v_fma_f32 v43, v42, s85, -v43
	v_fmac_f32_e32 v43, 0x32a5705f, v42
	v_add_f32_e32 v43, v45, v43
	v_cvt_i32_f32_e32 v44, v44
	v_exp_f32_e32 v43, v43
	v_cmp_ngt_f32_e32 vcc, s8, v42
	v_ldexp_f32 v43, v43, v44
	v_cndmask_b32_e32 v43, 0, v43, vcc
	v_cmp_nlt_f32_e32 vcc, s9, v42
	v_cndmask_b32_e32 v42, v251, v43, vcc
	v_add_f32_e32 v42, 1.0, v42
	v_rcp_f32_e32 v42, v42
	v_fma_f32 v42, v42, -2.0, 1.0
.LBB30_65:                              ;   in Loop: Header=BB30_63 Depth=2
	s_andn2_saveexec_b64 s[30:31], s[30:31]
; %bb.66:                               ;   in Loop: Header=BB30_63 Depth=2
	v_mul_f32_e32 v42, v34, v34
	v_mov_b32_e32 v43, 0x3ca908c9
	v_fmac_f32_e32 v43, 0xbbbac73d, v42
	v_fma_f32 v43, v42, v43, v58
	v_fma_f32 v43, v42, v43, v59
	;; [unrolled: 1-line block ×3, first 2 shown]
	v_mul_f32_e64 v43, |v34|, v43
	v_fma_f32 v42, v42, v43, |v34|
; %bb.67:                               ;   in Loop: Header=BB30_63 Depth=2
	s_or_b64 exec, exec, s[30:31]
	v_cmp_nlt_f32_e64 s[30:31], |v35|, s69
                                        ; implicit-def: $vgpr43
	s_and_saveexec_b64 s[48:49], s[30:31]
	s_xor_b64 s[30:31], exec, s[48:49]
	s_cbranch_execz .LBB30_69
; %bb.68:                               ;   in Loop: Header=BB30_63 Depth=2
	v_add_f32_e64 v43, |v35|, |v35|
	v_mul_f32_e32 v44, 0x3fb8aa3b, v43
	v_rndne_f32_e32 v45, v44
	v_sub_f32_e32 v46, v44, v45
	v_fma_f32 v44, v43, s85, -v44
	v_fmac_f32_e32 v44, 0x32a5705f, v43
	v_add_f32_e32 v44, v46, v44
	v_cvt_i32_f32_e32 v45, v45
	v_exp_f32_e32 v44, v44
	v_cmp_ngt_f32_e32 vcc, s8, v43
	v_ldexp_f32 v44, v44, v45
	v_cndmask_b32_e32 v44, 0, v44, vcc
	v_cmp_nlt_f32_e32 vcc, s9, v43
	v_cndmask_b32_e32 v43, v251, v44, vcc
	v_add_f32_e32 v43, 1.0, v43
	v_rcp_f32_e32 v43, v43
	v_fma_f32 v43, v43, -2.0, 1.0
.LBB30_69:                              ;   in Loop: Header=BB30_63 Depth=2
	s_andn2_saveexec_b64 s[30:31], s[30:31]
; %bb.70:                               ;   in Loop: Header=BB30_63 Depth=2
	v_mul_f32_e32 v43, v35, v35
	v_mov_b32_e32 v44, 0x3ca908c9
	v_fmac_f32_e32 v44, 0xbbbac73d, v43
	v_fma_f32 v44, v43, v44, v58
	v_fma_f32 v44, v43, v44, v59
	;; [unrolled: 1-line block ×3, first 2 shown]
	v_mul_f32_e64 v44, |v35|, v44
	v_fma_f32 v43, v43, v44, |v35|
; %bb.71:                               ;   in Loop: Header=BB30_63 Depth=2
	s_or_b64 exec, exec, s[30:31]
	v_cmp_nlt_f32_e64 s[30:31], |v36|, s69
                                        ; implicit-def: $vgpr44
	s_and_saveexec_b64 s[48:49], s[30:31]
	s_xor_b64 s[30:31], exec, s[48:49]
	s_cbranch_execz .LBB30_73
; %bb.72:                               ;   in Loop: Header=BB30_63 Depth=2
	v_add_f32_e64 v44, |v36|, |v36|
	v_mul_f32_e32 v45, 0x3fb8aa3b, v44
	v_rndne_f32_e32 v46, v45
	v_sub_f32_e32 v47, v45, v46
	v_fma_f32 v45, v44, s85, -v45
	v_fmac_f32_e32 v45, 0x32a5705f, v44
	v_add_f32_e32 v45, v47, v45
	v_cvt_i32_f32_e32 v46, v46
	v_exp_f32_e32 v45, v45
	v_cmp_ngt_f32_e32 vcc, s8, v44
	v_ldexp_f32 v45, v45, v46
	v_cndmask_b32_e32 v45, 0, v45, vcc
	v_cmp_nlt_f32_e32 vcc, s9, v44
	v_cndmask_b32_e32 v44, v251, v45, vcc
	v_add_f32_e32 v44, 1.0, v44
	v_rcp_f32_e32 v44, v44
	v_fma_f32 v44, v44, -2.0, 1.0
.LBB30_73:                              ;   in Loop: Header=BB30_63 Depth=2
	s_andn2_saveexec_b64 s[30:31], s[30:31]
; %bb.74:                               ;   in Loop: Header=BB30_63 Depth=2
	v_mul_f32_e32 v44, v36, v36
	v_mov_b32_e32 v45, 0x3ca908c9
	v_fmac_f32_e32 v45, 0xbbbac73d, v44
	v_fma_f32 v45, v44, v45, v58
	v_fma_f32 v45, v44, v45, v59
	;; [unrolled: 1-line block ×3, first 2 shown]
	v_mul_f32_e64 v45, |v36|, v45
	v_fma_f32 v44, v44, v45, |v36|
; %bb.75:                               ;   in Loop: Header=BB30_63 Depth=2
	s_or_b64 exec, exec, s[30:31]
	v_cmp_nlt_f32_e64 s[30:31], |v37|, s69
                                        ; implicit-def: $vgpr45
	s_and_saveexec_b64 s[48:49], s[30:31]
	s_xor_b64 s[30:31], exec, s[48:49]
	s_cbranch_execz .LBB30_77
; %bb.76:                               ;   in Loop: Header=BB30_63 Depth=2
	v_add_f32_e64 v45, |v37|, |v37|
	v_mul_f32_e32 v46, 0x3fb8aa3b, v45
	v_rndne_f32_e32 v47, v46
	v_sub_f32_e32 v48, v46, v47
	v_fma_f32 v46, v45, s85, -v46
	v_fmac_f32_e32 v46, 0x32a5705f, v45
	v_add_f32_e32 v46, v48, v46
	v_cvt_i32_f32_e32 v47, v47
	v_exp_f32_e32 v46, v46
	v_cmp_ngt_f32_e32 vcc, s8, v45
	v_ldexp_f32 v46, v46, v47
	v_cndmask_b32_e32 v46, 0, v46, vcc
	v_cmp_nlt_f32_e32 vcc, s9, v45
	v_cndmask_b32_e32 v45, v251, v46, vcc
	v_add_f32_e32 v45, 1.0, v45
	v_rcp_f32_e32 v45, v45
	v_fma_f32 v45, v45, -2.0, 1.0
.LBB30_77:                              ;   in Loop: Header=BB30_63 Depth=2
	s_andn2_saveexec_b64 s[30:31], s[30:31]
; %bb.78:                               ;   in Loop: Header=BB30_63 Depth=2
	v_mul_f32_e32 v45, v37, v37
	v_mov_b32_e32 v46, 0x3ca908c9
	v_fmac_f32_e32 v46, 0xbbbac73d, v45
	v_fma_f32 v46, v45, v46, v58
	v_fma_f32 v46, v45, v46, v59
	;; [unrolled: 1-line block ×3, first 2 shown]
	v_mul_f32_e64 v46, |v37|, v46
	v_fma_f32 v45, v45, v46, |v37|
; %bb.79:                               ;   in Loop: Header=BB30_63 Depth=2
	s_or_b64 exec, exec, s[30:31]
	v_cmp_nlt_f32_e64 s[30:31], |v38|, s69
                                        ; implicit-def: $vgpr46
	s_and_saveexec_b64 s[48:49], s[30:31]
	s_xor_b64 s[30:31], exec, s[48:49]
	s_cbranch_execz .LBB30_81
; %bb.80:                               ;   in Loop: Header=BB30_63 Depth=2
	v_add_f32_e64 v46, |v38|, |v38|
	v_mul_f32_e32 v47, 0x3fb8aa3b, v46
	v_rndne_f32_e32 v48, v47
	v_sub_f32_e32 v49, v47, v48
	v_fma_f32 v47, v46, s85, -v47
	v_fmac_f32_e32 v47, 0x32a5705f, v46
	v_add_f32_e32 v47, v49, v47
	v_cvt_i32_f32_e32 v48, v48
	v_exp_f32_e32 v47, v47
	v_cmp_ngt_f32_e32 vcc, s8, v46
	v_ldexp_f32 v47, v47, v48
	v_cndmask_b32_e32 v47, 0, v47, vcc
	v_cmp_nlt_f32_e32 vcc, s9, v46
	v_cndmask_b32_e32 v46, v251, v47, vcc
	v_add_f32_e32 v46, 1.0, v46
	v_rcp_f32_e32 v46, v46
	v_fma_f32 v46, v46, -2.0, 1.0
.LBB30_81:                              ;   in Loop: Header=BB30_63 Depth=2
	s_andn2_saveexec_b64 s[30:31], s[30:31]
; %bb.82:                               ;   in Loop: Header=BB30_63 Depth=2
	v_mul_f32_e32 v46, v38, v38
	v_mov_b32_e32 v47, 0x3ca908c9
	v_fmac_f32_e32 v47, 0xbbbac73d, v46
	v_fma_f32 v47, v46, v47, v58
	v_fma_f32 v47, v46, v47, v59
	;; [unrolled: 1-line block ×3, first 2 shown]
	v_mul_f32_e64 v47, |v38|, v47
	v_fma_f32 v46, v46, v47, |v38|
; %bb.83:                               ;   in Loop: Header=BB30_63 Depth=2
	s_or_b64 exec, exec, s[30:31]
	v_cmp_nlt_f32_e64 s[30:31], |v39|, s69
                                        ; implicit-def: $vgpr47
	s_and_saveexec_b64 s[48:49], s[30:31]
	s_xor_b64 s[30:31], exec, s[48:49]
	s_cbranch_execz .LBB30_85
; %bb.84:                               ;   in Loop: Header=BB30_63 Depth=2
	v_add_f32_e64 v47, |v39|, |v39|
	v_mul_f32_e32 v48, 0x3fb8aa3b, v47
	v_rndne_f32_e32 v49, v48
	v_sub_f32_e32 v79, v48, v49
	v_fma_f32 v48, v47, s85, -v48
	v_fmac_f32_e32 v48, 0x32a5705f, v47
	v_add_f32_e32 v48, v79, v48
	v_cvt_i32_f32_e32 v49, v49
	v_exp_f32_e32 v48, v48
	v_cmp_ngt_f32_e32 vcc, s8, v47
	v_ldexp_f32 v48, v48, v49
	v_cndmask_b32_e32 v48, 0, v48, vcc
	v_cmp_nlt_f32_e32 vcc, s9, v47
	v_cndmask_b32_e32 v47, v251, v48, vcc
	v_add_f32_e32 v47, 1.0, v47
	v_rcp_f32_e32 v47, v47
	v_fma_f32 v47, v47, -2.0, 1.0
.LBB30_85:                              ;   in Loop: Header=BB30_63 Depth=2
	s_andn2_saveexec_b64 s[30:31], s[30:31]
; %bb.86:                               ;   in Loop: Header=BB30_63 Depth=2
	v_mul_f32_e32 v47, v39, v39
	v_mov_b32_e32 v48, 0x3ca908c9
	v_fmac_f32_e32 v48, 0xbbbac73d, v47
	v_fma_f32 v48, v47, v48, v58
	v_fma_f32 v48, v47, v48, v59
	;; [unrolled: 1-line block ×3, first 2 shown]
	v_mul_f32_e64 v48, |v39|, v48
	v_fma_f32 v47, v47, v48, |v39|
; %bb.87:                               ;   in Loop: Header=BB30_63 Depth=2
	s_or_b64 exec, exec, s[30:31]
	v_cmp_nlt_f32_e64 s[30:31], |v40|, s69
                                        ; implicit-def: $vgpr48
	s_and_saveexec_b64 s[48:49], s[30:31]
	s_xor_b64 s[30:31], exec, s[48:49]
	s_cbranch_execz .LBB30_89
; %bb.88:                               ;   in Loop: Header=BB30_63 Depth=2
	v_add_f32_e64 v48, |v40|, |v40|
	v_mul_f32_e32 v49, 0x3fb8aa3b, v48
	v_rndne_f32_e32 v79, v49
	v_sub_f32_e32 v124, v49, v79
	v_fma_f32 v49, v48, s85, -v49
	v_fmac_f32_e32 v49, 0x32a5705f, v48
	v_add_f32_e32 v49, v124, v49
	v_cvt_i32_f32_e32 v79, v79
	v_exp_f32_e32 v49, v49
	v_cmp_ngt_f32_e32 vcc, s8, v48
	v_ldexp_f32 v49, v49, v79
	v_cndmask_b32_e32 v49, 0, v49, vcc
	v_cmp_nlt_f32_e32 vcc, s9, v48
	v_cndmask_b32_e32 v48, v251, v49, vcc
	v_add_f32_e32 v48, 1.0, v48
	v_rcp_f32_e32 v48, v48
	v_fma_f32 v48, v48, -2.0, 1.0
.LBB30_89:                              ;   in Loop: Header=BB30_63 Depth=2
	s_andn2_saveexec_b64 s[30:31], s[30:31]
; %bb.90:                               ;   in Loop: Header=BB30_63 Depth=2
	v_mul_f32_e32 v48, v40, v40
	v_mov_b32_e32 v49, 0x3ca908c9
	v_fmac_f32_e32 v49, 0xbbbac73d, v48
	v_fma_f32 v49, v48, v49, v58
	v_fma_f32 v49, v48, v49, v59
	;; [unrolled: 1-line block ×3, first 2 shown]
	v_mul_f32_e64 v49, |v40|, v49
	v_fma_f32 v48, v48, v49, |v40|
; %bb.91:                               ;   in Loop: Header=BB30_63 Depth=2
	s_or_b64 exec, exec, s[30:31]
	v_cmp_nlt_f32_e64 s[30:31], |v41|, s69
                                        ; implicit-def: $vgpr79
	s_and_saveexec_b64 s[48:49], s[30:31]
	s_xor_b64 s[30:31], exec, s[48:49]
	s_cbranch_execz .LBB30_93
; %bb.92:                               ;   in Loop: Header=BB30_63 Depth=2
	v_add_f32_e64 v49, |v41|, |v41|
	v_mul_f32_e32 v79, 0x3fb8aa3b, v49
	v_rndne_f32_e32 v124, v79
	v_sub_f32_e32 v125, v79, v124
	v_fma_f32 v79, v49, s85, -v79
	v_fmac_f32_e32 v79, 0x32a5705f, v49
	v_add_f32_e32 v79, v125, v79
	v_cvt_i32_f32_e32 v124, v124
	v_exp_f32_e32 v79, v79
	v_cmp_ngt_f32_e32 vcc, s8, v49
	v_ldexp_f32 v79, v79, v124
	v_cndmask_b32_e32 v79, 0, v79, vcc
	v_cmp_nlt_f32_e32 vcc, s9, v49
	v_cndmask_b32_e32 v49, v251, v79, vcc
	v_add_f32_e32 v49, 1.0, v49
	v_rcp_f32_e32 v49, v49
	v_fma_f32 v79, v49, -2.0, 1.0
.LBB30_93:                              ;   in Loop: Header=BB30_63 Depth=2
	s_andn2_saveexec_b64 s[30:31], s[30:31]
; %bb.94:                               ;   in Loop: Header=BB30_63 Depth=2
	v_mul_f32_e32 v49, v41, v41
	v_mov_b32_e32 v79, 0x3ca908c9
	v_fmac_f32_e32 v79, 0xbbbac73d, v49
	v_fma_f32 v79, v49, v79, v58
	v_fma_f32 v79, v49, v79, v59
	;; [unrolled: 1-line block ×3, first 2 shown]
	v_mul_f32_e64 v79, |v41|, v79
	v_fma_f32 v79, v49, v79, |v41|
; %bb.95:                               ;   in Loop: Header=BB30_63 Depth=2
	s_or_b64 exec, exec, s[30:31]
	v_bfi_b32 v34, s68, v42, v34
	v_bfi_b32 v38, s68, v46, v38
	v_mul_f32_e32 v46, s97, v34
	v_bfi_b32 v34, s68, v43, v35
	v_bfi_b32 v39, s68, v47, v39
	v_mul_f32_e32 v47, s97, v34
	;; [unrolled: 3-line block ×3, first 2 shown]
	v_bfi_b32 v34, s68, v45, v37
	v_mul_f32_e32 v49, s97, v34
	v_bfi_b32 v34, s68, v79, v41
	v_mul_f32_e32 v38, s97, v38
	v_mul_f32_e32 v39, s97, v39
	;; [unrolled: 1-line block ×4, first 2 shown]
	s_and_b64 vcc, exec, s[40:41]
	s_cbranch_vccz .LBB30_100
; %bb.96:                               ;   in Loop: Header=BB30_63 Depth=2
	v_add_u32_e32 v34, 0x8400, v50
	ds_read2_b32 v[34:35], v34 offset1:1
	ds_read_b32 v42, v126 offset:33792
	ds_read_b32 v43, v145 offset:33792
	v_mov_b32_e32 v79, v78
	s_waitcnt lgkmcnt(2)
	v_cvt_f32_f16_e32 v36, v34
	v_cvt_f32_f16_sdwa v37, v34 dst_sel:DWORD dst_unused:UNUSED_PAD src0_sel:WORD_1
	v_cvt_f32_f16_e32 v34, v35
	v_cvt_f32_f16_sdwa v35, v35 dst_sel:DWORD dst_unused:UNUSED_PAD src0_sel:WORD_1
	s_waitcnt lgkmcnt(1)
	v_cvt_f32_f16_sdwa v125, v42 dst_sel:DWORD dst_unused:UNUSED_PAD src0_sel:WORD_1
	s_waitcnt lgkmcnt(0)
	v_cvt_f32_f16_sdwa v183, v43 dst_sel:DWORD dst_unused:UNUSED_PAD src0_sel:WORD_1
	v_cvt_f32_f16_e32 v182, v43
	v_cvt_f32_f16_e32 v124, v42
	v_pk_fma_f32 v[44:45], v[78:79], v[34:35], v[48:49]
	v_pk_fma_f32 v[42:43], v[80:81], v[36:37], v[46:47]
	;; [unrolled: 1-line block ×4, first 2 shown]
	s_cbranch_execnz .LBB30_98
.LBB30_97:                              ;   in Loop: Header=BB30_63 Depth=2
	v_pk_mov_b32 v[34:35], v[38:39], v[38:39] op_sel:[0,1]
	v_pk_mov_b32 v[42:43], v[46:47], v[46:47] op_sel:[0,1]
	;; [unrolled: 1-line block ×4, first 2 shown]
.LBB30_98:                              ;   in Loop: Header=BB30_63 Depth=2
	v_add_f32_e32 v38, 0x40051340, v42
	v_max_f32_e32 v39, v123, v123
	v_max_f32_e32 v38, v39, v38
	v_cndmask_b32_e64 v38, v123, v38, s[14:15]
	v_add_f32_e32 v39, 0x40051340, v43
	v_max_f32_e32 v40, v38, v38
	v_max_f32_e32 v39, v40, v39
	v_cndmask_b32_e64 v38, v38, v39, s[16:17]
	;; [unrolled: 4-line block ×8, first 2 shown]
	ds_bpermute_b32 v39, v102, v38
	v_max_f32_e32 v38, v38, v38
	v_cndmask_b32_e64 v35, v35, v35, s[22:23]
	v_cndmask_b32_e64 v36, v36, v36, s[22:23]
	v_cndmask_b32_e64 v37, v37, v37, s[22:23]
	s_waitcnt lgkmcnt(0)
	v_max_f32_e32 v39, v39, v39
	v_max_f32_e32 v38, v38, v39
	ds_bpermute_b32 v39, v103, v38
	s_mul_hi_i32 s31, s42, s86
	s_mul_i32 s30, s42, s86
	s_lshl_b64 s[30:31], s[30:31], 2
	s_add_u32 s30, s75, s30
	s_waitcnt lgkmcnt(0)
	v_max_f32_e32 v39, v39, v39
	v_max_f32_e32 v38, v38, v39
	v_sub_f32_e32 v39, v42, v38
	v_mul_f32_e32 v40, 0x3fb8aa3b, v39
	v_fma_f32 v41, v39, s85, -v40
	v_rndne_f32_e32 v42, v40
	v_fmac_f32_e32 v41, 0x32a5705f, v39
	v_sub_f32_e32 v40, v40, v42
	v_add_f32_e32 v40, v40, v41
	v_exp_f32_e32 v40, v40
	v_cvt_i32_f32_e32 v41, v42
	v_cmp_ngt_f32_e32 vcc, s8, v39
	v_sub_f32_e32 v34, v34, v38
	v_sub_f32_e32 v35, v35, v38
	v_ldexp_f32 v40, v40, v41
	v_cndmask_b32_e32 v40, 0, v40, vcc
	v_cmp_nlt_f32_e32 vcc, s9, v39
	v_cndmask_b32_e32 v39, v251, v40, vcc
	v_cndmask_b32_e64 v124, 0, v39, s[14:15]
	v_sub_f32_e32 v39, v43, v38
	v_mul_f32_e32 v40, 0x3fb8aa3b, v39
	v_fma_f32 v41, v39, s85, -v40
	v_rndne_f32_e32 v42, v40
	v_fmac_f32_e32 v41, 0x32a5705f, v39
	v_sub_f32_e32 v40, v40, v42
	v_add_f32_e32 v40, v40, v41
	v_exp_f32_e32 v40, v40
	v_cvt_i32_f32_e32 v41, v42
	v_cmp_ngt_f32_e32 vcc, s8, v39
	v_cndmask_b32_e64 v43, v44, v44, s[16:17]
	v_cndmask_b32_e64 v42, v45, v45, s[16:17]
	v_ldexp_f32 v40, v40, v41
	v_cndmask_b32_e32 v40, 0, v40, vcc
	v_cmp_nlt_f32_e32 vcc, s9, v39
	v_cndmask_b32_e32 v40, v251, v40, vcc
	v_mov_b32_e32 v39, s95
	v_add_f32_e32 v41, v40, v124
	v_cndmask_b32_e64 v79, v39, v40, s[16:17]
	v_sub_f32_e32 v40, v43, v38
	v_cndmask_b32_e64 v39, v124, v41, s[16:17]
	v_mul_f32_e32 v41, 0x3fb8aa3b, v40
	v_fma_f32 v43, v40, s85, -v41
	v_rndne_f32_e32 v44, v41
	v_fmac_f32_e32 v43, 0x32a5705f, v40
	v_sub_f32_e32 v41, v41, v44
	v_add_f32_e32 v41, v41, v43
	v_exp_f32_e32 v41, v41
	v_cvt_i32_f32_e32 v43, v44
	v_cmp_ngt_f32_e32 vcc, s8, v40
	s_addc_u32 s31, s76, s31
	buffer_store_dword v127, off, s[0:3], 0
	buffer_store_dword v127, off, s[0:3], 0 offset:4
	buffer_store_dword v127, off, s[0:3], 0 offset:8
	;; [unrolled: 1-line block ×3, first 2 shown]
	v_ldexp_f32 v41, v41, v43
	v_cndmask_b32_e32 v41, 0, v41, vcc
	v_cmp_nlt_f32_e32 vcc, s9, v40
	v_cndmask_b32_e32 v41, v251, v41, vcc
	v_add_f32_e32 v43, v39, v41
	v_mov_b32_e32 v40, s95
	v_cndmask_b32_e64 v125, v40, v41, s[18:19]
	v_cndmask_b32_e64 v40, v39, v43, s[18:19]
	v_sub_f32_e32 v39, v42, v38
	v_mul_f32_e32 v41, 0x3fb8aa3b, v39
	v_fma_f32 v42, v39, s85, -v41
	v_rndne_f32_e32 v43, v41
	v_fmac_f32_e32 v42, 0x32a5705f, v39
	v_sub_f32_e32 v41, v41, v43
	v_add_f32_e32 v41, v41, v42
	v_exp_f32_e32 v41, v41
	v_cvt_i32_f32_e32 v42, v43
	v_cmp_ngt_f32_e32 vcc, s8, v39
	s_add_i32 s46, s46, 1
	s_add_i32 s42, s42, 64
	v_ldexp_f32 v41, v41, v42
	v_cndmask_b32_e32 v41, 0, v41, vcc
	v_cmp_nlt_f32_e32 vcc, s9, v39
	v_cndmask_b32_e32 v41, v251, v41, vcc
	v_add_f32_e32 v42, v40, v41
	v_mov_b32_e32 v39, s95
	v_cndmask_b32_e64 v128, v39, v41, s[20:21]
	v_cndmask_b32_e64 v39, v40, v42, s[20:21]
	v_mul_f32_e32 v40, 0x3fb8aa3b, v34
	v_fma_f32 v41, v34, s85, -v40
	v_rndne_f32_e32 v42, v40
	v_fmac_f32_e32 v41, 0x32a5705f, v34
	v_sub_f32_e32 v40, v40, v42
	v_add_f32_e32 v40, v40, v41
	v_exp_f32_e32 v40, v40
	v_cvt_i32_f32_e32 v41, v42
	v_cmp_ngt_f32_e32 vcc, s8, v34
	s_cmp_lt_i32 s46, s44
	v_ldexp_f32 v40, v40, v41
	v_cndmask_b32_e32 v40, 0, v40, vcc
	v_cmp_nlt_f32_e32 vcc, s9, v34
	v_cndmask_b32_e32 v40, v251, v40, vcc
	v_add_f32_e32 v41, v40, v39
	v_mov_b32_e32 v34, s95
	v_cndmask_b32_e64 v141, v34, v40, s[22:23]
	v_cndmask_b32_e64 v34, v39, v41, s[22:23]
	v_mul_f32_e32 v39, 0x3fb8aa3b, v35
	v_fma_f32 v40, v35, s85, -v39
	v_rndne_f32_e32 v41, v39
	v_fmac_f32_e32 v40, 0x32a5705f, v35
	v_sub_f32_e32 v39, v39, v41
	v_add_f32_e32 v39, v39, v40
	v_exp_f32_e32 v39, v39
	v_cvt_i32_f32_e32 v40, v41
	v_cmp_ngt_f32_e32 vcc, s8, v35
	v_ldexp_f32 v39, v39, v40
	v_cndmask_b32_e32 v39, 0, v39, vcc
	v_cmp_nlt_f32_e32 vcc, s9, v35
	v_cndmask_b32_e32 v39, v251, v39, vcc
	v_add_f32_e32 v40, v39, v34
	v_mov_b32_e32 v35, s95
	v_cndmask_b32_e64 v143, v35, v39, s[24:25]
	v_cndmask_b32_e64 v35, v34, v40, s[24:25]
	v_sub_f32_e32 v34, v36, v38
	v_mul_f32_e32 v36, 0x3fb8aa3b, v34
	v_fma_f32 v39, v34, s85, -v36
	v_rndne_f32_e32 v40, v36
	v_fmac_f32_e32 v39, 0x32a5705f, v34
	v_sub_f32_e32 v36, v36, v40
	v_add_f32_e32 v36, v36, v39
	v_exp_f32_e32 v36, v36
	v_cvt_i32_f32_e32 v39, v40
	v_cmp_ngt_f32_e32 vcc, s8, v34
	v_ldexp_f32 v36, v36, v39
	v_cndmask_b32_e32 v36, 0, v36, vcc
	v_cmp_nlt_f32_e32 vcc, s9, v34
	v_cndmask_b32_e32 v36, v251, v36, vcc
	v_add_f32_e32 v39, v36, v35
	v_mov_b32_e32 v34, s95
	v_cndmask_b32_e64 v182, v34, v36, s[26:27]
	v_cndmask_b32_e64 v34, v35, v39, s[26:27]
	v_sub_f32_e32 v35, v37, v38
	v_mul_f32_e32 v36, 0x3fb8aa3b, v35
	v_fma_f32 v37, v35, s85, -v36
	v_rndne_f32_e32 v39, v36
	v_fmac_f32_e32 v37, 0x32a5705f, v35
	v_sub_f32_e32 v36, v36, v39
	v_add_f32_e32 v36, v36, v37
	v_exp_f32_e32 v36, v36
	v_cvt_i32_f32_e32 v37, v39
	v_cmp_ngt_f32_e32 vcc, s8, v35
	v_ldexp_f32 v36, v36, v37
	v_cndmask_b32_e32 v36, 0, v36, vcc
	v_cmp_nlt_f32_e32 vcc, s9, v35
	v_cndmask_b32_e32 v36, v251, v36, vcc
	v_add_f32_e32 v37, v36, v34
	v_mov_b32_e32 v35, s95
	v_cndmask_b32_e64 v39, v34, v37, s[28:29]
	v_sub_f32_e32 v34, v123, v38
	v_cndmask_b32_e64 v35, v35, v36, s[28:29]
	v_mul_f32_e32 v36, 0x3fb8aa3b, v34
	v_fma_f32 v37, v34, s85, -v36
	v_rndne_f32_e32 v40, v36
	v_fmac_f32_e32 v37, 0x32a5705f, v34
	v_sub_f32_e32 v36, v36, v40
	v_add_f32_e32 v36, v36, v37
	v_exp_f32_e32 v36, v36
	v_cvt_i32_f32_e32 v37, v40
	v_cmp_ngt_f32_e32 vcc, s8, v34
	v_cvt_f16_f32_e32 v35, v35
	v_mov_b32_e32 v123, s31
	v_ldexp_f32 v36, v36, v37
	v_cndmask_b32_e32 v36, 0, v36, vcc
	v_cmp_nlt_f32_e32 vcc, s9, v34
	v_cndmask_b32_e32 v36, v251, v36, vcc
	v_cmp_le_f32_e32 vcc, s70, v34
	v_cndmask_b32_e32 v34, 0, v36, vcc
	v_fmac_f32_e32 v39, v122, v34
	v_cvt_f16_f32_e32 v34, v34
	v_cvt_f16_f32_e32 v36, v79
	v_cvt_f16_f32_e32 v37, v128
	v_cvt_f16_f32_e32 v79, v143
	v_pk_mul_f16 v105, v34, v105 op_sel_hi:[0,1]
	v_pk_mul_f16 v104, v34, v104 op_sel_hi:[0,1]
	;; [unrolled: 1-line block ×32, first 2 shown]
	v_cvt_f16_f32_e32 v34, v124
	v_mov_b32_e32 v114, s31
	v_mov_b32_e32 v120, s37
	;; [unrolled: 1-line block ×3, first 2 shown]
	v_pack_b32_f16 v36, v34, v36
	v_cvt_f16_f32_e32 v34, v125
	v_pack_b32_f16 v37, v34, v37
	v_cvt_f16_f32_e32 v34, v141
	;; [unrolled: 2-line block ×3, first 2 shown]
	v_pack_b32_f16 v35, v79, v35
	v_add_co_u32_e32 v79, vcc, s30, v62
	v_addc_co_u32_e32 v114, vcc, v114, v63, vcc
	v_add_co_u32_e32 v79, vcc, v79, v121
	v_addc_co_u32_e32 v114, vcc, 0, v114, vcc
	v_cndmask_b32_e64 v115, v120, v114, s[6:7]
	v_cndmask_b32_e64 v114, v122, v79, s[6:7]
	v_add_co_u32_e32 v79, vcc, s30, v64
	v_addc_co_u32_e32 v123, vcc, v123, v65, vcc
	v_add_co_u32_e32 v79, vcc, v79, v121
	v_addc_co_u32_e32 v123, vcc, 0, v123, vcc
	v_cndmask_b32_e64 v125, v120, v123, s[88:89]
	v_cndmask_b32_e64 v124, v122, v79, s[88:89]
	v_add_co_u32_e32 v79, vcc, s30, v66
	v_mov_b32_e32 v123, s31
	v_addc_co_u32_e32 v123, vcc, v123, v67, vcc
	v_add_co_u32_e32 v79, vcc, v79, v121
	v_addc_co_u32_e32 v123, vcc, 0, v123, vcc
	v_cndmask_b32_e64 v141, v120, v123, s[10:11]
	v_cndmask_b32_e64 v140, v122, v79, s[10:11]
	v_add_co_u32_e32 v79, vcc, s30, v68
	v_mov_b32_e32 v123, s31
	v_addc_co_u32_e32 v123, vcc, v123, v69, vcc
	v_add_co_u32_e32 v79, vcc, v79, v121
	v_addc_co_u32_e32 v121, vcc, 0, v123, vcc
	v_cndmask_b32_e64 v143, v120, v121, s[12:13]
	v_cndmask_b32_e64 v142, v122, v79, s[12:13]
	flat_load_dwordx4 v[120:123], v[114:115]
	v_add_u32_e32 v79, v146, v178
	s_waitcnt vmcnt(0) lgkmcnt(0)
	ds_write_b128 v132, v[120:123]
	flat_load_dwordx4 v[120:123], v[124:125]
	s_waitcnt vmcnt(0) lgkmcnt(0)
	ds_write_b128 v134, v[120:123]
	flat_load_dwordx4 v[120:123], v[140:141]
	s_waitcnt vmcnt(0) lgkmcnt(0)
	ds_write_b128 v136, v[120:123]
	flat_load_dwordx4 v[120:123], v[142:143]
	s_waitcnt vmcnt(0) lgkmcnt(0)
	ds_write_b128 v138, v[120:123]
	s_waitcnt lgkmcnt(0)
	s_barrier
	ds_read_u16 v124, v79 offset:528
	ds_read_u16 v115, v181 offset:1056
	v_add_u32_e32 v79, v146, v179
	v_cvt_f32_f16_e32 v122, v104
	v_cvt_f32_f16_sdwa v123, v104 dst_sel:DWORD dst_unused:UNUSED_PAD src0_sel:WORD_1
	ds_read_u16 v104, v79
	ds_read_u16 v114, v79 offset:32
	v_cvt_f32_f16_e32 v120, v105
	v_cvt_f32_f16_sdwa v121, v105 dst_sel:DWORD dst_unused:UNUSED_PAD src0_sel:WORD_1
	s_waitcnt lgkmcnt(1)
	v_perm_b32 v105, v104, v115, s71
	ds_read_u16 v104, v180
	ds_read_u16 v115, v180 offset:32
	s_waitcnt lgkmcnt(1)
	v_perm_b32 v104, v124, v104, s71
	s_nop 1
	v_mfma_f32_16x16x16f16 v[120:123], v[104:105], v[36:37], v[120:123]
	ds_read_u16 v124, v180 offset:16896
	s_nop 7
	s_nop 1
	v_cvt_f16_f32_e32 v104, v120
	v_add_u32_e32 v120, v147, v178
	ds_read_u16 v125, v120 offset:528
	ds_read_u16 v128, v232 offset:1056
	;; [unrolled: 1-line block ×3, first 2 shown]
	v_cvt_f16_f32_e32 v105, v121
	v_cvt_f16_f32_e32 v122, v122
	;; [unrolled: 1-line block ×3, first 2 shown]
	v_cvt_f32_f16_e32 v120, v104
	v_cvt_f32_f16_e32 v121, v105
	s_waitcnt lgkmcnt(0)
	v_perm_b32 v105, v131, v128, s71
	v_perm_b32 v104, v125, v124, s71
	v_cvt_f32_f16_e32 v122, v122
	v_cvt_f32_f16_e32 v123, v123
	s_nop 1
	v_mfma_f32_16x16x16f16 v[120:123], v[104:105], v[34:35], v[120:123]
	s_nop 7
	s_nop 2
	v_cvt_f16_f32_e32 v104, v120
	v_cvt_f16_f32_e32 v105, v121
	;; [unrolled: 1-line block ×4, first 2 shown]
	v_cvt_f32_f16_e32 v122, v106
	v_pack_b32_f16 v105, v104, v105
	v_cvt_f32_f16_sdwa v123, v106 dst_sel:DWORD dst_unused:UNUSED_PAD src0_sel:WORD_1
	v_pack_b32_f16 v104, v120, v121
	v_add_u32_e32 v120, v148, v178
	ds_read_u16 v124, v120 offset:528
	ds_read_u16 v125, v248 offset:1056
	v_cvt_f32_f16_e32 v120, v107
	v_cvt_f32_f16_sdwa v121, v107 dst_sel:DWORD dst_unused:UNUSED_PAD src0_sel:WORD_1
	s_waitcnt lgkmcnt(1)
	v_perm_b32 v106, v124, v115, s71
	s_waitcnt lgkmcnt(0)
	v_perm_b32 v107, v114, v125, s71
	ds_read_u16 v124, v184 offset:16896
	s_nop 0
	v_mfma_f32_16x16x16f16 v[120:123], v[106:107], v[36:37], v[120:123]
	s_nop 7
	s_nop 2
	v_cvt_f16_f32_e32 v106, v120
	v_add_u32_e32 v120, v149, v178
	ds_read_u16 v125, v120 offset:528
	ds_read_u16 v128, v185 offset:1056
	v_add_u32_e32 v120, v148, v179
	ds_read_u16 v131, v120 offset:16896
	v_cvt_f16_f32_e32 v107, v121
	v_cvt_f16_f32_e32 v114, v122
	v_cvt_f16_f32_e32 v115, v123
	v_cvt_f32_f16_e32 v120, v106
	v_cvt_f32_f16_e32 v121, v107
	s_waitcnt lgkmcnt(0)
	v_perm_b32 v107, v131, v128, s71
	v_perm_b32 v106, v125, v124, s71
	v_cvt_f32_f16_e32 v122, v114
	v_cvt_f32_f16_e32 v123, v115
	s_nop 1
	v_mfma_f32_16x16x16f16 v[120:123], v[106:107], v[34:35], v[120:123]
	s_nop 7
	s_nop 2
	v_cvt_f16_f32_e32 v106, v120
	v_cvt_f16_f32_e32 v107, v121
	v_cvt_f16_f32_e32 v114, v122
	v_cvt_f16_f32_e32 v115, v123
	v_cvt_f32_f16_e32 v120, v109
	v_pack_b32_f16 v107, v106, v107
	v_cvt_f32_f16_sdwa v121, v109 dst_sel:DWORD dst_unused:UNUSED_PAD src0_sel:WORD_1
	v_pack_b32_f16 v106, v114, v115
	v_add_u32_e32 v115, v150, v178
	ds_read_u16 v114, v180 offset:64
	ds_read_u16 v115, v115 offset:528
	ds_read_u16 v124, v186 offset:1056
	ds_read_u16 v125, v79 offset:64
	v_cvt_f32_f16_e32 v122, v108
	v_cvt_f32_f16_sdwa v123, v108 dst_sel:DWORD dst_unused:UNUSED_PAD src0_sel:WORD_1
	s_waitcnt lgkmcnt(2)
	v_perm_b32 v108, v115, v114, s71
	s_waitcnt lgkmcnt(0)
	v_perm_b32 v109, v125, v124, s71
	ds_read_u16 v124, v187 offset:16896
	s_nop 0
	v_mfma_f32_16x16x16f16 v[120:123], v[108:109], v[36:37], v[120:123]
	s_nop 7
	s_nop 2
	v_cvt_f16_f32_e32 v108, v120
	v_add_u32_e32 v120, v151, v178
	ds_read_u16 v125, v120 offset:528
	ds_read_u16 v128, v188 offset:1056
	v_add_u32_e32 v120, v150, v179
	ds_read_u16 v131, v120 offset:16896
	v_cvt_f16_f32_e32 v109, v121
	v_cvt_f16_f32_e32 v114, v122
	v_cvt_f16_f32_e32 v115, v123
	v_cvt_f32_f16_e32 v120, v108
	v_cvt_f32_f16_e32 v121, v109
	s_waitcnt lgkmcnt(0)
	v_perm_b32 v109, v131, v128, s71
	v_perm_b32 v108, v125, v124, s71
	v_cvt_f32_f16_e32 v122, v114
	v_cvt_f32_f16_e32 v123, v115
	s_nop 1
	v_mfma_f32_16x16x16f16 v[120:123], v[108:109], v[34:35], v[120:123]
	s_nop 7
	s_nop 2
	v_cvt_f16_f32_e32 v108, v120
	v_cvt_f16_f32_e32 v109, v121
	v_cvt_f16_f32_e32 v114, v122
	v_cvt_f16_f32_e32 v115, v123
	v_cvt_f32_f16_e32 v120, v111
	v_pack_b32_f16 v109, v108, v109
	v_cvt_f32_f16_sdwa v121, v111 dst_sel:DWORD dst_unused:UNUSED_PAD src0_sel:WORD_1
	v_pack_b32_f16 v108, v114, v115
	v_add_u32_e32 v115, v152, v178
	ds_read_u16 v114, v180 offset:96
	ds_read_u16 v115, v115 offset:528
	;; [unrolled: 44-line block ×3, first 2 shown]
	ds_read_u16 v115, v192 offset:1056
	ds_read_u16 v125, v79 offset:128
	v_cvt_f32_f16_e32 v122, v52
	v_cvt_f32_f16_sdwa v123, v52 dst_sel:DWORD dst_unused:UNUSED_PAD src0_sel:WORD_1
	s_waitcnt lgkmcnt(2)
	v_perm_b32 v114, v124, v114, s71
	s_waitcnt lgkmcnt(0)
	v_perm_b32 v115, v125, v115, s71
	ds_read_u16 v124, v193 offset:16896
	s_nop 0
	v_mfma_f32_16x16x16f16 v[120:123], v[114:115], v[36:37], v[120:123]
	s_nop 7
	s_nop 2
	v_cvt_f16_f32_e32 v52, v120
	v_add_u32_e32 v120, v155, v178
	ds_read_u16 v125, v120 offset:528
	ds_read_u16 v128, v194 offset:1056
	v_add_u32_e32 v120, v154, v179
	ds_read_u16 v131, v120 offset:16896
	v_cvt_f16_f32_e32 v114, v122
	v_cvt_f16_f32_e32 v115, v123
	;; [unrolled: 1-line block ×3, first 2 shown]
	v_cvt_f32_f16_e32 v120, v52
	v_cvt_f32_f16_e32 v122, v114
	;; [unrolled: 1-line block ×3, first 2 shown]
	s_waitcnt lgkmcnt(0)
	v_perm_b32 v115, v131, v128, s71
	v_perm_b32 v114, v125, v124, s71
	v_cvt_f32_f16_e32 v121, v112
	s_nop 1
	v_mfma_f32_16x16x16f16 v[120:123], v[114:115], v[34:35], v[120:123]
	s_nop 7
	s_nop 2
	v_cvt_f16_f32_e32 v52, v120
	v_cvt_f16_f32_e32 v112, v121
	v_cvt_f16_f32_e32 v114, v122
	v_cvt_f16_f32_e32 v115, v123
	v_cvt_f32_f16_e32 v120, v116
	v_pack_b32_f16 v112, v52, v112
	v_cvt_f32_f16_sdwa v121, v116 dst_sel:DWORD dst_unused:UNUSED_PAD src0_sel:WORD_1
	v_pack_b32_f16 v52, v114, v115
	v_add_u32_e32 v115, v156, v178
	ds_read_u16 v114, v180 offset:160
	ds_read_u16 v124, v115 offset:528
	;; [unrolled: 1-line block ×4, first 2 shown]
	v_cvt_f32_f16_e32 v122, v113
	v_cvt_f32_f16_sdwa v123, v113 dst_sel:DWORD dst_unused:UNUSED_PAD src0_sel:WORD_1
	s_waitcnt lgkmcnt(2)
	v_perm_b32 v114, v124, v114, s71
	s_waitcnt lgkmcnt(0)
	v_perm_b32 v115, v125, v115, s71
	ds_read_u16 v124, v196 offset:16896
	s_nop 0
	v_mfma_f32_16x16x16f16 v[120:123], v[114:115], v[36:37], v[120:123]
	s_nop 7
	s_nop 2
	v_cvt_f16_f32_e32 v113, v120
	v_add_u32_e32 v120, v157, v178
	ds_read_u16 v125, v120 offset:528
	ds_read_u16 v128, v197 offset:1056
	v_add_u32_e32 v120, v156, v179
	ds_read_u16 v131, v120 offset:16896
	v_cvt_f16_f32_e32 v114, v121
	v_cvt_f16_f32_e32 v115, v122
	;; [unrolled: 1-line block ×3, first 2 shown]
	v_cvt_f32_f16_e32 v120, v113
	v_cvt_f32_f16_e32 v121, v114
	;; [unrolled: 1-line block ×3, first 2 shown]
	s_waitcnt lgkmcnt(0)
	v_perm_b32 v115, v131, v128, s71
	v_perm_b32 v114, v125, v124, s71
	v_cvt_f32_f16_e32 v123, v116
	s_nop 1
	v_mfma_f32_16x16x16f16 v[120:123], v[114:115], v[34:35], v[120:123]
	s_nop 7
	s_nop 2
	v_cvt_f16_f32_e32 v113, v120
	v_cvt_f16_f32_e32 v114, v121
	;; [unrolled: 1-line block ×4, first 2 shown]
	v_cvt_f32_f16_sdwa v121, v118 dst_sel:DWORD dst_unused:UNUSED_PAD src0_sel:WORD_1
	v_pack_b32_f16 v116, v113, v114
	ds_read_u16 v114, v180 offset:192
	v_pack_b32_f16 v113, v115, v120
	v_add_u32_e32 v115, v158, v178
	ds_read_u16 v124, v115 offset:528
	ds_read_u16 v115, v198 offset:1056
	;; [unrolled: 1-line block ×3, first 2 shown]
	v_cvt_f32_f16_e32 v120, v118
	v_cvt_f32_f16_e32 v122, v117
	s_waitcnt lgkmcnt(2)
	v_perm_b32 v114, v124, v114, s71
	v_cvt_f32_f16_sdwa v123, v117 dst_sel:DWORD dst_unused:UNUSED_PAD src0_sel:WORD_1
	s_waitcnt lgkmcnt(0)
	v_perm_b32 v115, v125, v115, s71
	ds_read_u16 v124, v199 offset:16896
	s_nop 0
	v_mfma_f32_16x16x16f16 v[120:123], v[114:115], v[36:37], v[120:123]
	s_nop 7
	s_nop 2
	v_cvt_f16_f32_e32 v114, v120
	v_add_u32_e32 v120, v159, v178
	ds_read_u16 v125, v120 offset:528
	ds_read_u16 v128, v200 offset:1056
	v_add_u32_e32 v120, v158, v179
	ds_read_u16 v131, v120 offset:16896
	v_cvt_f16_f32_e32 v115, v121
	v_cvt_f16_f32_e32 v117, v122
	;; [unrolled: 1-line block ×3, first 2 shown]
	v_cvt_f32_f16_e32 v120, v114
	v_cvt_f32_f16_e32 v121, v115
	s_waitcnt lgkmcnt(0)
	v_perm_b32 v115, v131, v128, s71
	v_perm_b32 v114, v125, v124, s71
	v_cvt_f32_f16_e32 v122, v117
	v_cvt_f32_f16_e32 v123, v118
	s_nop 1
	v_mfma_f32_16x16x16f16 v[120:123], v[114:115], v[34:35], v[120:123]
	s_nop 7
	s_nop 2
	v_cvt_f16_f32_e32 v114, v120
	v_cvt_f16_f32_e32 v115, v121
	;; [unrolled: 1-line block ×4, first 2 shown]
	v_cvt_f32_f16_sdwa v121, v229 dst_sel:DWORD dst_unused:UNUSED_PAD src0_sel:WORD_1
	v_pack_b32_f16 v118, v114, v115
	v_add_u32_e32 v115, v160, v178
	ds_read_u16 v114, v180 offset:224
	ds_read_u16 v124, v115 offset:528
	;; [unrolled: 1-line block ×4, first 2 shown]
	v_pack_b32_f16 v117, v117, v120
	v_cvt_f32_f16_e32 v120, v229
	v_cvt_f32_f16_e32 v122, v228
	s_waitcnt lgkmcnt(2)
	v_perm_b32 v114, v124, v114, s71
	s_waitcnt lgkmcnt(0)
	v_perm_b32 v115, v125, v115, s71
	v_cvt_f32_f16_sdwa v123, v228 dst_sel:DWORD dst_unused:UNUSED_PAD src0_sel:WORD_1
	ds_read_u16 v124, v202 offset:16896
	s_nop 0
	v_mfma_f32_16x16x16f16 v[120:123], v[114:115], v[36:37], v[120:123]
	s_nop 7
	s_nop 2
	v_cvt_f16_f32_e32 v114, v120
	v_add_u32_e32 v120, v161, v178
	ds_read_u16 v125, v120 offset:528
	ds_read_u16 v128, v203 offset:1056
	v_add_u32_e32 v120, v160, v179
	ds_read_u16 v131, v120 offset:16896
	v_cvt_f16_f32_e32 v115, v121
	v_cvt_f16_f32_e32 v122, v122
	v_cvt_f16_f32_e32 v123, v123
	v_cvt_f32_f16_e32 v120, v114
	v_cvt_f32_f16_e32 v121, v115
	s_waitcnt lgkmcnt(0)
	v_perm_b32 v115, v131, v128, s71
	v_perm_b32 v114, v125, v124, s71
	v_cvt_f32_f16_e32 v122, v122
	v_cvt_f32_f16_e32 v123, v123
	s_nop 1
	v_mfma_f32_16x16x16f16 v[120:123], v[114:115], v[34:35], v[120:123]
	s_nop 7
	s_nop 2
	v_cvt_f16_f32_e32 v114, v120
	v_cvt_f16_f32_e32 v115, v121
	v_cvt_f16_f32_e32 v120, v122
	v_cvt_f16_f32_e32 v121, v123
	v_cvt_f32_f16_e32 v122, v133
	v_pack_b32_f16 v229, v114, v115
	v_add_u32_e32 v115, v162, v178
	ds_read_u16 v114, v180 offset:256
	ds_read_u16 v124, v115 offset:528
	ds_read_u16 v115, v204 offset:1056
	ds_read_u16 v125, v79 offset:256
	v_pack_b32_f16 v228, v120, v121
	v_cvt_f32_f16_e32 v120, v135
	v_cvt_f32_f16_sdwa v121, v135 dst_sel:DWORD dst_unused:UNUSED_PAD src0_sel:WORD_1
	s_waitcnt lgkmcnt(2)
	v_perm_b32 v114, v124, v114, s71
	s_waitcnt lgkmcnt(0)
	v_perm_b32 v115, v125, v115, s71
	v_cvt_f32_f16_sdwa v123, v133 dst_sel:DWORD dst_unused:UNUSED_PAD src0_sel:WORD_1
	ds_read_u16 v124, v205 offset:16896
	s_nop 0
	v_mfma_f32_16x16x16f16 v[120:123], v[114:115], v[36:37], v[120:123]
	s_nop 7
	s_nop 2
	v_cvt_f16_f32_e32 v114, v120
	v_add_u32_e32 v120, v163, v178
	ds_read_u16 v125, v120 offset:528
	ds_read_u16 v128, v206 offset:1056
	v_add_u32_e32 v120, v162, v179
	ds_read_u16 v131, v120 offset:16896
	v_cvt_f16_f32_e32 v115, v121
	v_cvt_f16_f32_e32 v122, v122
	v_cvt_f16_f32_e32 v123, v123
	v_cvt_f32_f16_e32 v120, v114
	v_cvt_f32_f16_e32 v121, v115
	s_waitcnt lgkmcnt(0)
	v_perm_b32 v115, v131, v128, s71
	v_perm_b32 v114, v125, v124, s71
	v_cvt_f32_f16_e32 v122, v122
	v_cvt_f32_f16_e32 v123, v123
	s_nop 1
	v_mfma_f32_16x16x16f16 v[120:123], v[114:115], v[34:35], v[120:123]
	s_nop 7
	s_nop 2
	v_cvt_f16_f32_e32 v114, v120
	v_cvt_f16_f32_e32 v115, v121
	v_cvt_f16_f32_e32 v120, v122
	v_cvt_f16_f32_e32 v121, v123
	v_cvt_f32_f16_e32 v122, v137
	v_pack_b32_f16 v135, v114, v115
	v_add_u32_e32 v115, v164, v178
	ds_read_u16 v114, v180 offset:288
	ds_read_u16 v124, v115 offset:528
	ds_read_u16 v115, v207 offset:1056
	ds_read_u16 v125, v79 offset:288
	v_pack_b32_f16 v133, v120, v121
	v_cvt_f32_f16_e32 v120, v233
	v_cvt_f32_f16_sdwa v121, v233 dst_sel:DWORD dst_unused:UNUSED_PAD src0_sel:WORD_1
	s_waitcnt lgkmcnt(2)
	v_perm_b32 v114, v124, v114, s71
	s_waitcnt lgkmcnt(0)
	v_perm_b32 v115, v125, v115, s71
	v_cvt_f32_f16_sdwa v123, v137 dst_sel:DWORD dst_unused:UNUSED_PAD src0_sel:WORD_1
	ds_read_u16 v124, v208 offset:16896
	s_nop 0
	v_mfma_f32_16x16x16f16 v[120:123], v[114:115], v[36:37], v[120:123]
	s_nop 7
	s_nop 2
	v_cvt_f16_f32_e32 v114, v120
	v_add_u32_e32 v120, v165, v178
	ds_read_u16 v125, v120 offset:528
	ds_read_u16 v128, v209 offset:1056
	v_add_u32_e32 v120, v164, v179
	ds_read_u16 v131, v120 offset:16896
	v_cvt_f16_f32_e32 v115, v121
	v_cvt_f16_f32_e32 v122, v122
	v_cvt_f16_f32_e32 v123, v123
	v_cvt_f32_f16_e32 v120, v114
	v_cvt_f32_f16_e32 v121, v115
	s_waitcnt lgkmcnt(0)
	v_perm_b32 v115, v131, v128, s71
	v_perm_b32 v114, v125, v124, s71
	v_cvt_f32_f16_e32 v122, v122
	v_cvt_f32_f16_e32 v123, v123
	s_nop 1
	v_mfma_f32_16x16x16f16 v[120:123], v[114:115], v[34:35], v[120:123]
	s_nop 7
	s_nop 2
	v_cvt_f16_f32_e32 v114, v120
	v_cvt_f16_f32_e32 v115, v121
	v_cvt_f16_f32_e32 v120, v122
	v_cvt_f16_f32_e32 v121, v123
	v_cvt_f32_f16_e32 v122, v234
	v_pack_b32_f16 v233, v114, v115
	v_add_u32_e32 v115, v166, v178
	ds_read_u16 v114, v180 offset:320
	ds_read_u16 v124, v115 offset:528
	ds_read_u16 v115, v210 offset:1056
	ds_read_u16 v125, v79 offset:320
	v_pack_b32_f16 v137, v120, v121
	v_cvt_f32_f16_e32 v120, v235
	v_cvt_f32_f16_sdwa v121, v235 dst_sel:DWORD dst_unused:UNUSED_PAD src0_sel:WORD_1
	s_waitcnt lgkmcnt(2)
	v_perm_b32 v114, v124, v114, s71
	s_waitcnt lgkmcnt(0)
	v_perm_b32 v115, v125, v115, s71
	v_cvt_f32_f16_sdwa v123, v234 dst_sel:DWORD dst_unused:UNUSED_PAD src0_sel:WORD_1
	ds_read_u16 v124, v211 offset:16896
	s_nop 0
	v_mfma_f32_16x16x16f16 v[120:123], v[114:115], v[36:37], v[120:123]
	s_nop 7
	s_nop 2
	v_cvt_f16_f32_e32 v114, v120
	v_add_u32_e32 v120, v167, v178
	ds_read_u16 v125, v120 offset:528
	ds_read_u16 v128, v212 offset:1056
	v_add_u32_e32 v120, v166, v179
	ds_read_u16 v131, v120 offset:16896
	v_cvt_f16_f32_e32 v115, v121
	v_cvt_f16_f32_e32 v122, v122
	v_cvt_f16_f32_e32 v123, v123
	v_cvt_f32_f16_e32 v120, v114
	v_cvt_f32_f16_e32 v121, v115
	s_waitcnt lgkmcnt(0)
	v_perm_b32 v115, v131, v128, s71
	v_perm_b32 v114, v125, v124, s71
	v_cvt_f32_f16_e32 v122, v122
	v_cvt_f32_f16_e32 v123, v123
	s_nop 1
	v_mfma_f32_16x16x16f16 v[120:123], v[114:115], v[34:35], v[120:123]
	s_nop 7
	s_nop 2
	v_cvt_f16_f32_e32 v114, v120
	v_cvt_f16_f32_e32 v115, v121
	v_cvt_f16_f32_e32 v120, v122
	v_cvt_f16_f32_e32 v121, v123
	v_cvt_f32_f16_e32 v122, v48
	v_pack_b32_f16 v235, v114, v115
	v_add_u32_e32 v115, v168, v178
	ds_read_u16 v114, v180 offset:352
	ds_read_u16 v115, v115 offset:528
	ds_read_u16 v124, v213 offset:1056
	ds_read_u16 v125, v79 offset:352
	v_pack_b32_f16 v234, v120, v121
	v_cvt_f32_f16_e32 v120, v49
	v_cvt_f32_f16_sdwa v121, v49 dst_sel:DWORD dst_unused:UNUSED_PAD src0_sel:WORD_1
	v_cvt_f32_f16_sdwa v123, v48 dst_sel:DWORD dst_unused:UNUSED_PAD src0_sel:WORD_1
	s_waitcnt lgkmcnt(0)
	v_perm_b32 v49, v125, v124, s71
	v_perm_b32 v48, v115, v114, s71
	ds_read_u16 v124, v214 offset:16896
	s_nop 0
	v_mfma_f32_16x16x16f16 v[120:123], v[48:49], v[36:37], v[120:123]
	s_nop 7
	s_nop 2
	v_cvt_f16_f32_e32 v48, v120
	v_add_u32_e32 v120, v169, v178
	ds_read_u16 v125, v120 offset:528
	ds_read_u16 v128, v215 offset:1056
	v_add_u32_e32 v120, v168, v179
	ds_read_u16 v131, v120 offset:16896
	v_cvt_f16_f32_e32 v49, v121
	v_cvt_f16_f32_e32 v114, v122
	;; [unrolled: 1-line block ×3, first 2 shown]
	v_cvt_f32_f16_e32 v120, v48
	v_cvt_f32_f16_e32 v121, v49
	s_waitcnt lgkmcnt(0)
	v_perm_b32 v49, v131, v128, s71
	v_perm_b32 v48, v125, v124, s71
	v_cvt_f32_f16_e32 v122, v114
	v_cvt_f32_f16_e32 v123, v115
	s_nop 1
	v_mfma_f32_16x16x16f16 v[120:123], v[48:49], v[34:35], v[120:123]
	s_nop 7
	s_nop 2
	v_cvt_f16_f32_e32 v48, v120
	v_cvt_f16_f32_e32 v49, v121
	;; [unrolled: 1-line block ×4, first 2 shown]
	v_cvt_f32_f16_e32 v120, v47
	v_pack_b32_f16 v237, v48, v49
	v_add_u32_e32 v49, v170, v178
	v_pack_b32_f16 v236, v114, v115
	ds_read_u16 v48, v180 offset:384
	ds_read_u16 v49, v49 offset:528
	ds_read_u16 v114, v216 offset:1056
	ds_read_u16 v115, v79 offset:384
	v_cvt_f32_f16_sdwa v121, v47 dst_sel:DWORD dst_unused:UNUSED_PAD src0_sel:WORD_1
	v_cvt_f32_f16_e32 v122, v46
	v_cvt_f32_f16_sdwa v123, v46 dst_sel:DWORD dst_unused:UNUSED_PAD src0_sel:WORD_1
	s_waitcnt lgkmcnt(2)
	v_perm_b32 v46, v49, v48, s71
	s_waitcnt lgkmcnt(0)
	v_perm_b32 v47, v115, v114, s71
	v_add_u32_e32 v115, v171, v178
	ds_read_u16 v114, v217 offset:16896
	v_mfma_f32_16x16x16f16 v[46:49], v[46:47], v[36:37], v[120:123]
	s_nop 6
	ds_read_u16 v120, v115 offset:528
	ds_read_u16 v115, v218 offset:1056
	v_add_u32_e32 v121, v170, v179
	ds_read_u16 v121, v121 offset:16896
	s_waitcnt lgkmcnt(2)
	v_perm_b32 v114, v120, v114, s71
	v_cvt_f16_f32_e32 v46, v46
	v_cvt_f16_f32_e32 v47, v47
	;; [unrolled: 1-line block ×4, first 2 shown]
	s_waitcnt lgkmcnt(0)
	v_perm_b32 v115, v121, v115, s71
	v_cvt_f32_f16_e32 v46, v46
	v_cvt_f32_f16_e32 v47, v47
	;; [unrolled: 1-line block ×4, first 2 shown]
	s_nop 1
	v_mfma_f32_16x16x16f16 v[46:49], v[114:115], v[34:35], v[46:49]
	ds_read_u16 v114, v180 offset:416
	s_nop 7
	s_nop 1
	v_cvt_f16_f32_e32 v46, v46
	v_cvt_f16_f32_e32 v47, v47
	;; [unrolled: 1-line block ×4, first 2 shown]
	v_pack_b32_f16 v144, v46, v47
	v_add_u32_e32 v46, v172, v178
	ds_read_u16 v115, v46 offset:528
	ds_read_u16 v120, v219 offset:1056
	;; [unrolled: 1-line block ×3, first 2 shown]
	v_pack_b32_f16 v142, v48, v49
	v_cvt_f32_f16_e32 v46, v45
	v_cvt_f32_f16_sdwa v47, v45 dst_sel:DWORD dst_unused:UNUSED_PAD src0_sel:WORD_1
	v_cvt_f32_f16_e32 v48, v44
	v_cvt_f32_f16_sdwa v49, v44 dst_sel:DWORD dst_unused:UNUSED_PAD src0_sel:WORD_1
	s_waitcnt lgkmcnt(0)
	v_perm_b32 v45, v121, v120, s71
	v_perm_b32 v44, v115, v114, s71
	v_add_u32_e32 v115, v172, v179
	s_nop 0
	v_mfma_f32_16x16x16f16 v[44:47], v[44:45], v[36:37], v[46:49]
	s_nop 6
	v_add_u32_e32 v49, v173, v178
	ds_read_u16 v48, v220 offset:16896
	ds_read_u16 v114, v49 offset:528
	;; [unrolled: 1-line block ×4, first 2 shown]
	v_cvt_f16_f32_e32 v44, v44
	v_cvt_f16_f32_e32 v45, v45
	;; [unrolled: 1-line block ×4, first 2 shown]
	s_waitcnt lgkmcnt(0)
	v_perm_b32 v49, v115, v49, s71
	v_perm_b32 v48, v114, v48, s71
	v_cvt_f32_f16_e32 v44, v44
	v_cvt_f32_f16_e32 v45, v45
	;; [unrolled: 1-line block ×4, first 2 shown]
	s_nop 1
	v_mfma_f32_16x16x16f16 v[44:47], v[48:49], v[34:35], v[44:47]
	ds_read_u16 v48, v180 offset:448
	s_nop 7
	s_nop 1
	v_cvt_f16_f32_e32 v44, v44
	v_cvt_f16_f32_e32 v45, v45
	;; [unrolled: 1-line block ×4, first 2 shown]
	v_pack_b32_f16 v231, v44, v45
	v_add_u32_e32 v44, v174, v178
	ds_read_u16 v49, v44 offset:528
	ds_read_u16 v114, v222 offset:1056
	;; [unrolled: 1-line block ×3, first 2 shown]
	v_pack_b32_f16 v131, v46, v47
	v_cvt_f32_f16_e32 v44, v43
	v_cvt_f32_f16_sdwa v45, v43 dst_sel:DWORD dst_unused:UNUSED_PAD src0_sel:WORD_1
	v_cvt_f32_f16_e32 v46, v42
	v_cvt_f32_f16_sdwa v47, v42 dst_sel:DWORD dst_unused:UNUSED_PAD src0_sel:WORD_1
	s_waitcnt lgkmcnt(0)
	v_perm_b32 v43, v115, v114, s71
	v_perm_b32 v42, v49, v48, s71
	v_add_u32_e32 v49, v174, v179
	s_nop 0
	v_mfma_f32_16x16x16f16 v[42:45], v[42:43], v[36:37], v[44:47]
	s_nop 6
	v_add_u32_e32 v47, v175, v178
	ds_read_u16 v46, v223 offset:16896
	ds_read_u16 v48, v47 offset:528
	;; [unrolled: 1-line block ×4, first 2 shown]
	v_cvt_f16_f32_e32 v42, v42
	v_cvt_f16_f32_e32 v43, v43
	;; [unrolled: 1-line block ×4, first 2 shown]
	s_waitcnt lgkmcnt(0)
	v_perm_b32 v47, v49, v47, s71
	v_perm_b32 v46, v48, v46, s71
	v_cvt_f32_f16_e32 v42, v42
	v_cvt_f32_f16_e32 v43, v43
	;; [unrolled: 1-line block ×5, first 2 shown]
	v_cvt_f32_f16_sdwa v49, v40 dst_sel:DWORD dst_unused:UNUSED_PAD src0_sel:WORD_1
	v_mfma_f32_16x16x16f16 v[42:45], v[46:47], v[34:35], v[42:45]
	v_cvt_f32_f16_e32 v46, v41
	v_cvt_f32_f16_sdwa v47, v41 dst_sel:DWORD dst_unused:UNUSED_PAD src0_sel:WORD_1
	s_nop 7
	s_nop 0
	v_cvt_f16_f32_e32 v42, v42
	v_cvt_f16_f32_e32 v43, v43
	v_cvt_f16_f32_e32 v44, v44
	v_cvt_f16_f32_e32 v45, v45
	v_pack_b32_f16 v140, v42, v43
	v_add_u32_e32 v43, v176, v178
	v_pack_b32_f16 v114, v44, v45
	ds_read_u16 v42, v180 offset:480
	ds_read_u16 v43, v43 offset:528
	;; [unrolled: 1-line block ×4, first 2 shown]
	s_waitcnt lgkmcnt(2)
	v_perm_b32 v40, v43, v42, s71
	s_waitcnt lgkmcnt(0)
	v_perm_b32 v41, v45, v44, s71
	v_add_u32_e32 v44, v176, v179
	s_nop 0
	v_mfma_f32_16x16x16f16 v[40:43], v[40:41], v[36:37], v[46:49]
	ds_read_u16 v36, v226 offset:16896
	s_nop 7
	s_nop 1
	v_cvt_f16_f32_e32 v37, v40
	v_cvt_f16_f32_e32 v40, v41
	;; [unrolled: 1-line block ×4, first 2 shown]
	v_add_u32_e32 v43, v177, v178
	ds_read_u16 v43, v43 offset:528
	ds_read_u16 v48, v227 offset:1056
	;; [unrolled: 1-line block ×3, first 2 shown]
	v_cvt_f32_f16_e32 v44, v37
	v_cvt_f32_f16_e32 v45, v40
	s_waitcnt lgkmcnt(2)
	v_perm_b32 v36, v43, v36, s71
	v_cvt_f32_f16_e32 v46, v41
	s_waitcnt lgkmcnt(0)
	v_perm_b32 v37, v49, v48, s71
	v_cvt_f32_f16_e32 v47, v42
	s_barrier
	s_nop 0
	v_mfma_f32_16x16x16f16 v[34:37], v[36:37], v[34:35], v[44:47]
	s_nop 7
	s_nop 2
	v_cvt_f16_f32_e32 v34, v34
	v_cvt_f16_f32_e32 v35, v35
	;; [unrolled: 1-line block ×4, first 2 shown]
	v_pack_b32_f16 v115, v34, v35
	v_pack_b32_f16 v120, v36, v37
	s_cbranch_scc0 .LBB30_103
; %bb.99:                               ;   in Loop: Header=BB30_63 Depth=2
	v_mov_b32_e32 v122, v39
	v_mov_b32_e32 v123, v38
	s_andn2_b64 vcc, exec, s[40:41]
	s_ashr_i32 s43, s42, 31
	s_cbranch_vccz .LBB30_58
	s_branch .LBB30_63
.LBB30_100:                             ;   in Loop: Header=BB30_63 Depth=2
                                        ; implicit-def: $vgpr42_vgpr43_vgpr44_vgpr45
                                        ; implicit-def: $vgpr34_vgpr35_vgpr36_vgpr37
	s_branch .LBB30_97
.LBB30_101:                             ;   in Loop: Header=BB30_16 Depth=1
	s_cbranch_execz .LBB30_15
	s_branch .LBB30_318
.LBB30_102:                             ;   in Loop: Header=BB30_16 Depth=1
	v_mov_b32_e32 v39, 0
	v_mov_b32_e32 v38, 0xfeffffff
	;; [unrolled: 1-line block ×33, first 2 shown]
	s_branch .LBB30_104
.LBB30_103:                             ;   in Loop: Header=BB30_16 Depth=1
	buffer_load_dword v80, off, s[0:3], 0 offset:16 ; 4-byte Folded Reload
	buffer_load_dword v81, off, s[0:3], 0 offset:20 ; 4-byte Folded Reload
	;; [unrolled: 1-line block ×17, first 2 shown]
.LBB30_104:                             ;   in Loop: Header=BB30_16 Depth=1
	s_lshl_b32 s30, s46, 6
	v_readlane_b32 s40, v254, 4
	s_sub_i32 s64, s40, s30
	s_cmp_lg_u64 s[90:91], 0
	s_cselect_b64 s[48:49], -1, 0
	s_ashr_i32 s31, s30, 31
	s_cmp_eq_u64 s[90:91], 0
	v_readlane_b32 s41, v254, 5
	s_cbranch_scc1 .LBB30_114
; %bb.105:                              ;   in Loop: Header=BB30_16 Depth=1
	s_lshl_b64 s[40:41], s[30:31], 1
	s_add_u32 s31, s90, s40
	s_addc_u32 s44, s91, s41
	s_waitcnt vmcnt(16)
	v_cmp_le_i32_e32 vcc, s64, v80
                                        ; implicit-def: $sgpr45
	s_and_saveexec_b64 s[40:41], vcc
	s_xor_b64 s[40:41], exec, s[40:41]
	s_cbranch_execz .LBB30_107
; %bb.106:                              ;   in Loop: Header=BB30_16 Depth=1
	v_add_u32_e32 v1, v129, v130
	ds_write_b16 v1, v127 offset:33792
	ds_write_b16 v1, v127 offset:34944
	s_mov_b32 s45, 0
                                        ; implicit-def: $vgpr1
                                        ; implicit-def: $vgpr51
                                        ; implicit-def: $vgpr55
                                        ; implicit-def: $vgpr57
.LBB30_107:                             ;   in Loop: Header=BB30_16 Depth=1
	s_or_saveexec_b64 s[42:43], s[40:41]
	v_lshlrev_b32_e32 v34, 1, v80
	v_mov_b32_e32 v35, s44
	v_add_co_u32_e64 v34, s[40:41], s31, v34
	v_addc_co_u32_e64 v35, s[40:41], 0, v35, s[40:41]
	v_mov_b32_e32 v36, s45
	v_mov_b32_e32 v37, s45
	s_xor_b64 exec, exec, s[42:43]
	s_cbranch_execz .LBB30_109
; %bb.108:                              ;   in Loop: Header=BB30_16 Depth=1
	v_readlane_b32 s44, v254, 10
	v_mul_hi_u32 v36, s44, v1
	v_readlane_b32 s45, v254, 11
	v_add_u32_e32 v36, v1, v36
	v_lshrrev_b32_e32 v36, s45, v36
	v_mul_lo_u32 v36, v36, s84
	v_sub_u32_e32 v1, v1, v36
	v_readlane_b32 s46, v255, 17
	v_mad_i64_i32 v[36:37], s[40:41], v1, s46, 0
	v_lshlrev_b64 v[36:37], 1, v[36:37]
	v_add_co_u32_e64 v36, s[40:41], v34, v36
	v_addc_co_u32_e64 v37, s[40:41], v35, v37, s[40:41]
	flat_load_ushort v1, v[36:37]
	v_mul_hi_u32 v36, s44, v51
	v_add_u32_e32 v36, v51, v36
	v_lshrrev_b32_e32 v36, s45, v36
	v_mul_lo_u32 v36, v36, s84
	v_sub_u32_e32 v36, v51, v36
	v_mad_i64_i32 v[36:37], s[40:41], v36, s46, 0
	v_lshlrev_b64 v[36:37], 1, v[36:37]
	v_add_co_u32_e64 v36, s[40:41], v34, v36
	v_addc_co_u32_e64 v37, s[40:41], v35, v37, s[40:41]
	flat_load_ushort v36, v[36:37]
	v_add_u32_e32 v37, v129, v130
	v_readlane_b32 s47, v255, 18
	s_waitcnt vmcnt(0) lgkmcnt(0)
	ds_write_b16 v37, v1 offset:33792
	ds_write_b16 v37, v36 offset:34944
	v_mul_hi_u32 v1, s44, v55
	v_add_u32_e32 v1, v55, v1
	v_lshrrev_b32_e32 v1, s45, v1
	v_mul_lo_u32 v1, v1, s84
	v_sub_u32_e32 v1, v55, v1
	v_mad_i64_i32 v[36:37], s[40:41], v1, s46, 0
	v_mul_hi_u32 v1, s44, v57
	v_add_u32_e32 v1, v57, v1
	v_lshrrev_b32_e32 v1, s45, v1
	v_lshlrev_b64 v[36:37], 1, v[36:37]
	v_mul_lo_u32 v1, v1, s84
	v_add_co_u32_e64 v36, s[40:41], v34, v36
	v_sub_u32_e32 v1, v57, v1
	v_addc_co_u32_e64 v37, s[40:41], v35, v37, s[40:41]
	v_mad_i64_i32 v[40:41], s[40:41], v1, s46, 0
	v_lshlrev_b64 v[40:41], 1, v[40:41]
	v_add_co_u32_e64 v40, s[40:41], v34, v40
	v_addc_co_u32_e64 v41, s[40:41], v35, v41, s[40:41]
	flat_load_ushort v36, v[36:37]
	s_nop 0
	flat_load_ushort v37, v[40:41]
.LBB30_109:                             ;   in Loop: Header=BB30_16 Depth=1
	s_or_b64 exec, exec, s[42:43]
	v_add_u32_e32 v1, v129, v130
	s_waitcnt vmcnt(0) lgkmcnt(0)
	ds_write_b16 v1, v36 offset:36096
	ds_write_b16 v1, v37 offset:37248
                                        ; implicit-def: $sgpr31
	s_and_saveexec_b64 s[40:41], vcc
	s_xor_b64 s[40:41], exec, s[40:41]
	s_cbranch_execz .LBB30_111
; %bb.110:                              ;   in Loop: Header=BB30_16 Depth=1
	ds_write_b16 v1, v127 offset:38400
	ds_write_b16 v1, v127 offset:39552
	s_mov_b32 s31, 0
                                        ; implicit-def: $vgpr53
                                        ; implicit-def: $vgpr34
                                        ; implicit-def: $vgpr35
                                        ; implicit-def: $vgpr61
                                        ; implicit-def: $vgpr98
                                        ; implicit-def: $vgpr99
.LBB30_111:                             ;   in Loop: Header=BB30_16 Depth=1
	s_or_saveexec_b64 s[40:41], s[40:41]
	v_mov_b32_e32 v36, s31
	v_mov_b32_e32 v37, s31
	s_xor_b64 exec, exec, s[40:41]
	s_cbranch_execz .LBB30_113
; %bb.112:                              ;   in Loop: Header=BB30_16 Depth=1
	v_readlane_b32 s44, v254, 10
	v_mul_hi_u32 v36, s44, v53
	v_readlane_b32 s45, v254, 11
	v_add_u32_e32 v36, v53, v36
	v_lshrrev_b32_e32 v36, s45, v36
	v_mul_lo_u32 v36, v36, s84
	v_readlane_b32 s42, v255, 17
	v_sub_u32_e32 v36, v53, v36
	v_readlane_b32 s43, v255, 18
	s_mov_b32 s46, s42
	v_mad_i64_i32 v[36:37], s[42:43], v36, s46, 0
	v_lshlrev_b64 v[36:37], 1, v[36:37]
	v_add_co_u32_e32 v36, vcc, v34, v36
	v_addc_co_u32_e32 v37, vcc, v35, v37, vcc
	flat_load_ushort v40, v[36:37]
	v_mul_hi_u32 v36, s44, v61
	v_add_u32_e32 v36, v61, v36
	v_lshrrev_b32_e32 v36, s45, v36
	v_mul_lo_u32 v36, v36, s84
	v_sub_u32_e32 v36, v61, v36
	v_mad_i64_i32 v[36:37], s[42:43], v36, s46, 0
	v_lshlrev_b64 v[36:37], 1, v[36:37]
	v_add_co_u32_e32 v36, vcc, v34, v36
	v_addc_co_u32_e32 v37, vcc, v35, v37, vcc
	flat_load_ushort v36, v[36:37]
	s_waitcnt vmcnt(0) lgkmcnt(0)
	ds_write_b16 v1, v40 offset:38400
	ds_write_b16 v1, v36 offset:39552
	v_mul_hi_u32 v36, s44, v98
	v_add_u32_e32 v36, v98, v36
	v_lshrrev_b32_e32 v36, s45, v36
	v_mul_lo_u32 v36, v36, s84
	v_sub_u32_e32 v36, v98, v36
	v_mad_i64_i32 v[36:37], s[42:43], v36, s46, 0
	v_lshlrev_b64 v[36:37], 1, v[36:37]
	v_add_co_u32_e32 v36, vcc, v34, v36
	v_addc_co_u32_e32 v37, vcc, v35, v37, vcc
	flat_load_ushort v36, v[36:37]
	v_mul_hi_u32 v37, s44, v99
	v_add_u32_e32 v37, v99, v37
	v_lshrrev_b32_e32 v37, s45, v37
	v_mul_lo_u32 v37, v37, s84
	v_sub_u32_e32 v37, v99, v37
	v_mad_i64_i32 v[40:41], s[42:43], v37, s46, 0
	v_lshlrev_b64 v[40:41], 1, v[40:41]
	v_add_co_u32_e32 v34, vcc, v34, v40
	v_addc_co_u32_e32 v35, vcc, v35, v41, vcc
	flat_load_ushort v37, v[34:35]
.LBB30_113:                             ;   in Loop: Header=BB30_16 Depth=1
	s_or_b64 exec, exec, s[40:41]
	s_waitcnt vmcnt(0) lgkmcnt(0)
	ds_write_b16 v1, v36 offset:40704
	ds_write_b16 v1, v37 offset:41856
.LBB30_114:                             ;   in Loop: Header=BB30_16 Depth=1
	s_mul_hi_i32 s41, s30, s38
	s_mul_i32 s40, s30, s38
	s_lshl_b64 s[40:41], s[40:41], 2
	s_add_u32 s31, s77, s40
	s_addc_u32 s50, s78, s41
	v_add_co_u32_e32 v1, vcc, s31, v70
	v_mov_b32_e32 v34, s50
	v_addc_co_u32_e32 v34, vcc, v34, v71, vcc
	v_lshlrev_b32_e32 v41, 2, v56
	v_add_co_u32_e32 v1, vcc, v1, v41
	s_waitcnt vmcnt(14)
	v_cmp_gt_i32_e64 s[40:41], s64, v79
	v_addc_co_u32_e32 v34, vcc, 0, v34, vcc
	v_mov_b32_e32 v40, s37
	v_mov_b32_e32 v42, s36
	buffer_store_dword v127, off, s[0:3], 0
	buffer_store_dword v127, off, s[0:3], 0 offset:4
	buffer_store_dword v127, off, s[0:3], 0 offset:8
	;; [unrolled: 1-line block ×3, first 2 shown]
	v_cndmask_b32_e64 v35, v40, v34, s[40:41]
	v_cndmask_b32_e64 v34, v42, v1, s[40:41]
	flat_load_dwordx4 v[34:37], v[34:35]
	v_add_co_u32_e32 v1, vcc, s31, v72
	s_waitcnt vmcnt(0)
	v_cmp_gt_i32_e64 s[42:43], s64, v81
	v_cmp_gt_i32_e64 s[44:45], s64, v82
	;; [unrolled: 1-line block ×3, first 2 shown]
	s_waitcnt lgkmcnt(0)
	ds_write_b128 v132, v[34:37]
	v_mov_b32_e32 v34, s50
	v_addc_co_u32_e32 v34, vcc, v34, v73, vcc
	v_add_co_u32_e32 v1, vcc, v1, v41
	v_addc_co_u32_e32 v34, vcc, 0, v34, vcc
	v_cndmask_b32_e64 v35, v40, v34, s[42:43]
	v_cndmask_b32_e64 v34, v42, v1, s[42:43]
	flat_load_dwordx4 v[34:37], v[34:35]
	v_add_co_u32_e32 v1, vcc, s31, v74
	s_waitcnt vmcnt(0) lgkmcnt(0)
	ds_write_b128 v134, v[34:37]
	v_mov_b32_e32 v34, s50
	v_addc_co_u32_e32 v34, vcc, v34, v75, vcc
	v_add_co_u32_e32 v1, vcc, v1, v41
	v_addc_co_u32_e32 v34, vcc, 0, v34, vcc
	v_cndmask_b32_e64 v35, v40, v34, s[44:45]
	v_cndmask_b32_e64 v34, v42, v1, s[44:45]
	flat_load_dwordx4 v[34:37], v[34:35]
	v_add_co_u32_e32 v1, vcc, s31, v76
	s_waitcnt vmcnt(0) lgkmcnt(0)
	ds_write_b128 v136, v[34:37]
	v_mov_b32_e32 v34, s50
	v_addc_co_u32_e32 v34, vcc, v34, v77, vcc
	v_add_co_u32_e32 v1, vcc, v1, v41
	v_addc_co_u32_e32 v34, vcc, 0, v34, vcc
	v_cndmask_b32_e64 v35, v40, v34, s[46:47]
	v_cndmask_b32_e64 v34, v42, v1, s[46:47]
	flat_load_dwordx4 v[34:37], v[34:35]
	v_add_u32_e32 v1, 0x4000, v139
	s_waitcnt vmcnt(0) lgkmcnt(0)
	ds_write_b128 v138, v[34:37]
	s_waitcnt lgkmcnt(0)
	s_barrier
	ds_read2_b64 v[34:37], v139 offset1:4
	s_waitcnt lgkmcnt(0)
	v_mfma_f32_16x16x16f16 v[42:45], v[34:35], v[30:31], 0
	v_mfma_f32_16x16x16f16 v[34:37], v[36:37], v[32:33], v[42:45]
	s_nop 7
	s_nop 1
	ds_read2_b64 v[42:45], v139 offset0:8 offset1:12
	s_waitcnt lgkmcnt(0)
	v_mfma_f32_16x16x16f16 v[34:37], v[42:43], v[26:27], v[34:37]
	v_mfma_f32_16x16x16f16 v[34:37], v[44:45], v[28:29], v[34:37]
	ds_read2_b64 v[42:45], v139 offset0:16 offset1:20
	s_waitcnt lgkmcnt(0)
	v_mfma_f32_16x16x16f16 v[34:37], v[42:43], v[22:23], v[34:37]
	v_mfma_f32_16x16x16f16 v[34:37], v[44:45], v[24:25], v[34:37]
	;; [unrolled: 4-line block ×7, first 2 shown]
	ds_read2_b64 v[42:45], v1 offset0:64 offset1:68
	s_waitcnt lgkmcnt(0)
	v_mfma_f32_16x16x16f16 v[46:49], v[42:43], v[30:31], 0
	s_nop 7
	v_cmp_nlt_f32_e64 s[50:51], |v34|, s69
	v_mfma_f32_16x16x16f16 v[30:33], v[44:45], v[32:33], v[46:49]
	ds_read2_b64 v[42:45], v1 offset0:72 offset1:76
	s_waitcnt lgkmcnt(0)
	v_mfma_f32_16x16x16f16 v[30:33], v[42:43], v[26:27], v[30:33]
	v_mfma_f32_16x16x16f16 v[26:29], v[44:45], v[28:29], v[30:33]
	s_nop 7
	s_nop 1
	ds_read2_b64 v[30:33], v1 offset0:80 offset1:84
	s_waitcnt lgkmcnt(0)
	v_mfma_f32_16x16x16f16 v[26:29], v[30:31], v[22:23], v[26:29]
	v_mfma_f32_16x16x16f16 v[22:25], v[32:33], v[24:25], v[26:29]
	s_nop 7
	s_nop 1
	;; [unrolled: 6-line block ×6, first 2 shown]
	ds_read2_b64 v[10:13], v1 offset0:120 offset1:124
	s_waitcnt lgkmcnt(0)
	v_mfma_f32_16x16x16f16 v[6:9], v[10:11], v[2:3], v[6:9]
	s_barrier
	s_waitcnt lgkmcnt(0)
                                        ; implicit-def: $vgpr1
	v_mfma_f32_16x16x16f16 v[2:5], v[12:13], v[4:5], v[6:9]
	s_and_saveexec_b64 s[52:53], s[50:51]
	s_xor_b64 s[50:51], exec, s[52:53]
	s_cbranch_execz .LBB30_116
; %bb.115:                              ;   in Loop: Header=BB30_16 Depth=1
	v_add_f32_e64 v1, |v34|, |v34|
	s_nop 3
	v_mul_f32_e32 v6, 0x3fb8aa3b, v1
	v_rndne_f32_e32 v7, v6
	v_sub_f32_e32 v8, v6, v7
	v_fma_f32 v6, v1, s85, -v6
	v_fmac_f32_e32 v6, 0x32a5705f, v1
	v_add_f32_e32 v6, v8, v6
	v_cvt_i32_f32_e32 v7, v7
	v_exp_f32_e32 v6, v6
	v_cmp_ngt_f32_e32 vcc, s8, v1
	v_ldexp_f32 v6, v6, v7
	v_cndmask_b32_e32 v6, 0, v6, vcc
	v_cmp_nlt_f32_e32 vcc, s9, v1
	v_cndmask_b32_e32 v1, v251, v6, vcc
	v_add_f32_e32 v1, 1.0, v1
	v_rcp_f32_e32 v1, v1
	v_fma_f32 v1, v1, -2.0, 1.0
.LBB30_116:                             ;   in Loop: Header=BB30_16 Depth=1
	s_andn2_saveexec_b64 s[50:51], s[50:51]
; %bb.117:                              ;   in Loop: Header=BB30_16 Depth=1
	v_mul_f32_e32 v1, v34, v34
	s_nop 2
	v_mov_b32_e32 v6, 0x3ca908c9
	v_fmac_f32_e32 v6, 0xbbbac73d, v1
	v_fma_f32 v6, v1, v6, v58
	v_fma_f32 v6, v1, v6, v59
	v_fma_f32 v6, v1, v6, v0
	v_mul_f32_e64 v6, |v34|, v6
	v_fma_f32 v1, v1, v6, |v34|
; %bb.118:                              ;   in Loop: Header=BB30_16 Depth=1
	s_or_b64 exec, exec, s[50:51]
	v_cmp_nlt_f32_e64 s[50:51], |v35|, s69
                                        ; implicit-def: $vgpr6
	s_and_saveexec_b64 s[52:53], s[50:51]
	s_xor_b64 s[50:51], exec, s[52:53]
	s_cbranch_execz .LBB30_120
; %bb.119:                              ;   in Loop: Header=BB30_16 Depth=1
	v_add_f32_e64 v6, |v35|, |v35|
	v_mul_f32_e32 v7, 0x3fb8aa3b, v6
	v_rndne_f32_e32 v8, v7
	v_sub_f32_e32 v9, v7, v8
	v_fma_f32 v7, v6, s85, -v7
	v_fmac_f32_e32 v7, 0x32a5705f, v6
	v_add_f32_e32 v7, v9, v7
	v_cvt_i32_f32_e32 v8, v8
	v_exp_f32_e32 v7, v7
	v_cmp_ngt_f32_e32 vcc, s8, v6
	v_ldexp_f32 v7, v7, v8
	v_cndmask_b32_e32 v7, 0, v7, vcc
	v_cmp_nlt_f32_e32 vcc, s9, v6
	v_cndmask_b32_e32 v6, v251, v7, vcc
	v_add_f32_e32 v6, 1.0, v6
	v_rcp_f32_e32 v6, v6
	v_fma_f32 v6, v6, -2.0, 1.0
.LBB30_120:                             ;   in Loop: Header=BB30_16 Depth=1
	s_andn2_saveexec_b64 s[50:51], s[50:51]
; %bb.121:                              ;   in Loop: Header=BB30_16 Depth=1
	v_mul_f32_e32 v6, v35, v35
	v_mov_b32_e32 v7, 0x3ca908c9
	v_fmac_f32_e32 v7, 0xbbbac73d, v6
	v_fma_f32 v7, v6, v7, v58
	v_fma_f32 v7, v6, v7, v59
	;; [unrolled: 1-line block ×3, first 2 shown]
	v_mul_f32_e64 v7, |v35|, v7
	v_fma_f32 v6, v6, v7, |v35|
; %bb.122:                              ;   in Loop: Header=BB30_16 Depth=1
	s_or_b64 exec, exec, s[50:51]
	v_cmp_nlt_f32_e64 s[50:51], |v36|, s69
                                        ; implicit-def: $vgpr7
	s_and_saveexec_b64 s[52:53], s[50:51]
	s_xor_b64 s[50:51], exec, s[52:53]
	s_cbranch_execz .LBB30_124
; %bb.123:                              ;   in Loop: Header=BB30_16 Depth=1
	v_add_f32_e64 v7, |v36|, |v36|
	v_mul_f32_e32 v8, 0x3fb8aa3b, v7
	v_rndne_f32_e32 v9, v8
	v_sub_f32_e32 v10, v8, v9
	v_fma_f32 v8, v7, s85, -v8
	v_fmac_f32_e32 v8, 0x32a5705f, v7
	v_add_f32_e32 v8, v10, v8
	v_cvt_i32_f32_e32 v9, v9
	v_exp_f32_e32 v8, v8
	v_cmp_ngt_f32_e32 vcc, s8, v7
	v_ldexp_f32 v8, v8, v9
	v_cndmask_b32_e32 v8, 0, v8, vcc
	v_cmp_nlt_f32_e32 vcc, s9, v7
	v_cndmask_b32_e32 v7, v251, v8, vcc
	v_add_f32_e32 v7, 1.0, v7
	v_rcp_f32_e32 v7, v7
	v_fma_f32 v7, v7, -2.0, 1.0
.LBB30_124:                             ;   in Loop: Header=BB30_16 Depth=1
	s_andn2_saveexec_b64 s[50:51], s[50:51]
; %bb.125:                              ;   in Loop: Header=BB30_16 Depth=1
	v_mul_f32_e32 v7, v36, v36
	v_mov_b32_e32 v8, 0x3ca908c9
	v_fmac_f32_e32 v8, 0xbbbac73d, v7
	v_fma_f32 v8, v7, v8, v58
	v_fma_f32 v8, v7, v8, v59
	;; [unrolled: 1-line block ×3, first 2 shown]
	v_mul_f32_e64 v8, |v36|, v8
	v_fma_f32 v7, v7, v8, |v36|
; %bb.126:                              ;   in Loop: Header=BB30_16 Depth=1
	s_or_b64 exec, exec, s[50:51]
	v_cmp_nlt_f32_e64 s[50:51], |v37|, s69
                                        ; implicit-def: $vgpr8
	s_and_saveexec_b64 s[52:53], s[50:51]
	s_xor_b64 s[50:51], exec, s[52:53]
	s_cbranch_execz .LBB30_128
; %bb.127:                              ;   in Loop: Header=BB30_16 Depth=1
	v_add_f32_e64 v8, |v37|, |v37|
	v_mul_f32_e32 v9, 0x3fb8aa3b, v8
	v_rndne_f32_e32 v10, v9
	v_sub_f32_e32 v11, v9, v10
	v_fma_f32 v9, v8, s85, -v9
	v_fmac_f32_e32 v9, 0x32a5705f, v8
	v_add_f32_e32 v9, v11, v9
	v_cvt_i32_f32_e32 v10, v10
	v_exp_f32_e32 v9, v9
	v_cmp_ngt_f32_e32 vcc, s8, v8
	v_ldexp_f32 v9, v9, v10
	v_cndmask_b32_e32 v9, 0, v9, vcc
	v_cmp_nlt_f32_e32 vcc, s9, v8
	v_cndmask_b32_e32 v8, v251, v9, vcc
	v_add_f32_e32 v8, 1.0, v8
	v_rcp_f32_e32 v8, v8
	v_fma_f32 v8, v8, -2.0, 1.0
.LBB30_128:                             ;   in Loop: Header=BB30_16 Depth=1
	s_andn2_saveexec_b64 s[50:51], s[50:51]
; %bb.129:                              ;   in Loop: Header=BB30_16 Depth=1
	v_mul_f32_e32 v8, v37, v37
	v_mov_b32_e32 v9, 0x3ca908c9
	v_fmac_f32_e32 v9, 0xbbbac73d, v8
	v_fma_f32 v9, v8, v9, v58
	v_fma_f32 v9, v8, v9, v59
	;; [unrolled: 1-line block ×3, first 2 shown]
	v_mul_f32_e64 v9, |v37|, v9
	v_fma_f32 v8, v8, v9, |v37|
; %bb.130:                              ;   in Loop: Header=BB30_16 Depth=1
	s_or_b64 exec, exec, s[50:51]
	v_cmp_nlt_f32_e64 s[50:51], |v2|, s69
                                        ; implicit-def: $vgpr9
	s_and_saveexec_b64 s[52:53], s[50:51]
	s_xor_b64 s[50:51], exec, s[52:53]
	s_cbranch_execz .LBB30_132
; %bb.131:                              ;   in Loop: Header=BB30_16 Depth=1
	v_add_f32_e64 v9, |v2|, |v2|
	v_mul_f32_e32 v10, 0x3fb8aa3b, v9
	v_rndne_f32_e32 v11, v10
	v_sub_f32_e32 v12, v10, v11
	v_fma_f32 v10, v9, s85, -v10
	v_fmac_f32_e32 v10, 0x32a5705f, v9
	v_add_f32_e32 v10, v12, v10
	v_cvt_i32_f32_e32 v11, v11
	v_exp_f32_e32 v10, v10
	v_cmp_ngt_f32_e32 vcc, s8, v9
	v_ldexp_f32 v10, v10, v11
	v_cndmask_b32_e32 v10, 0, v10, vcc
	v_cmp_nlt_f32_e32 vcc, s9, v9
	v_cndmask_b32_e32 v9, v251, v10, vcc
	v_add_f32_e32 v9, 1.0, v9
	v_rcp_f32_e32 v9, v9
	v_fma_f32 v9, v9, -2.0, 1.0
.LBB30_132:                             ;   in Loop: Header=BB30_16 Depth=1
	s_andn2_saveexec_b64 s[50:51], s[50:51]
; %bb.133:                              ;   in Loop: Header=BB30_16 Depth=1
	v_mul_f32_e32 v9, v2, v2
	v_mov_b32_e32 v10, 0x3ca908c9
	v_fmac_f32_e32 v10, 0xbbbac73d, v9
	v_fma_f32 v10, v9, v10, v58
	v_fma_f32 v10, v9, v10, v59
	;; [unrolled: 1-line block ×3, first 2 shown]
	v_mul_f32_e64 v10, |v2|, v10
	v_fma_f32 v9, v9, v10, |v2|
; %bb.134:                              ;   in Loop: Header=BB30_16 Depth=1
	s_or_b64 exec, exec, s[50:51]
	v_cmp_nlt_f32_e64 s[50:51], |v3|, s69
                                        ; implicit-def: $vgpr11
	s_and_saveexec_b64 s[52:53], s[50:51]
	s_xor_b64 s[50:51], exec, s[52:53]
	s_cbranch_execz .LBB30_136
; %bb.135:                              ;   in Loop: Header=BB30_16 Depth=1
	v_add_f32_e64 v10, |v3|, |v3|
	v_mul_f32_e32 v11, 0x3fb8aa3b, v10
	v_rndne_f32_e32 v12, v11
	v_sub_f32_e32 v13, v11, v12
	v_fma_f32 v11, v10, s85, -v11
	v_fmac_f32_e32 v11, 0x32a5705f, v10
	v_add_f32_e32 v11, v13, v11
	v_cvt_i32_f32_e32 v12, v12
	v_exp_f32_e32 v11, v11
	v_cmp_ngt_f32_e32 vcc, s8, v10
	v_ldexp_f32 v11, v11, v12
	v_cndmask_b32_e32 v11, 0, v11, vcc
	v_cmp_nlt_f32_e32 vcc, s9, v10
	v_cndmask_b32_e32 v10, v251, v11, vcc
	v_add_f32_e32 v10, 1.0, v10
	v_rcp_f32_e32 v10, v10
	v_fma_f32 v11, v10, -2.0, 1.0
.LBB30_136:                             ;   in Loop: Header=BB30_16 Depth=1
	s_andn2_saveexec_b64 s[50:51], s[50:51]
; %bb.137:                              ;   in Loop: Header=BB30_16 Depth=1
	v_mul_f32_e32 v10, v3, v3
	v_mov_b32_e32 v11, 0x3ca908c9
	v_fmac_f32_e32 v11, 0xbbbac73d, v10
	v_fma_f32 v11, v10, v11, v58
	v_fma_f32 v11, v10, v11, v59
	;; [unrolled: 1-line block ×3, first 2 shown]
	v_mul_f32_e64 v11, |v3|, v11
	v_fma_f32 v11, v10, v11, |v3|
; %bb.138:                              ;   in Loop: Header=BB30_16 Depth=1
	s_or_b64 exec, exec, s[50:51]
	v_cmp_nlt_f32_e64 s[50:51], |v4|, s69
                                        ; implicit-def: $vgpr12
	s_and_saveexec_b64 s[52:53], s[50:51]
	s_xor_b64 s[50:51], exec, s[52:53]
	s_cbranch_execz .LBB30_140
; %bb.139:                              ;   in Loop: Header=BB30_16 Depth=1
	v_add_f32_e64 v10, |v4|, |v4|
	v_mul_f32_e32 v12, 0x3fb8aa3b, v10
	v_rndne_f32_e32 v13, v12
	v_sub_f32_e32 v14, v12, v13
	v_fma_f32 v12, v10, s85, -v12
	v_fmac_f32_e32 v12, 0x32a5705f, v10
	v_add_f32_e32 v12, v14, v12
	v_cvt_i32_f32_e32 v13, v13
	v_exp_f32_e32 v12, v12
	v_cmp_ngt_f32_e32 vcc, s8, v10
	v_ldexp_f32 v12, v12, v13
	v_cndmask_b32_e32 v12, 0, v12, vcc
	v_cmp_nlt_f32_e32 vcc, s9, v10
	v_cndmask_b32_e32 v10, v251, v12, vcc
	v_add_f32_e32 v10, 1.0, v10
	v_rcp_f32_e32 v10, v10
	v_fma_f32 v12, v10, -2.0, 1.0
.LBB30_140:                             ;   in Loop: Header=BB30_16 Depth=1
	s_andn2_saveexec_b64 s[50:51], s[50:51]
; %bb.141:                              ;   in Loop: Header=BB30_16 Depth=1
	v_mul_f32_e32 v10, v4, v4
	v_mov_b32_e32 v12, 0x3ca908c9
	v_fmac_f32_e32 v12, 0xbbbac73d, v10
	v_fma_f32 v12, v10, v12, v58
	v_fma_f32 v12, v10, v12, v59
	;; [unrolled: 1-line block ×3, first 2 shown]
	v_mul_f32_e64 v12, |v4|, v12
	v_fma_f32 v12, v10, v12, |v4|
; %bb.142:                              ;   in Loop: Header=BB30_16 Depth=1
	s_or_b64 exec, exec, s[50:51]
	v_cmp_nlt_f32_e64 s[50:51], |v5|, s69
                                        ; implicit-def: $vgpr13
	s_and_saveexec_b64 s[52:53], s[50:51]
	s_xor_b64 s[50:51], exec, s[52:53]
	s_cbranch_execz .LBB30_144
; %bb.143:                              ;   in Loop: Header=BB30_16 Depth=1
	v_add_f32_e64 v10, |v5|, |v5|
	v_mul_f32_e32 v13, 0x3fb8aa3b, v10
	v_rndne_f32_e32 v14, v13
	v_sub_f32_e32 v15, v13, v14
	v_fma_f32 v13, v10, s85, -v13
	v_fmac_f32_e32 v13, 0x32a5705f, v10
	v_add_f32_e32 v13, v15, v13
	v_cvt_i32_f32_e32 v14, v14
	v_exp_f32_e32 v13, v13
	v_cmp_ngt_f32_e32 vcc, s8, v10
	v_ldexp_f32 v13, v13, v14
	v_cndmask_b32_e32 v13, 0, v13, vcc
	v_cmp_nlt_f32_e32 vcc, s9, v10
	v_cndmask_b32_e32 v10, v251, v13, vcc
	v_add_f32_e32 v10, 1.0, v10
	v_rcp_f32_e32 v10, v10
	v_fma_f32 v13, v10, -2.0, 1.0
.LBB30_144:                             ;   in Loop: Header=BB30_16 Depth=1
	s_andn2_saveexec_b64 s[50:51], s[50:51]
; %bb.145:                              ;   in Loop: Header=BB30_16 Depth=1
	v_mul_f32_e32 v10, v5, v5
	v_mov_b32_e32 v13, 0x3ca908c9
	v_fmac_f32_e32 v13, 0xbbbac73d, v10
	v_fma_f32 v13, v10, v13, v58
	v_fma_f32 v13, v10, v13, v59
	v_fma_f32 v13, v10, v13, v0
	v_mul_f32_e64 v13, |v5|, v13
	v_fma_f32 v13, v10, v13, |v5|
; %bb.146:                              ;   in Loop: Header=BB30_16 Depth=1
	s_or_b64 exec, exec, s[50:51]
	v_bfi_b32 v1, s68, v1, v34
	v_mul_f32_e32 v14, s97, v1
	v_bfi_b32 v1, s68, v6, v35
	v_bfi_b32 v2, s68, v9, v2
	v_mul_f32_e32 v15, s97, v1
	v_bfi_b32 v1, s68, v7, v36
	v_mul_f32_e32 v10, s97, v2
	;; [unrolled: 2-line block ×6, first 2 shown]
	v_mul_f32_e32 v13, s97, v1
	s_and_b64 vcc, exec, s[48:49]
	s_cbranch_vccz .LBB30_608
; %bb.147:                              ;   in Loop: Header=BB30_16 Depth=1
	v_add_u32_e32 v1, 0x8400, v50
	ds_read2_b32 v[2:3], v1 offset1:1
	ds_read_b32 v1, v126 offset:33792
	ds_read_b32 v6, v145 offset:33792
	s_waitcnt lgkmcnt(2)
	v_cvt_f32_f16_e32 v4, v2
	v_cvt_f32_f16_sdwa v5, v2 dst_sel:DWORD dst_unused:UNUSED_PAD src0_sel:WORD_1
	v_cvt_f32_f16_e32 v2, v3
	v_cvt_f32_f16_sdwa v3, v3 dst_sel:DWORD dst_unused:UNUSED_PAD src0_sel:WORD_1
	s_waitcnt lgkmcnt(1)
	v_cvt_f32_f16_sdwa v19, v1 dst_sel:DWORD dst_unused:UNUSED_PAD src0_sel:WORD_1
	s_waitcnt lgkmcnt(0)
	v_cvt_f32_f16_sdwa v21, v6 dst_sel:DWORD dst_unused:UNUSED_PAD src0_sel:WORD_1
	v_cvt_f32_f16_e32 v20, v6
	v_cvt_f32_f16_e32 v18, v1
	v_pk_fma_f32 v[8:9], v[78:79], v[2:3], v[16:17] op_sel_hi:[0,1,1]
	v_pk_fma_f32 v[6:7], v[78:79], v[4:5], v[14:15] op_sel_hi:[0,1,1]
	v_pk_fma_f32 v[4:5], v[78:79], v[20:21], v[12:13] op_sel_hi:[0,1,1]
	v_pk_fma_f32 v[2:3], v[78:79], v[18:19], v[10:11] op_sel_hi:[0,1,1]
	s_cbranch_execnz .LBB30_149
.LBB30_148:                             ;   in Loop: Header=BB30_16 Depth=1
	v_pk_mov_b32 v[2:3], v[10:11], v[10:11] op_sel:[0,1]
	v_pk_mov_b32 v[6:7], v[14:15], v[14:15] op_sel:[0,1]
	;; [unrolled: 1-line block ×4, first 2 shown]
.LBB30_149:                             ;   in Loop: Header=BB30_16 Depth=1
	v_add_f32_e32 v1, 0x40051340, v6
	v_max_f32_e32 v10, v38, v38
	v_cmp_gt_u32_e64 s[60:61], s64, v84
	v_max_f32_e32 v1, v10, v1
	v_cndmask_b32_e64 v1, v38, v1, s[60:61]
	v_add_f32_e32 v10, 0x40051340, v7
	v_max_f32_e32 v11, v1, v1
	v_cmp_gt_u32_e64 s[62:63], s64, v92
	v_max_f32_e32 v10, v11, v10
	v_cndmask_b32_e64 v1, v1, v10, s[62:63]
	;; [unrolled: 5-line block ×7, first 2 shown]
	v_add_f32_e32 v10, 0x40051340, v5
	v_max_f32_e32 v11, v1, v1
	v_cmp_gt_u32_e32 vcc, s64, v101
	v_max_f32_e32 v10, v11, v10
	v_cndmask_b32_e32 v1, v1, v10, vcc
	v_and_b32_e32 v10, 64, v103
	v_add_u32_e32 v10, 64, v10
	v_xor_b32_e32 v11, 32, v103
	v_cmp_lt_i32_e64 s[64:65], v11, v10
	v_cndmask_b32_e64 v11, v103, v11, s[64:65]
	v_lshlrev_b32_e32 v11, 2, v11
	ds_bpermute_b32 v12, v11, v1
	v_max_f32_e32 v1, v1, v1
	v_cndmask_b32_e64 v8, v8, v8, s[62:63]
	v_cndmask_b32_e64 v9, v9, v9, s[62:63]
	;; [unrolled: 1-line block ×3, first 2 shown]
	s_waitcnt lgkmcnt(0)
	v_max_f32_e32 v12, v12, v12
	v_max_f32_e32 v1, v1, v12
	v_xor_b32_e32 v12, 16, v103
	v_cmp_lt_i32_e64 s[64:65], v12, v10
	v_cndmask_b32_e64 v10, v103, v12, s[64:65]
	v_lshlrev_b32_e32 v37, 2, v10
	ds_bpermute_b32 v10, v37, v1
	v_cndmask_b32_e64 v5, v5, v5, s[52:53]
	v_cndmask_b32_e64 v4, v4, v4, s[52:53]
	s_mul_hi_i32 s31, s30, s86
	s_mul_i32 s30, s30, s86
	s_waitcnt lgkmcnt(0)
	v_max_f32_e32 v10, v10, v10
	v_max_f32_e32 v10, v1, v10
	v_sub_f32_e32 v1, v6, v10
	v_mul_f32_e32 v6, 0x3fb8aa3b, v1
	v_fma_f32 v12, v1, s85, -v6
	v_rndne_f32_e32 v13, v6
	v_fmac_f32_e32 v12, 0x32a5705f, v1
	v_sub_f32_e32 v6, v6, v13
	v_add_f32_e32 v6, v6, v12
	v_exp_f32_e32 v6, v6
	v_cvt_i32_f32_e32 v12, v13
	v_cmp_ngt_f32_e64 s[64:65], s8, v1
	v_sub_f32_e32 v2, v2, v10
	s_lshl_b64 s[30:31], s[30:31], 2
	v_ldexp_f32 v6, v6, v12
	v_cndmask_b32_e64 v6, 0, v6, s[64:65]
	v_cmp_nlt_f32_e64 s[64:65], s9, v1
	v_cndmask_b32_e64 v1, v251, v6, s[64:65]
	v_cndmask_b32_e64 v20, 0, v1, s[60:61]
	v_sub_f32_e32 v1, v7, v10
	v_mul_f32_e32 v6, 0x3fb8aa3b, v1
	v_fma_f32 v7, v1, s85, -v6
	v_rndne_f32_e32 v12, v6
	v_fmac_f32_e32 v7, 0x32a5705f, v1
	v_sub_f32_e32 v6, v6, v12
	v_add_f32_e32 v6, v6, v7
	v_exp_f32_e32 v6, v6
	v_cvt_i32_f32_e32 v7, v12
	v_cmp_ngt_f32_e64 s[60:61], s8, v1
	s_add_u32 s30, s75, s30
	s_addc_u32 s31, s76, s31
	v_ldexp_f32 v6, v6, v7
	v_cndmask_b32_e64 v6, 0, v6, s[60:61]
	v_cmp_nlt_f32_e64 s[60:61], s9, v1
	v_cndmask_b32_e64 v6, v251, v6, s[60:61]
	v_mov_b32_e32 v1, s95
	v_add_f32_e32 v7, v6, v20
	v_cndmask_b32_e64 v21, v1, v6, s[62:63]
	v_sub_f32_e32 v6, v8, v10
	v_cndmask_b32_e64 v1, v20, v7, s[62:63]
	v_mul_f32_e32 v7, 0x3fb8aa3b, v6
	v_fma_f32 v8, v6, s85, -v7
	v_rndne_f32_e32 v12, v7
	v_fmac_f32_e32 v8, 0x32a5705f, v6
	v_sub_f32_e32 v7, v7, v12
	v_add_f32_e32 v7, v7, v8
	v_exp_f32_e32 v7, v7
	v_cvt_i32_f32_e32 v8, v12
	v_cmp_ngt_f32_e64 s[60:61], s8, v6
	v_mov_b32_e32 v47, s31
	v_mov_b32_e32 v49, s31
	v_ldexp_f32 v7, v7, v8
	v_cndmask_b32_e64 v7, 0, v7, s[60:61]
	v_cmp_nlt_f32_e64 s[60:61], s9, v6
	v_cndmask_b32_e64 v7, v251, v7, s[60:61]
	v_mov_b32_e32 v6, s95
	v_cndmask_b32_e64 v42, v6, v7, s[56:57]
	v_sub_f32_e32 v6, v9, v10
	v_add_f32_e32 v8, v1, v7
	v_mul_f32_e32 v7, 0x3fb8aa3b, v6
	v_cndmask_b32_e64 v1, v1, v8, s[56:57]
	v_fma_f32 v8, v6, s85, -v7
	v_rndne_f32_e32 v9, v7
	v_fmac_f32_e32 v8, 0x32a5705f, v6
	v_sub_f32_e32 v7, v7, v9
	v_add_f32_e32 v7, v7, v8
	v_exp_f32_e32 v7, v7
	v_cvt_i32_f32_e32 v8, v9
	v_cmp_ngt_f32_e64 s[56:57], s8, v6
	buffer_store_dword v127, off, s[0:3], 0
	buffer_store_dword v127, off, s[0:3], 0 offset:4
	buffer_store_dword v127, off, s[0:3], 0 offset:8
	;; [unrolled: 1-line block ×3, first 2 shown]
	s_cmp_eq_u64 s[58:59], 0
	v_ldexp_f32 v7, v7, v8
	v_cndmask_b32_e64 v7, 0, v7, s[56:57]
	v_cmp_nlt_f32_e64 s[56:57], s9, v6
	v_cndmask_b32_e64 v6, v251, v7, s[56:57]
	v_mov_b32_e32 v7, s95
	v_add_f32_e32 v8, v1, v6
	v_cndmask_b32_e64 v43, v7, v6, s[54:55]
	v_mul_f32_e32 v6, 0x3fb8aa3b, v2
	v_cndmask_b32_e64 v1, v1, v8, s[54:55]
	v_fma_f32 v7, v2, s85, -v6
	v_rndne_f32_e32 v8, v6
	v_fmac_f32_e32 v7, 0x32a5705f, v2
	v_sub_f32_e32 v6, v6, v8
	v_add_f32_e32 v6, v6, v7
	v_exp_f32_e32 v6, v6
	v_cvt_i32_f32_e32 v7, v8
	v_cmp_ngt_f32_e64 s[54:55], s8, v2
	v_ldexp_f32 v6, v6, v7
	v_cndmask_b32_e64 v6, 0, v6, s[54:55]
	v_cmp_nlt_f32_e64 s[54:55], s9, v2
	v_cndmask_b32_e64 v6, v251, v6, s[54:55]
	v_add_f32_e32 v7, v6, v1
	v_mov_b32_e32 v2, s95
	v_cndmask_b32_e64 v44, v2, v6, s[52:53]
	v_cndmask_b32_e64 v2, v1, v7, s[52:53]
	v_sub_f32_e32 v1, v3, v10
	v_mul_f32_e32 v3, 0x3fb8aa3b, v1
	v_fma_f32 v6, v1, s85, -v3
	v_rndne_f32_e32 v7, v3
	v_fmac_f32_e32 v6, 0x32a5705f, v1
	v_sub_f32_e32 v3, v3, v7
	v_add_f32_e32 v3, v3, v6
	v_exp_f32_e32 v3, v3
	v_cvt_i32_f32_e32 v6, v7
	v_cmp_ngt_f32_e64 s[52:53], s8, v1
	v_ldexp_f32 v3, v3, v6
	v_cndmask_b32_e64 v3, 0, v3, s[52:53]
	v_cmp_nlt_f32_e64 s[52:53], s9, v1
	v_cndmask_b32_e64 v3, v251, v3, s[52:53]
	v_add_f32_e32 v6, v3, v2
	v_mov_b32_e32 v1, s95
	v_cndmask_b32_e64 v45, v1, v3, s[50:51]
	v_cndmask_b32_e64 v1, v2, v6, s[50:51]
	v_sub_f32_e32 v2, v4, v10
	v_mul_f32_e32 v3, 0x3fb8aa3b, v2
	v_fma_f32 v4, v2, s85, -v3
	v_rndne_f32_e32 v6, v3
	v_fmac_f32_e32 v4, 0x32a5705f, v2
	v_sub_f32_e32 v3, v3, v6
	v_add_f32_e32 v3, v3, v4
	v_exp_f32_e32 v3, v3
	v_cvt_i32_f32_e32 v4, v6
	v_cmp_ngt_f32_e64 s[50:51], s8, v2
	v_ldexp_f32 v3, v3, v4
	v_cndmask_b32_e64 v3, 0, v3, s[50:51]
	v_cmp_nlt_f32_e64 s[50:51], s9, v2
	v_cndmask_b32_e64 v3, v251, v3, s[50:51]
	v_mov_b32_e32 v2, s95
	v_cndmask_b32_e64 v46, v2, v3, s[48:49]
	v_sub_f32_e32 v2, v5, v10
	v_add_f32_e32 v4, v3, v1
	v_mul_f32_e32 v3, 0x3fb8aa3b, v2
	v_cndmask_b32_e64 v1, v1, v4, s[48:49]
	v_fma_f32 v4, v2, s85, -v3
	v_rndne_f32_e32 v5, v3
	v_fmac_f32_e32 v4, 0x32a5705f, v2
	v_sub_f32_e32 v3, v3, v5
	v_add_f32_e32 v3, v3, v4
	v_exp_f32_e32 v3, v3
	v_cvt_i32_f32_e32 v4, v5
	v_cmp_ngt_f32_e64 s[48:49], s8, v2
	v_ldexp_f32 v3, v3, v4
	v_cndmask_b32_e64 v3, 0, v3, s[48:49]
	v_cmp_nlt_f32_e64 s[48:49], s9, v2
	v_cndmask_b32_e64 v2, v251, v3, s[48:49]
	v_add_f32_e32 v4, v2, v1
	v_mov_b32_e32 v3, s95
	v_cndmask_b32_e32 v40, v1, v4, vcc
	v_sub_f32_e32 v1, v38, v10
	v_cndmask_b32_e32 v3, v3, v2, vcc
	v_mul_f32_e32 v2, 0x3fb8aa3b, v1
	v_fma_f32 v4, v1, s85, -v2
	v_rndne_f32_e32 v5, v2
	v_fmac_f32_e32 v4, 0x32a5705f, v1
	v_sub_f32_e32 v2, v2, v5
	v_add_f32_e32 v2, v2, v4
	v_exp_f32_e32 v2, v2
	v_cvt_i32_f32_e32 v4, v5
	v_cmp_ngt_f32_e32 vcc, s8, v1
	v_cvt_f16_f32_e32 v3, v3
	v_ldexp_f32 v2, v2, v4
	v_cndmask_b32_e32 v2, 0, v2, vcc
	v_cmp_nlt_f32_e32 vcc, s9, v1
	v_cndmask_b32_e32 v2, v251, v2, vcc
	v_cmp_le_f32_e32 vcc, s70, v1
	v_cndmask_b32_e32 v1, 0, v2, vcc
	v_cvt_f16_f32_e32 v2, v1
	v_fmac_f32_e32 v40, v39, v1
	ds_bpermute_b32 v11, v11, v40
	v_pk_mul_f16 v22, v2, v105 op_sel_hi:[0,1]
	v_pk_mul_f16 v19, v2, v104 op_sel_hi:[0,1]
	;; [unrolled: 1-line block ×32, first 2 shown]
	v_cvt_f16_f32_e32 v2, v20
	v_cvt_f16_f32_e32 v20, v21
	;; [unrolled: 1-line block ×3, first 2 shown]
	v_mov_b32_e32 v43, s31
	v_mov_b32_e32 v52, s31
	v_pack_b32_f16 v20, v2, v20
	v_cvt_f16_f32_e32 v2, v42
	v_cvt_f16_f32_e32 v42, v45
	v_mov_b32_e32 v45, s36
	s_waitcnt lgkmcnt(0)
	v_add_f32_e32 v11, v40, v11
	v_pack_b32_f16 v21, v2, v21
	v_cvt_f16_f32_e32 v2, v44
	v_mov_b32_e32 v44, s37
	v_pack_b32_f16 v2, v2, v42
	v_cvt_f16_f32_e32 v42, v46
	v_pack_b32_f16 v3, v42, v3
	v_add_co_u32_e32 v42, vcc, s30, v62
	v_addc_co_u32_e32 v43, vcc, v43, v63, vcc
	v_add_co_u32_e32 v42, vcc, v42, v41
	v_addc_co_u32_e32 v43, vcc, 0, v43, vcc
	;; [unrolled: 2-line block ×7, first 2 shown]
	v_add_co_u32_e32 v41, vcc, v51, v41
	v_cndmask_b32_e64 v43, v44, v43, s[40:41]
	v_cndmask_b32_e64 v42, v45, v42, s[40:41]
	v_addc_co_u32_e32 v51, vcc, 0, v52, vcc
	v_cndmask_b32_e64 v47, v44, v47, s[42:43]
	v_cndmask_b32_e64 v46, v45, v46, s[42:43]
	;; [unrolled: 1-line block ×6, first 2 shown]
	flat_load_dwordx4 v[42:45], v[42:43]
	v_add_u32_e32 v41, v146, v178
	v_readlane_b32 s40, v254, 58
	v_readlane_b32 s41, v254, 59
	s_cselect_b64 s[30:31], -1, 0
	s_xor_b64 s[40:41], s[40:41], -1
	s_or_b64 s[30:31], s[40:41], s[30:31]
	s_waitcnt vmcnt(0) lgkmcnt(0)
	ds_write_b128 v132, v[42:45]
	flat_load_dwordx4 v[42:45], v[46:47]
	v_cvt_f32_f16_e32 v46, v19
	v_cvt_f32_f16_sdwa v47, v19 dst_sel:DWORD dst_unused:UNUSED_PAD src0_sel:WORD_1
	s_waitcnt vmcnt(0) lgkmcnt(0)
	ds_write_b128 v134, v[42:45]
	flat_load_dwordx4 v[42:45], v[48:49]
	s_waitcnt vmcnt(0) lgkmcnt(0)
	ds_write_b128 v136, v[42:45]
	flat_load_dwordx4 v[42:45], v[52:53]
	s_waitcnt vmcnt(0) lgkmcnt(0)
	ds_write_b128 v138, v[42:45]
	s_waitcnt lgkmcnt(0)
	s_barrier
	ds_read_u16 v42, v41 offset:528
	ds_read_u16 v43, v181 offset:1056
	v_add_u32_e32 v41, v146, v179
	ds_read_u16 v19, v41
	ds_read_u16 v48, v41 offset:32
	v_cvt_f32_f16_e32 v44, v22
	v_cvt_f32_f16_sdwa v45, v22 dst_sel:DWORD dst_unused:UNUSED_PAD src0_sel:WORD_1
	s_waitcnt lgkmcnt(1)
	v_perm_b32 v43, v19, v43, s71
	ds_read_u16 v19, v180
	ds_read_u16 v49, v180 offset:32
	s_waitcnt lgkmcnt(1)
	v_perm_b32 v42, v42, v19, s71
	s_nop 1
	v_mfma_f32_16x16x16f16 v[42:45], v[42:43], v[20:21], v[44:47]
	s_nop 6
	ds_read_u16 v46, v180 offset:16896
	s_nop 2
	v_cvt_f16_f32_e32 v19, v42
	v_add_u32_e32 v42, v147, v178
	ds_read_u16 v51, v42 offset:528
	ds_read_u16 v47, v232 offset:1056
	;; [unrolled: 1-line block ×3, first 2 shown]
	v_cvt_f16_f32_e32 v22, v43
	v_cvt_f16_f32_e32 v44, v44
	;; [unrolled: 1-line block ×3, first 2 shown]
	s_waitcnt lgkmcnt(2)
	v_perm_b32 v46, v51, v46, s71
	s_waitcnt lgkmcnt(0)
	v_perm_b32 v47, v52, v47, s71
	v_cvt_f32_f16_e32 v42, v19
	v_cvt_f32_f16_e32 v43, v22
	;; [unrolled: 1-line block ×4, first 2 shown]
	s_nop 1
	v_mfma_f32_16x16x16f16 v[42:45], v[46:47], v[2:3], v[42:45]
	s_nop 7
	s_nop 2
	v_cvt_f16_f32_e32 v19, v42
	v_cvt_f16_f32_e32 v22, v43
	v_cvt_f16_f32_e32 v42, v44
	v_cvt_f16_f32_e32 v43, v45
	v_cvt_f32_f16_e32 v44, v23
	v_pack_b32_f16 v22, v19, v22
	v_cvt_f32_f16_sdwa v45, v23 dst_sel:DWORD dst_unused:UNUSED_PAD src0_sel:WORD_1
	v_pack_b32_f16 v19, v42, v43
	v_add_u32_e32 v42, v148, v178
	ds_read_u16 v46, v42 offset:528
	ds_read_u16 v47, v248 offset:1056
	v_cvt_f32_f16_e32 v42, v24
	v_cvt_f32_f16_sdwa v43, v24 dst_sel:DWORD dst_unused:UNUSED_PAD src0_sel:WORD_1
	s_waitcnt lgkmcnt(1)
	v_perm_b32 v46, v46, v49, s71
	s_waitcnt lgkmcnt(0)
	v_perm_b32 v47, v48, v47, s71
	s_nop 1
	v_mfma_f32_16x16x16f16 v[42:45], v[46:47], v[20:21], v[42:45]
	ds_read_u16 v46, v184 offset:16896
	s_nop 7
	s_nop 1
	v_cvt_f16_f32_e32 v23, v42
	v_add_u32_e32 v42, v149, v178
	ds_read_u16 v48, v42 offset:528
	ds_read_u16 v47, v185 offset:1056
	v_add_u32_e32 v42, v148, v179
	ds_read_u16 v49, v42 offset:16896
	v_cvt_f16_f32_e32 v24, v43
	v_cvt_f16_f32_e32 v44, v44
	v_cvt_f16_f32_e32 v45, v45
	s_waitcnt lgkmcnt(2)
	v_perm_b32 v46, v48, v46, s71
	s_waitcnt lgkmcnt(0)
	v_perm_b32 v47, v49, v47, s71
	v_cvt_f32_f16_e32 v42, v23
	v_cvt_f32_f16_e32 v43, v24
	v_cvt_f32_f16_e32 v44, v44
	v_cvt_f32_f16_e32 v45, v45
	s_nop 1
	v_mfma_f32_16x16x16f16 v[42:45], v[46:47], v[2:3], v[42:45]
	ds_read_u16 v46, v180 offset:64
	s_nop 7
	s_nop 1
	v_cvt_f16_f32_e32 v23, v42
	v_cvt_f16_f32_e32 v24, v43
	v_cvt_f16_f32_e32 v42, v44
	v_cvt_f16_f32_e32 v43, v45
	v_cvt_f32_f16_e32 v44, v25
	v_pack_b32_f16 v24, v23, v24
	v_cvt_f32_f16_sdwa v45, v25 dst_sel:DWORD dst_unused:UNUSED_PAD src0_sel:WORD_1
	v_pack_b32_f16 v23, v42, v43
	v_add_u32_e32 v42, v150, v178
	ds_read_u16 v48, v42 offset:528
	ds_read_u16 v47, v186 offset:1056
	ds_read_u16 v49, v41 offset:64
	v_cvt_f32_f16_e32 v42, v26
	v_cvt_f32_f16_sdwa v43, v26 dst_sel:DWORD dst_unused:UNUSED_PAD src0_sel:WORD_1
	s_waitcnt lgkmcnt(2)
	v_perm_b32 v46, v48, v46, s71
	s_waitcnt lgkmcnt(0)
	v_perm_b32 v47, v49, v47, s71
	s_nop 1
	v_mfma_f32_16x16x16f16 v[42:45], v[46:47], v[20:21], v[42:45]
	ds_read_u16 v46, v187 offset:16896
	s_nop 7
	s_nop 1
	v_cvt_f16_f32_e32 v25, v42
	v_add_u32_e32 v42, v151, v178
	ds_read_u16 v48, v42 offset:528
	ds_read_u16 v47, v188 offset:1056
	v_add_u32_e32 v42, v150, v179
	ds_read_u16 v49, v42 offset:16896
	v_cvt_f16_f32_e32 v26, v43
	v_cvt_f16_f32_e32 v44, v44
	v_cvt_f16_f32_e32 v45, v45
	s_waitcnt lgkmcnt(2)
	v_perm_b32 v46, v48, v46, s71
	s_waitcnt lgkmcnt(0)
	v_perm_b32 v47, v49, v47, s71
	v_cvt_f32_f16_e32 v42, v25
	v_cvt_f32_f16_e32 v43, v26
	v_cvt_f32_f16_e32 v44, v44
	v_cvt_f32_f16_e32 v45, v45
	s_nop 1
	v_mfma_f32_16x16x16f16 v[42:45], v[46:47], v[2:3], v[42:45]
	ds_read_u16 v46, v180 offset:96
	s_nop 7
	s_nop 1
	v_cvt_f16_f32_e32 v25, v42
	v_cvt_f16_f32_e32 v26, v43
	v_cvt_f16_f32_e32 v42, v44
	v_cvt_f16_f32_e32 v43, v45
	v_cvt_f32_f16_e32 v44, v27
	v_pack_b32_f16 v26, v25, v26
	v_cvt_f32_f16_sdwa v45, v27 dst_sel:DWORD dst_unused:UNUSED_PAD src0_sel:WORD_1
	v_pack_b32_f16 v25, v42, v43
	v_add_u32_e32 v42, v152, v178
	ds_read_u16 v48, v42 offset:528
	;; [unrolled: 45-line block ×13, first 2 shown]
	ds_read_u16 v47, v222 offset:1056
	ds_read_u16 v49, v41 offset:448
	v_cvt_f32_f16_e32 v42, v18
	v_cvt_f32_f16_sdwa v43, v18 dst_sel:DWORD dst_unused:UNUSED_PAD src0_sel:WORD_1
	s_waitcnt lgkmcnt(2)
	v_perm_b32 v46, v48, v46, s71
	s_waitcnt lgkmcnt(0)
	v_perm_b32 v47, v49, v47, s71
	s_nop 1
	v_mfma_f32_16x16x16f16 v[42:45], v[46:47], v[20:21], v[42:45]
	ds_read_u16 v46, v223 offset:16896
	s_nop 7
	s_nop 1
	v_cvt_f16_f32_e32 v17, v42
	v_add_u32_e32 v42, v175, v178
	ds_read_u16 v48, v42 offset:528
	ds_read_u16 v47, v224 offset:1056
	v_add_u32_e32 v42, v174, v179
	ds_read_u16 v49, v42 offset:16896
	v_cvt_f16_f32_e32 v18, v43
	v_cvt_f16_f32_e32 v44, v44
	;; [unrolled: 1-line block ×3, first 2 shown]
	s_waitcnt lgkmcnt(2)
	v_perm_b32 v46, v48, v46, s71
	s_waitcnt lgkmcnt(0)
	v_perm_b32 v47, v49, v47, s71
	v_cvt_f32_f16_e32 v42, v17
	v_cvt_f32_f16_e32 v43, v18
	;; [unrolled: 1-line block ×5, first 2 shown]
	v_cvt_f32_f16_sdwa v49, v38 dst_sel:DWORD dst_unused:UNUSED_PAD src0_sel:WORD_1
	v_mfma_f32_16x16x16f16 v[42:45], v[46:47], v[2:3], v[42:45]
	v_cvt_f32_f16_e32 v46, v39
	v_cvt_f32_f16_sdwa v47, v39 dst_sel:DWORD dst_unused:UNUSED_PAD src0_sel:WORD_1
	s_nop 7
	s_nop 0
	v_cvt_f16_f32_e32 v17, v42
	v_cvt_f16_f32_e32 v18, v43
	;; [unrolled: 1-line block ×4, first 2 shown]
	v_pack_b32_f16 v18, v17, v18
	v_pack_b32_f16 v17, v42, v43
	v_add_u32_e32 v43, v176, v178
	ds_read_u16 v42, v180 offset:480
	ds_read_u16 v43, v43 offset:528
	;; [unrolled: 1-line block ×4, first 2 shown]
	s_waitcnt lgkmcnt(2)
	v_perm_b32 v38, v43, v42, s71
	s_waitcnt lgkmcnt(0)
	v_perm_b32 v39, v41, v44, s71
	s_nop 1
	v_mfma_f32_16x16x16f16 v[42:45], v[38:39], v[20:21], v[46:49]
	ds_read_u16 v20, v226 offset:16896
	s_nop 7
	s_nop 1
	v_cvt_f16_f32_e32 v21, v42
	v_add_u32_e32 v42, v177, v178
	ds_read_u16 v46, v42 offset:528
	ds_read_u16 v47, v227 offset:1056
	v_add_u32_e32 v42, v176, v179
	ds_read_u16 v48, v42 offset:16896
	v_cvt_f16_f32_e32 v38, v43
	v_cvt_f16_f32_e32 v39, v44
	;; [unrolled: 1-line block ×3, first 2 shown]
	v_cvt_f32_f16_e32 v42, v21
	s_waitcnt lgkmcnt(0)
	v_perm_b32 v21, v48, v47, s71
	v_perm_b32 v20, v46, v20, s71
	v_cvt_f32_f16_e32 v43, v38
	v_cvt_f32_f16_e32 v44, v39
	;; [unrolled: 1-line block ×3, first 2 shown]
	s_barrier
	s_nop 0
	v_mfma_f32_16x16x16f16 v[42:45], v[20:21], v[2:3], v[42:45]
	s_nop 7
	s_nop 2
	v_cvt_f16_f32_e32 v2, v42
	v_cvt_f16_f32_e32 v3, v43
	v_cvt_f16_f32_e32 v20, v44
	v_cvt_f16_f32_e32 v21, v45
	v_pack_b32_f16 v2, v2, v3
	v_pack_b32_f16 v3, v20, v21
	ds_bpermute_b32 v20, v37, v11
	s_waitcnt lgkmcnt(0)
	v_add_f32_e32 v11, v11, v20
	s_and_saveexec_b64 s[40:41], s[30:31]
	s_xor_b64 s[30:31], exec, s[40:41]
	s_andn2_saveexec_b64 s[30:31], s[30:31]
	s_cbranch_execz .LBB30_151
; %bb.150:                              ;   in Loop: Header=BB30_16 Depth=1
	global_load_dword v21, v127, s[58:59]
	v_max_f32_e32 v38, v10, v10
	s_waitcnt vmcnt(0)
	v_max_f32_e32 v20, v21, v21
	v_max_f32_e32 v20, v38, v20
	v_sub_f32_e32 v10, v10, v20
	v_mul_f32_e32 v38, 0x3fb8aa3b, v10
	v_fma_f32 v39, v10, s85, -v38
	v_rndne_f32_e32 v40, v38
	v_fmac_f32_e32 v39, 0x32a5705f, v10
	v_sub_f32_e32 v38, v38, v40
	v_add_f32_e32 v38, v38, v39
	v_exp_f32_e32 v38, v38
	v_cvt_i32_f32_e32 v39, v40
	v_cmp_ngt_f32_e32 vcc, s8, v10
	v_sub_f32_e32 v21, v21, v20
	v_ldexp_f32 v38, v38, v39
	v_cndmask_b32_e32 v38, 0, v38, vcc
	v_cmp_nlt_f32_e32 vcc, s9, v10
	v_cndmask_b32_e32 v38, v251, v38, vcc
	v_cmp_le_f32_e32 vcc, s70, v10
	v_cndmask_b32_e32 v10, 0, v38, vcc
	v_cvt_f16_f32_e32 v38, v10
	v_cmp_ngt_f32_e32 vcc, s8, v21
	v_pk_mul_f16 v22, v38, v22 op_sel_hi:[0,1]
	v_pk_mul_f16 v19, v38, v19 op_sel_hi:[0,1]
	;; [unrolled: 1-line block ×32, first 2 shown]
	v_mul_f32_e32 v38, 0x3fb8aa3b, v21
	v_fma_f32 v39, v21, s85, -v38
	v_rndne_f32_e32 v40, v38
	v_fmac_f32_e32 v39, 0x32a5705f, v21
	v_sub_f32_e32 v38, v38, v40
	v_add_f32_e32 v38, v38, v39
	v_exp_f32_e32 v38, v38
	v_cvt_i32_f32_e32 v39, v40
	v_ldexp_f32 v38, v38, v39
	v_cndmask_b32_e32 v38, 0, v38, vcc
	v_cmp_nlt_f32_e32 vcc, s9, v21
	v_cndmask_b32_e32 v21, v251, v38, vcc
	v_fmac_f32_e32 v21, v11, v10
	v_pk_mov_b32 v[10:11], v[20:21], v[20:21] op_sel:[0,1]
.LBB30_151:                             ;   in Loop: Header=BB30_16 Depth=1
	s_or_b64 exec, exec, s[30:31]
	s_mov_b64 s[30:31], exec
	v_readlane_b32 s40, v254, 62
	v_readlane_b32 s41, v254, 63
	s_and_b64 s[40:41], s[30:31], s[40:41]
	s_mov_b64 exec, s[40:41]
	s_cbranch_execz .LBB30_153
; %bb.152:                              ;   in Loop: Header=BB30_16 Depth=1
	buffer_load_dword v20, off, s[0:3], 0 offset:52 ; 4-byte Folded Reload
	s_waitcnt vmcnt(0)
	v_add_u32_e32 v20, 0, v20
	ds_write2_b32 v20, v10, v11 offset0:64 offset1:65
.LBB30_153:                             ;   in Loop: Header=BB30_16 Depth=1
	s_or_b64 exec, exec, s[30:31]
	s_waitcnt lgkmcnt(0)
	s_barrier
	s_mov_b64 s[30:31], exec
	v_readlane_b32 s40, v254, 60
	v_readlane_b32 s41, v254, 61
	s_and_b64 s[40:41], s[30:31], s[40:41]
	s_xor_b64 s[30:31], s[40:41], s[30:31]
	s_mov_b64 exec, s[40:41]
	s_cbranch_execz .LBB30_155
; %bb.154:                              ;   in Loop: Header=BB30_16 Depth=1
	s_barrier
	s_waitcnt lgkmcnt(0)
                                        ; implicit-def: $vgpr37
.LBB30_155:                             ;   in Loop: Header=BB30_16 Depth=1
	s_andn2_saveexec_b64 s[30:31], s[30:31]
	s_cbranch_execz .LBB30_161
; %bb.156:                              ;   in Loop: Header=BB30_16 Depth=1
	buffer_load_dword v10, off, s[0:3], 0 offset:56 ; 4-byte Folded Reload
	s_waitcnt vmcnt(0)
	v_add_u32_e32 v11, 0, v10
	ds_read_b64 v[38:39], v11 offset:256
	s_waitcnt lgkmcnt(0)
	s_barrier
	ds_bpermute_b32 v10, v37, v38
	v_max_f32_e32 v20, v38, v38
	s_waitcnt lgkmcnt(0)
	v_max_f32_e32 v10, v10, v10
	v_max_f32_e32 v10, v20, v10
	v_sub_f32_e32 v20, v38, v10
	v_mul_f32_e32 v21, 0x3fb8aa3b, v20
	v_fma_f32 v38, v20, s85, -v21
	v_rndne_f32_e32 v40, v21
	v_fmac_f32_e32 v38, 0x32a5705f, v20
	v_sub_f32_e32 v21, v21, v40
	v_add_f32_e32 v21, v21, v38
	v_cvt_i32_f32_e32 v40, v40
	v_exp_f32_e32 v21, v21
	v_cmp_ngt_f32_e32 vcc, s8, v20
	v_ldexp_f32 v21, v21, v40
	v_cndmask_b32_e32 v21, 0, v21, vcc
	v_cmp_nlt_f32_e32 vcc, s9, v20
	v_cndmask_b32_e32 v20, v251, v21, vcc
	v_mul_f32_e32 v21, v39, v20
	ds_bpermute_b32 v21, v37, v21
	s_waitcnt lgkmcnt(0)
	v_fmac_f32_e32 v21, v39, v20
	s_mov_b64 s[40:41], exec
	v_readlane_b32 s42, v255, 0
	v_readlane_b32 s43, v255, 1
	s_and_b64 s[42:43], s[40:41], s[42:43]
	s_mov_b64 exec, s[42:43]
	s_cbranch_execz .LBB30_158
; %bb.157:                              ;   in Loop: Header=BB30_16 Depth=1
	ds_write_b64 v11, v[20:21] offset:256
.LBB30_158:                             ;   in Loop: Header=BB30_16 Depth=1
	s_or_b64 exec, exec, s[40:41]
	s_mov_b64 s[40:41], exec
	v_readlane_b32 s42, v254, 62
	v_readlane_b32 s43, v254, 63
	s_and_b64 s[42:43], s[40:41], s[42:43]
	s_mov_b64 exec, s[42:43]
	s_cbranch_execz .LBB30_160
; %bb.159:                              ;   in Loop: Header=BB30_16 Depth=1
	v_mov_b32_e32 v11, v21
	buffer_load_dword v20, off, s[0:3], 0 offset:224 ; 4-byte Folded Reload
	buffer_load_dword v21, off, s[0:3], 0 offset:228 ; 4-byte Folded Reload
	s_waitcnt vmcnt(0)
	global_store_dwordx2 v[20:21], v[10:11], off
.LBB30_160:                             ;   in Loop: Header=BB30_16 Depth=1
	s_or_b64 exec, exec, s[40:41]
.LBB30_161:                             ;   in Loop: Header=BB30_16 Depth=1
	s_or_b64 exec, exec, s[30:31]
	v_add_u32_e32 v10, s74, v249
	ds_write2_b32 v230, v22, v19 offset1:1
	ds_write2_b32 v230, v24, v23 offset0:8 offset1:9
	ds_write2_b32 v230, v26, v25 offset0:16 offset1:17
	;; [unrolled: 1-line block ×7, first 2 shown]
	s_waitcnt lgkmcnt(0)
	s_barrier
	s_mov_b64 s[30:31], exec
	v_readlane_b32 s40, v254, 58
	v_readlane_b32 s41, v254, 59
	s_and_b64 s[40:41], s[30:31], s[40:41]
	s_mov_b64 exec, s[40:41]
	s_cbranch_execz .LBB30_239
; %bb.162:                              ;   in Loop: Header=BB30_16 Depth=1
	v_cmp_gt_i32_e32 vcc, s84, v10
	v_mov_b32_e32 v11, 0x47
	s_and_saveexec_b64 s[40:41], vcc
	s_cbranch_execz .LBB30_164
; %bb.163:                              ;   in Loop: Header=BB30_16 Depth=1
	buffer_load_dword v11, off, s[0:3], 0 offset:88 ; 4-byte Folded Reload
	v_readlane_b32 s42, v255, 3
	v_mad_u64_u32 v[24:25], s[42:43], v10, s42, v[80:81]
	v_ashrrev_i32_e32 v25, 31, v24
	v_lshlrev_b64 v[24:25], 3, v[24:25]
	v_add_co_u32_e32 v24, vcc, s66, v24
	s_waitcnt vmcnt(0)
	v_add_u32_e32 v11, 0, v11
	ds_read2st64_b32 v[20:21], v11 offset0:1 offset1:18
	buffer_load_dword v11, off, s[0:3], 0 offset:92 ; 4-byte Folded Reload
	s_waitcnt vmcnt(0)
	ds_read2st64_b32 v[22:23], v11 offset1:17
	v_mov_b32_e32 v11, s67
	v_addc_co_u32_e32 v25, vcc, v11, v25, vcc
	v_mov_b32_e32 v11, 0
	s_waitcnt lgkmcnt(0)
	v_cvt_f32_f16_sdwa v27, v22 dst_sel:DWORD dst_unused:UNUSED_PAD src0_sel:WORD_1
	v_cvt_f32_f16_e32 v26, v22
	v_cvt_f32_f16_sdwa v29, v23 dst_sel:DWORD dst_unused:UNUSED_PAD src0_sel:WORD_1
	v_cvt_f32_f16_e32 v28, v23
	v_pk_fma_f32 v[26:27], v[20:21], v[26:27], 0 op_sel_hi:[0,1,0]
	v_mov_b32_e32 v20, v21
	v_pk_fma_f32 v[20:21], v[20:21], v[28:29], v[26:27] op_sel_hi:[0,1,1]
	global_store_dwordx2 v[24:25], v[20:21], off
.LBB30_164:                             ;   in Loop: Header=BB30_16 Depth=1
	s_or_b64 exec, exec, s[40:41]
	s_movk_i32 s40, 0x47
	v_cmp_gt_i32_e32 vcc, s40, v11
	s_mov_b64 s[40:41], -1
	s_and_saveexec_b64 s[42:43], vcc
; %bb.165:                              ;   in Loop: Header=BB30_16 Depth=1
	v_cmp_eq_u32_e32 vcc, 0, v11
	s_orn2_b64 s[40:41], vcc, exec
; %bb.166:                              ;   in Loop: Header=BB30_16 Depth=1
	s_or_b64 exec, exec, s[42:43]
	s_and_b64 exec, exec, s[40:41]
	s_cbranch_execz .LBB30_239
; %bb.167:                              ;   in Loop: Header=BB30_16 Depth=1
	buffer_load_dword v11, off, s[0:3], 0 offset:96 ; 4-byte Folded Reload
	s_waitcnt vmcnt(0)
	v_add_u32_e32 v19, s74, v11
	v_cmp_gt_i32_e32 vcc, s84, v19
	v_mov_b32_e32 v11, 0x47
	s_and_saveexec_b64 s[40:41], vcc
	s_cbranch_execz .LBB30_169
; %bb.168:                              ;   in Loop: Header=BB30_16 Depth=1
	buffer_load_dword v11, off, s[0:3], 0 offset:144 ; 4-byte Folded Reload
	v_readlane_b32 s42, v255, 3
	v_mad_u64_u32 v[24:25], s[42:43], v19, s42, v[80:81]
	v_ashrrev_i32_e32 v25, 31, v24
	v_lshlrev_b64 v[24:25], 3, v[24:25]
	v_add_co_u32_e32 v24, vcc, s66, v24
	s_waitcnt vmcnt(0)
	v_add_u32_e32 v11, 0, v11
	ds_read2st64_b32 v[20:21], v11 offset0:1 offset1:18
	buffer_load_dword v11, off, s[0:3], 0 offset:148 ; 4-byte Folded Reload
	s_waitcnt vmcnt(0)
	ds_read2st64_b32 v[22:23], v11 offset1:17
	v_mov_b32_e32 v11, s67
	v_addc_co_u32_e32 v25, vcc, v11, v25, vcc
	v_mov_b32_e32 v11, 0
	s_waitcnt lgkmcnt(0)
	v_cvt_f32_f16_sdwa v27, v22 dst_sel:DWORD dst_unused:UNUSED_PAD src0_sel:WORD_1
	v_cvt_f32_f16_e32 v26, v22
	v_cvt_f32_f16_sdwa v29, v23 dst_sel:DWORD dst_unused:UNUSED_PAD src0_sel:WORD_1
	v_cvt_f32_f16_e32 v28, v23
	v_pk_fma_f32 v[26:27], v[20:21], v[26:27], 0 op_sel_hi:[0,1,0]
	v_mov_b32_e32 v20, v21
	v_pk_fma_f32 v[20:21], v[20:21], v[28:29], v[26:27] op_sel_hi:[0,1,1]
	global_store_dwordx2 v[24:25], v[20:21], off
.LBB30_169:                             ;   in Loop: Header=BB30_16 Depth=1
	s_or_b64 exec, exec, s[40:41]
	s_movk_i32 s40, 0x47
	v_cmp_gt_i32_e32 vcc, s40, v11
	s_mov_b64 s[40:41], -1
	s_and_saveexec_b64 s[42:43], vcc
; %bb.170:                              ;   in Loop: Header=BB30_16 Depth=1
	v_cmp_eq_u32_e32 vcc, 0, v11
	s_orn2_b64 s[40:41], vcc, exec
; %bb.171:                              ;   in Loop: Header=BB30_16 Depth=1
	s_or_b64 exec, exec, s[42:43]
	s_and_b64 exec, exec, s[40:41]
	s_cbranch_execz .LBB30_239
; %bb.172:                              ;   in Loop: Header=BB30_16 Depth=1
	buffer_load_dword v11, off, s[0:3], 0 offset:152 ; 4-byte Folded Reload
	s_waitcnt vmcnt(0)
	v_add_u32_e32 v19, s74, v11
	;; [unrolled: 46-line block ×15, first 2 shown]
	v_cmp_gt_i32_e32 vcc, s84, v11
	s_and_b64 exec, exec, vcc
	s_cbranch_execz .LBB30_239
; %bb.238:                              ;   in Loop: Header=BB30_16 Depth=1
	buffer_load_dword v19, off, s[0:3], 0 offset:404 ; 4-byte Folded Reload
	v_readlane_b32 s40, v255, 3
	v_mad_u64_u32 v[24:25], s[40:41], v11, s40, v[80:81]
	v_ashrrev_i32_e32 v25, 31, v24
	v_lshlrev_b64 v[24:25], 3, v[24:25]
	v_add_co_u32_e32 v24, vcc, s66, v24
	v_mov_b32_e32 v11, s67
	v_addc_co_u32_e32 v25, vcc, v11, v25, vcc
	s_waitcnt vmcnt(0)
	v_add_u32_e32 v19, 0, v19
	ds_read2st64_b32 v[20:21], v19 offset0:1 offset1:18
	buffer_load_dword v19, off, s[0:3], 0 offset:408 ; 4-byte Folded Reload
	s_waitcnt vmcnt(0)
	ds_read2st64_b32 v[22:23], v19 offset1:17
	s_waitcnt lgkmcnt(0)
	v_cvt_f32_f16_sdwa v27, v22 dst_sel:DWORD dst_unused:UNUSED_PAD src0_sel:WORD_1
	v_cvt_f32_f16_e32 v26, v22
	v_cvt_f32_f16_sdwa v29, v23 dst_sel:DWORD dst_unused:UNUSED_PAD src0_sel:WORD_1
	v_cvt_f32_f16_e32 v28, v23
	v_pk_fma_f32 v[26:27], v[20:21], v[26:27], 0 op_sel_hi:[0,1,0]
	v_mov_b32_e32 v20, v21
	v_pk_fma_f32 v[20:21], v[20:21], v[28:29], v[26:27] op_sel_hi:[0,1,1]
	global_store_dwordx2 v[24:25], v[20:21], off
.LBB30_239:                             ;   in Loop: Header=BB30_16 Depth=1
	s_or_b64 exec, exec, s[30:31]
	s_barrier
	ds_write2_b32 v230, v4, v1 offset1:1
	ds_write2_b32 v230, v6, v5 offset0:8 offset1:9
	ds_write2_b32 v230, v8, v7 offset0:16 offset1:17
	;; [unrolled: 1-line block ×7, first 2 shown]
	s_waitcnt lgkmcnt(0)
	s_barrier
	s_mov_b64 s[30:31], exec
	v_readlane_b32 s40, v254, 58
	v_readlane_b32 s41, v254, 59
	s_and_b64 s[40:41], s[30:31], s[40:41]
	s_mov_b64 exec, s[40:41]
	s_cbranch_execz .LBB30_317
; %bb.240:                              ;   in Loop: Header=BB30_16 Depth=1
	v_cmp_gt_i32_e32 vcc, s84, v10
	v_mov_b32_e32 v1, 0x47
	s_and_saveexec_b64 s[40:41], vcc
	s_cbranch_execz .LBB30_242
; %bb.241:                              ;   in Loop: Header=BB30_16 Depth=1
	buffer_load_dword v1, off, s[0:3], 0 offset:88 ; 4-byte Folded Reload
	v_readlane_b32 s42, v255, 3
	s_waitcnt vmcnt(0)
	v_add_u32_e32 v1, 0, v1
	ds_read2st64_b32 v[2:3], v1 offset0:1 offset1:18
	buffer_load_dword v1, off, s[0:3], 0 offset:92 ; 4-byte Folded Reload
	s_waitcnt vmcnt(0)
	ds_read2st64_b32 v[4:5], v1 offset1:17
	buffer_load_dword v6, off, s[0:3], 0 offset:104 ; 4-byte Folded Reload
	buffer_load_dword v7, off, s[0:3], 0 offset:108 ; 4-byte Folded Reload
	v_mov_b32_e32 v1, s67
	s_waitcnt lgkmcnt(0)
	v_cvt_f32_f16_sdwa v9, v4 dst_sel:DWORD dst_unused:UNUSED_PAD src0_sel:WORD_1
	v_cvt_f32_f16_e32 v8, v4
	v_cvt_f32_f16_sdwa v11, v5 dst_sel:DWORD dst_unused:UNUSED_PAD src0_sel:WORD_1
	v_pk_fma_f32 v[8:9], v[2:3], v[8:9], 0 op_sel_hi:[0,1,0]
	v_mov_b32_e32 v2, v3
	s_waitcnt vmcnt(0)
	v_mad_u64_u32 v[6:7], s[42:43], v10, s42, v[6:7]
	v_cvt_f32_f16_e32 v10, v5
	v_ashrrev_i32_e32 v7, 31, v6
	v_lshlrev_b64 v[6:7], 3, v[6:7]
	v_add_co_u32_e32 v6, vcc, s66, v6
	v_addc_co_u32_e32 v7, vcc, v1, v7, vcc
	v_pk_fma_f32 v[2:3], v[2:3], v[10:11], v[8:9] op_sel_hi:[0,1,1]
	v_mov_b32_e32 v1, 0
	global_store_dwordx2 v[6:7], v[2:3], off
.LBB30_242:                             ;   in Loop: Header=BB30_16 Depth=1
	s_or_b64 exec, exec, s[40:41]
	s_movk_i32 s40, 0x47
	v_cmp_gt_i32_e32 vcc, s40, v1
	s_mov_b64 s[40:41], -1
	s_and_saveexec_b64 s[42:43], vcc
; %bb.243:                              ;   in Loop: Header=BB30_16 Depth=1
	v_cmp_eq_u32_e32 vcc, 0, v1
	s_orn2_b64 s[40:41], vcc, exec
; %bb.244:                              ;   in Loop: Header=BB30_16 Depth=1
	s_or_b64 exec, exec, s[42:43]
	s_and_b64 exec, exec, s[40:41]
	s_cbranch_execz .LBB30_317
; %bb.245:                              ;   in Loop: Header=BB30_16 Depth=1
	buffer_load_dword v1, off, s[0:3], 0 offset:96 ; 4-byte Folded Reload
	s_waitcnt vmcnt(0)
	v_add_u32_e32 v2, s74, v1
	v_cmp_gt_i32_e32 vcc, s84, v2
	v_mov_b32_e32 v1, 0x47
	s_and_saveexec_b64 s[40:41], vcc
	s_cbranch_execz .LBB30_247
; %bb.246:                              ;   in Loop: Header=BB30_16 Depth=1
	buffer_load_dword v1, off, s[0:3], 0 offset:144 ; 4-byte Folded Reload
	v_readlane_b32 s42, v255, 3
	s_waitcnt vmcnt(0)
	v_add_u32_e32 v1, 0, v1
	ds_read2st64_b32 v[4:5], v1 offset0:1 offset1:18
	buffer_load_dword v1, off, s[0:3], 0 offset:148 ; 4-byte Folded Reload
	s_waitcnt vmcnt(0)
	ds_read2st64_b32 v[6:7], v1 offset1:17
	buffer_load_dword v8, off, s[0:3], 0 offset:104 ; 4-byte Folded Reload
	buffer_load_dword v9, off, s[0:3], 0 offset:108 ; 4-byte Folded Reload
	v_mov_b32_e32 v1, s67
	s_waitcnt lgkmcnt(0)
	v_cvt_f32_f16_sdwa v11, v7 dst_sel:DWORD dst_unused:UNUSED_PAD src0_sel:WORD_1
	v_cvt_f32_f16_e32 v10, v7
	s_waitcnt vmcnt(0)
	v_mad_u64_u32 v[2:3], s[42:43], v2, s42, v[8:9]
	v_cvt_f32_f16_sdwa v9, v6 dst_sel:DWORD dst_unused:UNUSED_PAD src0_sel:WORD_1
	v_cvt_f32_f16_e32 v8, v6
	v_ashrrev_i32_e32 v3, 31, v2
	v_lshlrev_b64 v[2:3], 3, v[2:3]
	v_add_co_u32_e32 v2, vcc, s66, v2
	v_pk_fma_f32 v[8:9], v[4:5], v[8:9], 0 op_sel_hi:[0,1,0]
	v_mov_b32_e32 v4, v5
	v_addc_co_u32_e32 v3, vcc, v1, v3, vcc
	v_pk_fma_f32 v[4:5], v[4:5], v[10:11], v[8:9] op_sel_hi:[0,1,1]
	v_mov_b32_e32 v1, 0
	global_store_dwordx2 v[2:3], v[4:5], off
.LBB30_247:                             ;   in Loop: Header=BB30_16 Depth=1
	s_or_b64 exec, exec, s[40:41]
	s_movk_i32 s40, 0x47
	v_cmp_gt_i32_e32 vcc, s40, v1
	s_mov_b64 s[40:41], -1
	s_and_saveexec_b64 s[42:43], vcc
; %bb.248:                              ;   in Loop: Header=BB30_16 Depth=1
	v_cmp_eq_u32_e32 vcc, 0, v1
	s_orn2_b64 s[40:41], vcc, exec
; %bb.249:                              ;   in Loop: Header=BB30_16 Depth=1
	s_or_b64 exec, exec, s[42:43]
	s_and_b64 exec, exec, s[40:41]
	s_cbranch_execz .LBB30_317
; %bb.250:                              ;   in Loop: Header=BB30_16 Depth=1
	buffer_load_dword v1, off, s[0:3], 0 offset:152 ; 4-byte Folded Reload
	s_waitcnt vmcnt(0)
	v_add_u32_e32 v2, s74, v1
	v_cmp_gt_i32_e32 vcc, s84, v2
	v_mov_b32_e32 v1, 0x47
	s_and_saveexec_b64 s[40:41], vcc
	s_cbranch_execz .LBB30_252
; %bb.251:                              ;   in Loop: Header=BB30_16 Depth=1
	buffer_load_dword v1, off, s[0:3], 0 offset:232 ; 4-byte Folded Reload
	v_readlane_b32 s42, v255, 3
	s_waitcnt vmcnt(0)
	v_add_u32_e32 v1, 0, v1
	ds_read2st64_b32 v[4:5], v1 offset0:1 offset1:18
	buffer_load_dword v1, off, s[0:3], 0 offset:236 ; 4-byte Folded Reload
	s_waitcnt vmcnt(0)
	ds_read2st64_b32 v[6:7], v1 offset1:17
	buffer_load_dword v8, off, s[0:3], 0 offset:104 ; 4-byte Folded Reload
	buffer_load_dword v9, off, s[0:3], 0 offset:108 ; 4-byte Folded Reload
	v_mov_b32_e32 v1, s67
	s_waitcnt lgkmcnt(0)
	v_cvt_f32_f16_sdwa v11, v7 dst_sel:DWORD dst_unused:UNUSED_PAD src0_sel:WORD_1
	v_cvt_f32_f16_e32 v10, v7
	s_waitcnt vmcnt(0)
	v_mad_u64_u32 v[2:3], s[42:43], v2, s42, v[8:9]
	v_cvt_f32_f16_sdwa v9, v6 dst_sel:DWORD dst_unused:UNUSED_PAD src0_sel:WORD_1
	v_cvt_f32_f16_e32 v8, v6
	v_ashrrev_i32_e32 v3, 31, v2
	v_lshlrev_b64 v[2:3], 3, v[2:3]
	v_add_co_u32_e32 v2, vcc, s66, v2
	v_pk_fma_f32 v[8:9], v[4:5], v[8:9], 0 op_sel_hi:[0,1,0]
	v_mov_b32_e32 v4, v5
	v_addc_co_u32_e32 v3, vcc, v1, v3, vcc
	v_pk_fma_f32 v[4:5], v[4:5], v[10:11], v[8:9] op_sel_hi:[0,1,1]
	v_mov_b32_e32 v1, 0
	global_store_dwordx2 v[2:3], v[4:5], off
.LBB30_252:                             ;   in Loop: Header=BB30_16 Depth=1
	;; [unrolled: 49-line block ×14, first 2 shown]
	s_or_b64 exec, exec, s[40:41]
	s_movk_i32 s40, 0x47
	v_cmp_gt_i32_e32 vcc, s40, v1
	s_mov_b64 s[40:41], -1
	s_and_saveexec_b64 s[42:43], vcc
; %bb.313:                              ;   in Loop: Header=BB30_16 Depth=1
	v_cmp_eq_u32_e32 vcc, 0, v1
	s_orn2_b64 s[40:41], vcc, exec
; %bb.314:                              ;   in Loop: Header=BB30_16 Depth=1
	s_or_b64 exec, exec, s[42:43]
	s_and_b64 exec, exec, s[40:41]
	s_cbranch_execz .LBB30_317
; %bb.315:                              ;   in Loop: Header=BB30_16 Depth=1
	buffer_load_dword v1, off, s[0:3], 0 offset:400 ; 4-byte Folded Reload
	s_waitcnt vmcnt(0)
	v_add_u32_e32 v1, s74, v1
	v_cmp_gt_i32_e32 vcc, s84, v1
	s_and_b64 exec, exec, vcc
	s_cbranch_execz .LBB30_317
; %bb.316:                              ;   in Loop: Header=BB30_16 Depth=1
	buffer_load_dword v2, off, s[0:3], 0 offset:404 ; 4-byte Folded Reload
	buffer_load_dword v4, off, s[0:3], 0 offset:408 ; 4-byte Folded Reload
	v_readlane_b32 s40, v255, 3
	s_waitcnt vmcnt(1)
	v_add_u32_e32 v2, 0, v2
	ds_read2st64_b32 v[2:3], v2 offset0:1 offset1:18
	s_waitcnt vmcnt(0)
	ds_read2st64_b32 v[4:5], v4 offset1:17
	buffer_load_dword v6, off, s[0:3], 0 offset:104 ; 4-byte Folded Reload
	buffer_load_dword v7, off, s[0:3], 0 offset:108 ; 4-byte Folded Reload
	s_waitcnt lgkmcnt(0)
	v_cvt_f32_f16_sdwa v9, v4 dst_sel:DWORD dst_unused:UNUSED_PAD src0_sel:WORD_1
	v_cvt_f32_f16_e32 v8, v4
	v_cvt_f32_f16_sdwa v11, v5 dst_sel:DWORD dst_unused:UNUSED_PAD src0_sel:WORD_1
	v_cvt_f32_f16_e32 v10, v5
	v_pk_fma_f32 v[8:9], v[2:3], v[8:9], 0 op_sel_hi:[0,1,0]
	v_mov_b32_e32 v2, v3
	v_pk_fma_f32 v[2:3], v[2:3], v[10:11], v[8:9] op_sel_hi:[0,1,1]
	s_waitcnt vmcnt(0)
	v_mad_u64_u32 v[6:7], s[40:41], v1, s40, v[6:7]
	v_ashrrev_i32_e32 v7, 31, v6
	v_lshlrev_b64 v[6:7], 3, v[6:7]
	v_add_co_u32_e32 v6, vcc, s66, v6
	v_mov_b32_e32 v1, s67
	v_addc_co_u32_e32 v7, vcc, v1, v7, vcc
	global_store_dwordx2 v[6:7], v[2:3], off
.LBB30_317:                             ;   in Loop: Header=BB30_16 Depth=1
	s_or_b64 exec, exec, s[30:31]
	s_barrier
	s_branch .LBB30_15
.LBB30_318:                             ;   in Loop: Header=BB30_16 Depth=1
	s_lshl_b32 s80, s80, 6
	v_add_u32_e32 v87, s80, v241
	v_cmp_le_i32_e32 vcc, s84, v87
	s_and_saveexec_b64 s[30:31], vcc
	s_xor_b64 s[30:31], exec, s[30:31]
	s_cbranch_execz .LBB30_320
; %bb.319:                              ;   in Loop: Header=BB30_16 Depth=1
	ds_write2st64_b32 v88, v127, v127 offset1:1
.LBB30_320:                             ;   in Loop: Header=BB30_16 Depth=1
	s_andn2_saveexec_b64 s[30:31], s[30:31]
	s_cbranch_execz .LBB30_322
; %bb.321:                              ;   in Loop: Header=BB30_16 Depth=1
	v_readlane_b32 s40, v254, 18
	v_mad_u64_u32 v[2:3], s[40:41], v87, s40, v[80:81]
	v_ashrrev_i32_e32 v3, 31, v2
	v_lshlrev_b64 v[2:3], 3, v[2:3]
	v_add_co_u32_e32 v2, vcc, s83, v2
	v_mov_b32_e32 v1, s73
	v_addc_co_u32_e32 v3, vcc, v1, v3, vcc
	global_load_dwordx2 v[4:5], v[2:3], off
	s_waitcnt vmcnt(0)
	v_cvt_f16_f32_e32 v1, v4
	global_load_dwordx2 v[2:3], v[2:3], off offset:512
	v_cvt_f16_f32_e32 v4, v5
	v_pack_b32_f16 v1, v1, v4
	v_pk_mul_f16 v1, v119, v1
	s_waitcnt vmcnt(0)
	v_cvt_f16_f32_e32 v2, v2
	v_cvt_f16_f32_e32 v3, v3
	v_pack_b32_f16 v2, v2, v3
	v_pk_mul_f16 v2, v119, v2
	ds_write2st64_b32 v88, v1, v2 offset1:1
.LBB30_322:                             ;   in Loop: Header=BB30_16 Depth=1
	s_or_b64 exec, exec, s[30:31]
	s_waitcnt vmcnt(1)
	v_add_u32_e32 v89, s80, v246
	v_cmp_le_i32_e32 vcc, s84, v89
	s_and_saveexec_b64 s[30:31], vcc
	s_xor_b64 s[30:31], exec, s[30:31]
	s_cbranch_execz .LBB30_324
; %bb.323:                              ;   in Loop: Header=BB30_16 Depth=1
	ds_write2st64_b32 v90, v127, v127 offset1:1
.LBB30_324:                             ;   in Loop: Header=BB30_16 Depth=1
	s_andn2_saveexec_b64 s[30:31], s[30:31]
	s_cbranch_execz .LBB30_326
; %bb.325:                              ;   in Loop: Header=BB30_16 Depth=1
	v_readlane_b32 s40, v254, 18
	v_mad_u64_u32 v[2:3], s[40:41], v89, s40, v[80:81]
	v_ashrrev_i32_e32 v3, 31, v2
	v_lshlrev_b64 v[2:3], 3, v[2:3]
	v_add_co_u32_e32 v2, vcc, s83, v2
	v_mov_b32_e32 v1, s73
	v_addc_co_u32_e32 v3, vcc, v1, v3, vcc
	global_load_dwordx2 v[4:5], v[2:3], off
	s_waitcnt vmcnt(0)
	v_cvt_f16_f32_e32 v1, v4
	global_load_dwordx2 v[2:3], v[2:3], off offset:512
	v_cvt_f16_f32_e32 v4, v5
	v_pack_b32_f16 v1, v1, v4
	v_pk_mul_f16 v1, v119, v1
	s_waitcnt vmcnt(0)
	v_cvt_f16_f32_e32 v2, v2
	v_cvt_f16_f32_e32 v3, v3
	v_pack_b32_f16 v2, v2, v3
	v_pk_mul_f16 v2, v119, v2
	ds_write2st64_b32 v90, v1, v2 offset1:1
.LBB30_326:                             ;   in Loop: Header=BB30_16 Depth=1
	s_or_b64 exec, exec, s[30:31]
	v_add_u32_e32 v93, s80, v244
	v_cmp_le_i32_e32 vcc, s84, v93
	s_and_saveexec_b64 s[30:31], vcc
	s_xor_b64 s[30:31], exec, s[30:31]
	s_cbranch_execz .LBB30_328
; %bb.327:                              ;   in Loop: Header=BB30_16 Depth=1
	v_add_u32_e32 v1, 0x80, v90
	ds_write2st64_b32 v1, v127, v127 offset0:16 offset1:17
.LBB30_328:                             ;   in Loop: Header=BB30_16 Depth=1
	s_andn2_saveexec_b64 s[30:31], s[30:31]
	s_cbranch_execz .LBB30_330
; %bb.329:                              ;   in Loop: Header=BB30_16 Depth=1
	v_readlane_b32 s40, v254, 18
	v_mad_u64_u32 v[2:3], s[40:41], v93, s40, v[80:81]
	v_ashrrev_i32_e32 v3, 31, v2
	v_lshlrev_b64 v[2:3], 3, v[2:3]
	v_add_co_u32_e32 v2, vcc, s83, v2
	v_mov_b32_e32 v1, s73
	v_addc_co_u32_e32 v3, vcc, v1, v3, vcc
	global_load_dwordx2 v[4:5], v[2:3], off
	s_waitcnt vmcnt(0)
	v_cvt_f16_f32_e32 v1, v4
	global_load_dwordx2 v[2:3], v[2:3], off offset:512
	v_cvt_f16_f32_e32 v4, v5
	v_pack_b32_f16 v1, v1, v4
	v_pk_mul_f16 v1, v119, v1
	s_waitcnt vmcnt(0)
	v_cvt_f16_f32_e32 v2, v2
	v_cvt_f16_f32_e32 v3, v3
	v_pack_b32_f16 v2, v2, v3
	v_pk_mul_f16 v2, v119, v2
	v_add_u32_e32 v3, 0x80, v90
	ds_write2st64_b32 v3, v1, v2 offset0:16 offset1:17
.LBB30_330:                             ;   in Loop: Header=BB30_16 Depth=1
	s_or_b64 exec, exec, s[30:31]
	v_add_u32_e32 v95, s80, v243
	v_cmp_le_i32_e32 vcc, s84, v95
	s_and_saveexec_b64 s[30:31], vcc
	s_xor_b64 s[30:31], exec, s[30:31]
	s_cbranch_execz .LBB30_332
; %bb.331:                              ;   in Loop: Header=BB30_16 Depth=1
	ds_write2st64_b32 v90, v127, v127 offset0:33 offset1:34
.LBB30_332:                             ;   in Loop: Header=BB30_16 Depth=1
	s_andn2_saveexec_b64 s[30:31], s[30:31]
	s_cbranch_execz .LBB30_334
; %bb.333:                              ;   in Loop: Header=BB30_16 Depth=1
	v_readlane_b32 s40, v254, 18
	v_mad_u64_u32 v[2:3], s[40:41], v95, s40, v[80:81]
	v_ashrrev_i32_e32 v3, 31, v2
	v_lshlrev_b64 v[2:3], 3, v[2:3]
	v_add_co_u32_e32 v2, vcc, s83, v2
	v_mov_b32_e32 v1, s73
	v_addc_co_u32_e32 v3, vcc, v1, v3, vcc
	global_load_dwordx2 v[4:5], v[2:3], off
	s_waitcnt vmcnt(0)
	v_cvt_f16_f32_e32 v1, v4
	global_load_dwordx2 v[2:3], v[2:3], off offset:512
	v_cvt_f16_f32_e32 v4, v5
	v_pack_b32_f16 v1, v1, v4
	v_pk_mul_f16 v1, v119, v1
	s_waitcnt vmcnt(0)
	v_cvt_f16_f32_e32 v2, v2
	v_cvt_f16_f32_e32 v3, v3
	v_pack_b32_f16 v2, v2, v3
	v_pk_mul_f16 v2, v119, v2
	ds_write2st64_b32 v90, v1, v2 offset0:33 offset1:34
.LBB30_334:                             ;   in Loop: Header=BB30_16 Depth=1
	s_or_b64 exec, exec, s[30:31]
	v_add_u32_e32 v91, s80, v242
	v_cmp_le_i32_e32 vcc, s84, v91
	s_and_saveexec_b64 s[30:31], vcc
	s_xor_b64 s[30:31], exec, s[30:31]
	s_cbranch_execz .LBB30_336
; %bb.335:                              ;   in Loop: Header=BB30_16 Depth=1
	v_add_u32_e32 v1, 0x80, v90
	ds_write2st64_b32 v1, v127, v127 offset0:49 offset1:50
.LBB30_336:                             ;   in Loop: Header=BB30_16 Depth=1
	s_andn2_saveexec_b64 s[30:31], s[30:31]
	s_cbranch_execz .LBB30_338
; %bb.337:                              ;   in Loop: Header=BB30_16 Depth=1
	v_readlane_b32 s40, v254, 18
	v_mad_u64_u32 v[2:3], s[40:41], v91, s40, v[80:81]
	v_ashrrev_i32_e32 v3, 31, v2
	v_lshlrev_b64 v[2:3], 3, v[2:3]
	v_add_co_u32_e32 v2, vcc, s83, v2
	v_mov_b32_e32 v1, s73
	v_addc_co_u32_e32 v3, vcc, v1, v3, vcc
	global_load_dwordx2 v[4:5], v[2:3], off
	s_waitcnt vmcnt(0)
	v_cvt_f16_f32_e32 v1, v4
	global_load_dwordx2 v[2:3], v[2:3], off offset:512
	v_cvt_f16_f32_e32 v4, v5
	v_pack_b32_f16 v1, v1, v4
	v_pk_mul_f16 v1, v119, v1
	s_waitcnt vmcnt(0)
	v_cvt_f16_f32_e32 v2, v2
	v_cvt_f16_f32_e32 v3, v3
	v_pack_b32_f16 v2, v2, v3
	v_pk_mul_f16 v2, v119, v2
	v_add_u32_e32 v3, 0x80, v90
	ds_write2st64_b32 v3, v1, v2 offset0:49 offset1:50
.LBB30_338:                             ;   in Loop: Header=BB30_16 Depth=1
	s_or_b64 exec, exec, s[30:31]
	v_add_u32_e32 v97, s80, v240
	v_cmp_le_i32_e32 vcc, s84, v97
	s_and_saveexec_b64 s[30:31], vcc
	s_xor_b64 s[30:31], exec, s[30:31]
	s_cbranch_execz .LBB30_340
; %bb.339:                              ;   in Loop: Header=BB30_16 Depth=1
	ds_write2st64_b32 v90, v127, v127 offset0:66 offset1:67
.LBB30_340:                             ;   in Loop: Header=BB30_16 Depth=1
	s_andn2_saveexec_b64 s[30:31], s[30:31]
	s_cbranch_execz .LBB30_342
; %bb.341:                              ;   in Loop: Header=BB30_16 Depth=1
	v_readlane_b32 s40, v254, 18
	v_mad_u64_u32 v[2:3], s[40:41], v97, s40, v[80:81]
	v_ashrrev_i32_e32 v3, 31, v2
	v_lshlrev_b64 v[2:3], 3, v[2:3]
	v_add_co_u32_e32 v2, vcc, s83, v2
	v_mov_b32_e32 v1, s73
	v_addc_co_u32_e32 v3, vcc, v1, v3, vcc
	global_load_dwordx2 v[4:5], v[2:3], off
	s_waitcnt vmcnt(0)
	v_cvt_f16_f32_e32 v1, v4
	global_load_dwordx2 v[2:3], v[2:3], off offset:512
	v_cvt_f16_f32_e32 v4, v5
	v_pack_b32_f16 v1, v1, v4
	v_pk_mul_f16 v1, v119, v1
	s_waitcnt vmcnt(0)
	v_cvt_f16_f32_e32 v2, v2
	v_cvt_f16_f32_e32 v3, v3
	v_pack_b32_f16 v2, v2, v3
	v_pk_mul_f16 v2, v119, v2
	ds_write2st64_b32 v90, v1, v2 offset0:66 offset1:67
.LBB30_342:                             ;   in Loop: Header=BB30_16 Depth=1
	s_or_b64 exec, exec, s[30:31]
	v_add_u32_e32 v250, s80, v239
	v_cmp_le_i32_e32 vcc, s84, v250
	s_and_saveexec_b64 s[30:31], vcc
	s_xor_b64 s[30:31], exec, s[30:31]
	s_cbranch_execz .LBB30_344
; %bb.343:                              ;   in Loop: Header=BB30_16 Depth=1
	v_add_u32_e32 v1, 0x80, v90
	ds_write2st64_b32 v1, v127, v127 offset0:82 offset1:83
.LBB30_344:                             ;   in Loop: Header=BB30_16 Depth=1
	s_andn2_saveexec_b64 s[30:31], s[30:31]
	s_cbranch_execz .LBB30_346
; %bb.345:                              ;   in Loop: Header=BB30_16 Depth=1
	v_readlane_b32 s40, v254, 18
	v_mad_u64_u32 v[2:3], s[40:41], v250, s40, v[80:81]
	v_ashrrev_i32_e32 v3, 31, v2
	v_lshlrev_b64 v[2:3], 3, v[2:3]
	v_add_co_u32_e32 v2, vcc, s83, v2
	v_mov_b32_e32 v1, s73
	v_addc_co_u32_e32 v3, vcc, v1, v3, vcc
	global_load_dwordx2 v[4:5], v[2:3], off
	s_waitcnt vmcnt(0)
	v_cvt_f16_f32_e32 v1, v4
	global_load_dwordx2 v[2:3], v[2:3], off offset:512
	v_cvt_f16_f32_e32 v4, v5
	v_pack_b32_f16 v1, v1, v4
	v_pk_mul_f16 v1, v119, v1
	s_waitcnt vmcnt(0)
	v_cvt_f16_f32_e32 v2, v2
	v_cvt_f16_f32_e32 v3, v3
	v_pack_b32_f16 v2, v2, v3
	v_pk_mul_f16 v2, v119, v2
	v_add_u32_e32 v3, 0x80, v90
	ds_write2st64_b32 v3, v1, v2 offset0:82 offset1:83
.LBB30_346:                             ;   in Loop: Header=BB30_16 Depth=1
	s_or_b64 exec, exec, s[30:31]
	v_add_u32_e32 v253, s80, v238
	v_cmp_le_i32_e32 vcc, s84, v253
	s_and_saveexec_b64 s[30:31], vcc
	s_xor_b64 s[30:31], exec, s[30:31]
	s_cbranch_execz .LBB30_348
; %bb.347:                              ;   in Loop: Header=BB30_16 Depth=1
	ds_write2st64_b32 v90, v127, v127 offset0:99 offset1:100
.LBB30_348:                             ;   in Loop: Header=BB30_16 Depth=1
	s_andn2_saveexec_b64 s[30:31], s[30:31]
	s_cbranch_execz .LBB30_350
; %bb.349:                              ;   in Loop: Header=BB30_16 Depth=1
	v_readlane_b32 s40, v254, 18
	v_mad_u64_u32 v[2:3], s[40:41], v253, s40, v[80:81]
	v_ashrrev_i32_e32 v3, 31, v2
	v_lshlrev_b64 v[2:3], 3, v[2:3]
	v_add_co_u32_e32 v2, vcc, s83, v2
	v_mov_b32_e32 v1, s73
	v_addc_co_u32_e32 v3, vcc, v1, v3, vcc
	global_load_dwordx2 v[4:5], v[2:3], off
	s_waitcnt vmcnt(0)
	v_cvt_f16_f32_e32 v1, v4
	global_load_dwordx2 v[2:3], v[2:3], off offset:512
	v_cvt_f16_f32_e32 v4, v5
	v_pack_b32_f16 v1, v1, v4
	v_pk_mul_f16 v1, v119, v1
	s_waitcnt vmcnt(0)
	v_cvt_f16_f32_e32 v2, v2
	v_cvt_f16_f32_e32 v3, v3
	v_pack_b32_f16 v2, v2, v3
	v_pk_mul_f16 v2, v119, v2
	ds_write2st64_b32 v90, v1, v2 offset0:99 offset1:100
.LBB30_350:                             ;   in Loop: Header=BB30_16 Depth=1
	s_or_b64 exec, exec, s[30:31]
	s_waitcnt lgkmcnt(0)
	s_barrier
	s_waitcnt vmcnt(0)
	ds_read2_b64 v[30:33], v247 offset1:4
	ds_read2_b64 v[26:29], v247 offset0:8 offset1:12
	ds_read2_b64 v[22:25], v247 offset0:16 offset1:20
	;; [unrolled: 1-line block ×7, first 2 shown]
	s_mov_b32 s42, 0
	s_cmp_lt_i32 s79, 2
	v_mov_b32_e32 v252, 0
	s_waitcnt lgkmcnt(0)
	s_barrier
	s_cbranch_scc1 .LBB30_395
; %bb.351:                              ;   in Loop: Header=BB30_16 Depth=1
	v_readlane_b32 s30, v254, 10
	v_mul_hi_u32 v1, s30, v87
	v_readlane_b32 s31, v254, 11
	v_add_u32_e32 v1, v87, v1
	v_lshrrev_b32_e32 v1, s31, v1
	v_mul_lo_u32 v1, v1, s84
	v_sub_u32_e32 v36, v87, v1
	v_mul_hi_u32 v1, s30, v89
	v_add_u32_e32 v1, v89, v1
	v_lshrrev_b32_e32 v1, s31, v1
	v_mul_lo_u32 v1, v1, s84
	v_sub_u32_e32 v37, v89, v1
	v_mul_hi_u32 v1, s30, v93
	;; [unrolled: 5-line block ×7, first 2 shown]
	v_add_u32_e32 v1, v253, v1
	v_lshrrev_b32_e32 v1, s31, v1
	v_mul_lo_u32 v1, v1, s84
	v_sub_u32_e32 v43, v253, v1
	v_and_b32_e32 v1, 64, v103
	v_add_u32_e32 v1, 64, v1
	v_xor_b32_e32 v34, 32, v103
	v_cmp_lt_i32_e32 vcc, v34, v1
	v_cndmask_b32_e32 v34, v103, v34, vcc
	v_lshlrev_b32_e32 v245, 2, v34
	v_xor_b32_e32 v34, 16, v103
	v_cmp_lt_i32_e32 vcc, v34, v1
	v_cndmask_b32_e32 v1, v103, v34, vcc
	buffer_load_dword v34, off, s[0:3], 0 offset:160 ; 4-byte Folded Reload
	buffer_load_dword v35, off, s[0:3], 0 offset:168 ; 4-byte Folded Reload
	s_add_i32 s42, s79, -1
	s_cmp_lg_u64 s[90:91], 0
	v_readlane_b32 s30, v255, 22
	v_readlane_b32 s31, v255, 23
	s_cselect_b64 s[40:41], -1, 0
	s_add_u32 s30, s30, s31
	s_addc_u32 s31, s81, s94
	v_lshlrev_b32_e32 v116, 2, v1
	v_mov_b32_e32 v1, s31
	v_mov_b32_e32 v115, 0
	;; [unrolled: 1-line block ×6, first 2 shown]
	s_mov_b32 s43, s42
	v_mov_b32_e32 v120, 0
	v_mov_b32_e32 v140, 0
	;; [unrolled: 1-line block ×31, first 2 shown]
	s_waitcnt vmcnt(1)
	v_add_co_u32_e32 v82, vcc, s30, v34
	buffer_load_dword v34, off, s[0:3], 0 offset:164 ; 4-byte Folded Reload
	s_waitcnt vmcnt(0)
	v_addc_co_u32_e32 v1, vcc, v34, v1, vcc
	v_add_co_u32_e32 v84, vcc, s30, v35
	buffer_load_dword v35, off, s[0:3], 0 offset:172 ; 4-byte Folded Reload
	v_mov_b32_e32 v34, s31
	v_readlane_b32 s31, v255, 25
	s_waitcnt vmcnt(0)
	v_addc_co_u32_e32 v51, vcc, v35, v34, vcc
	buffer_load_dword v35, off, s[0:3], 0 offset:176 ; 4-byte Folded Reload
	s_waitcnt vmcnt(0)
	v_add_co_u32_e32 v86, vcc, s30, v35
	buffer_load_dword v35, off, s[0:3], 0 offset:180 ; 4-byte Folded Reload
	s_waitcnt vmcnt(0)
	v_addc_co_u32_e32 v53, vcc, v35, v34, vcc
	buffer_load_dword v35, off, s[0:3], 0 offset:184 ; 4-byte Folded Reload
	s_waitcnt vmcnt(0)
	v_add_co_u32_e32 v88, vcc, s30, v35
	buffer_load_dword v35, off, s[0:3], 0 offset:188 ; 4-byte Folded Reload
	v_readlane_b32 s30, v255, 24
	s_add_u32 s30, s30, s31
	s_addc_u32 s31, s72, s82
	s_waitcnt vmcnt(0)
	v_addc_co_u32_e32 v55, vcc, v35, v34, vcc
	buffer_load_dword v35, off, s[0:3], 0 offset:192 ; 4-byte Folded Reload
	v_mov_b32_e32 v34, s31
	s_waitcnt vmcnt(0)
	v_add_co_u32_e32 v90, vcc, s30, v35
	buffer_load_dword v35, off, s[0:3], 0 offset:196 ; 4-byte Folded Reload
	s_waitcnt vmcnt(0)
	v_addc_co_u32_e32 v57, vcc, v35, v34, vcc
	buffer_load_dword v35, off, s[0:3], 0 offset:200 ; 4-byte Folded Reload
	s_waitcnt vmcnt(0)
	v_add_co_u32_e32 v92, vcc, s30, v35
	buffer_load_dword v35, off, s[0:3], 0 offset:204 ; 4-byte Folded Reload
	s_waitcnt vmcnt(0)
	v_addc_co_u32_e32 v61, vcc, v35, v34, vcc
	buffer_load_dword v35, off, s[0:3], 0 offset:208 ; 4-byte Folded Reload
	;; [unrolled: 6-line block ×3, first 2 shown]
	s_waitcnt vmcnt(0)
	v_add_co_u32_e32 v96, vcc, s30, v35
	buffer_load_dword v35, off, s[0:3], 0 offset:220 ; 4-byte Folded Reload
	v_readlane_b32 s30, v255, 19
	v_readlane_b32 s31, v255, 20
	s_mov_b32 s44, s30
	s_waitcnt vmcnt(0)
	v_addc_co_u32_e32 v85, vcc, v35, v34, vcc
	v_pk_mov_b32 v[34:35], s[90:91], s[90:91] op_sel:[0,1]
	v_mad_i64_i32 v[98:99], s[30:31], s44, v39, v[34:35]
	v_mad_i64_i32 v[100:101], s[30:31], s44, v38, v[34:35]
	;; [unrolled: 1-line block ×8, first 2 shown]
	s_andn2_b64 vcc, exec, s[40:41]
	s_cbranch_vccnz .LBB30_357
.LBB30_352:                             ;   in Loop: Header=BB30_16 Depth=1
                                        ; implicit-def: $sgpr44
	s_and_saveexec_b64 s[30:31], s[4:5]
	s_xor_b64 s[30:31], exec, s[30:31]
	s_cbranch_execz .LBB30_354
; %bb.353:                              ;   in Loop: Header=BB30_16 Depth=1
	v_add_u32_e32 v34, v129, v130
	ds_write_b16 v34, v127 offset:33792
	ds_write_b16 v34, v127 offset:34944
	;; [unrolled: 1-line block ×4, first 2 shown]
	s_mov_b32 s44, 0
.LBB30_354:                             ;   in Loop: Header=BB30_16 Depth=1
	s_or_saveexec_b64 s[30:31], s[30:31]
	v_mov_b32_e32 v34, s44
	v_mov_b32_e32 v35, s44
	;; [unrolled: 1-line block ×4, first 2 shown]
	s_xor_b64 exec, exec, s[30:31]
	s_cbranch_execz .LBB30_356
; %bb.355:                              ;   in Loop: Header=BB30_16 Depth=1
	v_add_co_u32_e32 v34, vcc, v104, v54
	v_addc_co_u32_e32 v35, vcc, 0, v105, vcc
	flat_load_ushort v36, v[34:35]
	v_add_co_u32_e32 v34, vcc, v102, v54
	v_addc_co_u32_e32 v35, vcc, 0, v103, vcc
	flat_load_ushort v37, v[34:35]
	;; [unrolled: 3-line block ×4, first 2 shown]
	v_add_u32_e32 v35, v129, v130
	s_waitcnt vmcnt(0) lgkmcnt(0)
	ds_write_b16 v35, v36 offset:33792
	ds_write_b16 v35, v37 offset:34944
	;; [unrolled: 1-line block ×4, first 2 shown]
	v_add_co_u32_e32 v34, vcc, v112, v54
	v_addc_co_u32_e32 v35, vcc, 0, v113, vcc
	v_add_co_u32_e32 v36, vcc, v110, v54
	v_addc_co_u32_e32 v37, vcc, 0, v111, vcc
	flat_load_ushort v34, v[34:35]
	s_nop 0
	flat_load_ushort v35, v[36:37]
	v_add_co_u32_e32 v36, vcc, v108, v54
	v_addc_co_u32_e32 v37, vcc, 0, v109, vcc
	v_add_co_u32_e32 v38, vcc, v106, v54
	v_addc_co_u32_e32 v39, vcc, 0, v107, vcc
	flat_load_ushort v36, v[36:37]
	s_nop 0
	flat_load_ushort v37, v[38:39]
.LBB30_356:                             ;   in Loop: Header=BB30_16 Depth=1
	s_or_b64 exec, exec, s[30:31]
	v_add_u32_e32 v38, v129, v130
	s_waitcnt vmcnt(0) lgkmcnt(0)
	ds_write_b16 v38, v34 offset:38400
	ds_write_b16 v38, v35 offset:39552
	;; [unrolled: 1-line block ×4, first 2 shown]
.LBB30_357:                             ;   Parent Loop BB30_16 Depth=1
                                        ; =>  This Inner Loop Header: Depth=2
	v_add_co_u32_e32 v34, vcc, v90, v60
	v_addc_co_u32_e32 v35, vcc, 0, v57, vcc
	v_mov_b32_e32 v38, s37
	v_mov_b32_e32 v39, s36
	buffer_store_dword v127, off, s[0:3], 0
	buffer_store_dword v127, off, s[0:3], 0 offset:4
	buffer_store_dword v127, off, s[0:3], 0 offset:8
	;; [unrolled: 1-line block ×3, first 2 shown]
	v_cndmask_b32_e64 v35, v38, v35, s[6:7]
	v_cndmask_b32_e64 v34, v39, v34, s[6:7]
	flat_load_dwordx4 v[34:37], v[34:35]
	v_add_u32_e32 v46, 0x4000, v139
	s_waitcnt vmcnt(0) lgkmcnt(0)
	ds_write_b128 v132, v[34:37]
	v_add_co_u32_e32 v34, vcc, v92, v60
	v_addc_co_u32_e32 v35, vcc, 0, v61, vcc
	v_cndmask_b32_e64 v35, v38, v35, s[88:89]
	v_cndmask_b32_e64 v34, v39, v34, s[88:89]
	flat_load_dwordx4 v[34:37], v[34:35]
	s_waitcnt vmcnt(0) lgkmcnt(0)
	ds_write_b128 v134, v[34:37]
	v_add_co_u32_e32 v34, vcc, v94, v60
	v_addc_co_u32_e32 v35, vcc, 0, v83, vcc
	v_cndmask_b32_e64 v35, v38, v35, s[10:11]
	v_cndmask_b32_e64 v34, v39, v34, s[10:11]
	flat_load_dwordx4 v[34:37], v[34:35]
	;; [unrolled: 7-line block ×3, first 2 shown]
	s_waitcnt vmcnt(0) lgkmcnt(0)
	ds_write_b128 v138, v[34:37]
	s_waitcnt lgkmcnt(0)
	s_barrier
	ds_read2_b64 v[34:37], v139 offset1:4
	s_waitcnt lgkmcnt(0)
	v_mfma_f32_16x16x16f16 v[38:41], v[34:35], v[30:31], 0
	v_mfma_f32_16x16x16f16 v[34:37], v[36:37], v[32:33], v[38:41]
	s_nop 7
	s_nop 1
	ds_read2_b64 v[38:41], v139 offset0:8 offset1:12
	s_waitcnt lgkmcnt(0)
	v_mfma_f32_16x16x16f16 v[34:37], v[38:39], v[26:27], v[34:37]
	v_mfma_f32_16x16x16f16 v[34:37], v[40:41], v[28:29], v[34:37]
	ds_read2_b64 v[38:41], v139 offset0:16 offset1:20
	s_waitcnt lgkmcnt(0)
	v_mfma_f32_16x16x16f16 v[34:37], v[38:39], v[22:23], v[34:37]
	v_mfma_f32_16x16x16f16 v[34:37], v[40:41], v[24:25], v[34:37]
	;; [unrolled: 4-line block ×7, first 2 shown]
	ds_read2_b64 v[38:41], v46 offset0:64 offset1:68
	s_waitcnt lgkmcnt(0)
	v_mfma_f32_16x16x16f16 v[42:45], v[38:39], v[30:31], 0
	s_nop 7
	v_cmp_nlt_f32_e64 s[30:31], |v34|, s69
	v_mfma_f32_16x16x16f16 v[38:41], v[40:41], v[32:33], v[42:45]
	s_nop 6
	ds_read2_b64 v[42:45], v46 offset0:72 offset1:76
	s_waitcnt lgkmcnt(0)
	v_mfma_f32_16x16x16f16 v[38:41], v[42:43], v[26:27], v[38:41]
	v_mfma_f32_16x16x16f16 v[38:41], v[44:45], v[28:29], v[38:41]
	ds_read2_b64 v[42:45], v46 offset0:80 offset1:84
	s_waitcnt lgkmcnt(0)
	v_mfma_f32_16x16x16f16 v[38:41], v[42:43], v[22:23], v[38:41]
	v_mfma_f32_16x16x16f16 v[38:41], v[44:45], v[24:25], v[38:41]
	;; [unrolled: 4-line block ×6, first 2 shown]
	ds_read2_b64 v[42:45], v46 offset0:120 offset1:124
	s_waitcnt lgkmcnt(0)
	s_barrier
	v_mfma_f32_16x16x16f16 v[38:41], v[42:43], v[2:3], v[38:41]
                                        ; implicit-def: $vgpr42
	v_mfma_f32_16x16x16f16 v[38:41], v[44:45], v[4:5], v[38:41]
	s_and_saveexec_b64 s[44:45], s[30:31]
	s_xor_b64 s[30:31], exec, s[44:45]
	s_cbranch_execz .LBB30_359
; %bb.358:                              ;   in Loop: Header=BB30_357 Depth=2
	v_add_f32_e64 v42, |v34|, |v34|
	v_mul_f32_e32 v43, 0x3fb8aa3b, v42
	v_rndne_f32_e32 v44, v43
	v_sub_f32_e32 v45, v43, v44
	v_fma_f32 v43, v42, s85, -v43
	v_fmac_f32_e32 v43, 0x32a5705f, v42
	v_add_f32_e32 v43, v45, v43
	v_cvt_i32_f32_e32 v44, v44
	v_exp_f32_e32 v43, v43
	v_cmp_ngt_f32_e32 vcc, s8, v42
	v_ldexp_f32 v43, v43, v44
	v_cndmask_b32_e32 v43, 0, v43, vcc
	v_cmp_nlt_f32_e32 vcc, s9, v42
	v_cndmask_b32_e32 v42, v251, v43, vcc
	v_add_f32_e32 v42, 1.0, v42
	v_rcp_f32_e32 v42, v42
	v_fma_f32 v42, v42, -2.0, 1.0
.LBB30_359:                             ;   in Loop: Header=BB30_357 Depth=2
	s_andn2_saveexec_b64 s[30:31], s[30:31]
; %bb.360:                              ;   in Loop: Header=BB30_357 Depth=2
	v_mul_f32_e32 v42, v34, v34
	v_mov_b32_e32 v43, 0x3ca908c9
	v_fmac_f32_e32 v43, 0xbbbac73d, v42
	v_fma_f32 v43, v42, v43, v58
	v_fma_f32 v43, v42, v43, v59
	v_fma_f32 v43, v42, v43, v0
	v_mul_f32_e64 v43, |v34|, v43
	v_fma_f32 v42, v42, v43, |v34|
; %bb.361:                              ;   in Loop: Header=BB30_357 Depth=2
	s_or_b64 exec, exec, s[30:31]
	v_cmp_nlt_f32_e64 s[30:31], |v35|, s69
                                        ; implicit-def: $vgpr43
	s_and_saveexec_b64 s[44:45], s[30:31]
	s_xor_b64 s[30:31], exec, s[44:45]
	s_cbranch_execz .LBB30_363
; %bb.362:                              ;   in Loop: Header=BB30_357 Depth=2
	v_add_f32_e64 v43, |v35|, |v35|
	v_mul_f32_e32 v44, 0x3fb8aa3b, v43
	v_rndne_f32_e32 v45, v44
	v_sub_f32_e32 v46, v44, v45
	v_fma_f32 v44, v43, s85, -v44
	v_fmac_f32_e32 v44, 0x32a5705f, v43
	v_add_f32_e32 v44, v46, v44
	v_cvt_i32_f32_e32 v45, v45
	v_exp_f32_e32 v44, v44
	v_cmp_ngt_f32_e32 vcc, s8, v43
	v_ldexp_f32 v44, v44, v45
	v_cndmask_b32_e32 v44, 0, v44, vcc
	v_cmp_nlt_f32_e32 vcc, s9, v43
	v_cndmask_b32_e32 v43, v251, v44, vcc
	v_add_f32_e32 v43, 1.0, v43
	v_rcp_f32_e32 v43, v43
	v_fma_f32 v43, v43, -2.0, 1.0
.LBB30_363:                             ;   in Loop: Header=BB30_357 Depth=2
	s_andn2_saveexec_b64 s[30:31], s[30:31]
; %bb.364:                              ;   in Loop: Header=BB30_357 Depth=2
	v_mul_f32_e32 v43, v35, v35
	v_mov_b32_e32 v44, 0x3ca908c9
	v_fmac_f32_e32 v44, 0xbbbac73d, v43
	v_fma_f32 v44, v43, v44, v58
	v_fma_f32 v44, v43, v44, v59
	v_fma_f32 v44, v43, v44, v0
	v_mul_f32_e64 v44, |v35|, v44
	v_fma_f32 v43, v43, v44, |v35|
; %bb.365:                              ;   in Loop: Header=BB30_357 Depth=2
	s_or_b64 exec, exec, s[30:31]
	v_cmp_nlt_f32_e64 s[30:31], |v36|, s69
                                        ; implicit-def: $vgpr44
	s_and_saveexec_b64 s[44:45], s[30:31]
	s_xor_b64 s[30:31], exec, s[44:45]
	s_cbranch_execz .LBB30_367
; %bb.366:                              ;   in Loop: Header=BB30_357 Depth=2
	v_add_f32_e64 v44, |v36|, |v36|
	v_mul_f32_e32 v45, 0x3fb8aa3b, v44
	v_rndne_f32_e32 v46, v45
	v_sub_f32_e32 v47, v45, v46
	v_fma_f32 v45, v44, s85, -v45
	v_fmac_f32_e32 v45, 0x32a5705f, v44
	v_add_f32_e32 v45, v47, v45
	v_cvt_i32_f32_e32 v46, v46
	v_exp_f32_e32 v45, v45
	v_cmp_ngt_f32_e32 vcc, s8, v44
	v_ldexp_f32 v45, v45, v46
	v_cndmask_b32_e32 v45, 0, v45, vcc
	v_cmp_nlt_f32_e32 vcc, s9, v44
	v_cndmask_b32_e32 v44, v251, v45, vcc
	v_add_f32_e32 v44, 1.0, v44
	v_rcp_f32_e32 v44, v44
	v_fma_f32 v44, v44, -2.0, 1.0
.LBB30_367:                             ;   in Loop: Header=BB30_357 Depth=2
	s_andn2_saveexec_b64 s[30:31], s[30:31]
; %bb.368:                              ;   in Loop: Header=BB30_357 Depth=2
	v_mul_f32_e32 v44, v36, v36
	v_mov_b32_e32 v45, 0x3ca908c9
	v_fmac_f32_e32 v45, 0xbbbac73d, v44
	v_fma_f32 v45, v44, v45, v58
	v_fma_f32 v45, v44, v45, v59
	;; [unrolled: 1-line block ×3, first 2 shown]
	v_mul_f32_e64 v45, |v36|, v45
	v_fma_f32 v44, v44, v45, |v36|
; %bb.369:                              ;   in Loop: Header=BB30_357 Depth=2
	s_or_b64 exec, exec, s[30:31]
	v_cmp_nlt_f32_e64 s[30:31], |v37|, s69
                                        ; implicit-def: $vgpr45
	s_and_saveexec_b64 s[44:45], s[30:31]
	s_xor_b64 s[30:31], exec, s[44:45]
	s_cbranch_execz .LBB30_371
; %bb.370:                              ;   in Loop: Header=BB30_357 Depth=2
	v_add_f32_e64 v45, |v37|, |v37|
	v_mul_f32_e32 v46, 0x3fb8aa3b, v45
	v_rndne_f32_e32 v47, v46
	v_sub_f32_e32 v48, v46, v47
	v_fma_f32 v46, v45, s85, -v46
	v_fmac_f32_e32 v46, 0x32a5705f, v45
	v_add_f32_e32 v46, v48, v46
	v_cvt_i32_f32_e32 v47, v47
	v_exp_f32_e32 v46, v46
	v_cmp_ngt_f32_e32 vcc, s8, v45
	v_ldexp_f32 v46, v46, v47
	v_cndmask_b32_e32 v46, 0, v46, vcc
	v_cmp_nlt_f32_e32 vcc, s9, v45
	v_cndmask_b32_e32 v45, v251, v46, vcc
	v_add_f32_e32 v45, 1.0, v45
	v_rcp_f32_e32 v45, v45
	v_fma_f32 v45, v45, -2.0, 1.0
.LBB30_371:                             ;   in Loop: Header=BB30_357 Depth=2
	s_andn2_saveexec_b64 s[30:31], s[30:31]
; %bb.372:                              ;   in Loop: Header=BB30_357 Depth=2
	v_mul_f32_e32 v45, v37, v37
	v_mov_b32_e32 v46, 0x3ca908c9
	v_fmac_f32_e32 v46, 0xbbbac73d, v45
	v_fma_f32 v46, v45, v46, v58
	v_fma_f32 v46, v45, v46, v59
	;; [unrolled: 1-line block ×3, first 2 shown]
	v_mul_f32_e64 v46, |v37|, v46
	v_fma_f32 v45, v45, v46, |v37|
; %bb.373:                              ;   in Loop: Header=BB30_357 Depth=2
	s_or_b64 exec, exec, s[30:31]
	v_cmp_nlt_f32_e64 s[30:31], |v38|, s69
                                        ; implicit-def: $vgpr46
	s_and_saveexec_b64 s[44:45], s[30:31]
	s_xor_b64 s[30:31], exec, s[44:45]
	s_cbranch_execz .LBB30_375
; %bb.374:                              ;   in Loop: Header=BB30_357 Depth=2
	v_add_f32_e64 v46, |v38|, |v38|
	v_mul_f32_e32 v47, 0x3fb8aa3b, v46
	v_rndne_f32_e32 v48, v47
	v_sub_f32_e32 v49, v47, v48
	v_fma_f32 v47, v46, s85, -v47
	v_fmac_f32_e32 v47, 0x32a5705f, v46
	v_add_f32_e32 v47, v49, v47
	v_cvt_i32_f32_e32 v48, v48
	v_exp_f32_e32 v47, v47
	v_cmp_ngt_f32_e32 vcc, s8, v46
	v_ldexp_f32 v47, v47, v48
	v_cndmask_b32_e32 v47, 0, v47, vcc
	v_cmp_nlt_f32_e32 vcc, s9, v46
	v_cndmask_b32_e32 v46, v251, v47, vcc
	v_add_f32_e32 v46, 1.0, v46
	v_rcp_f32_e32 v46, v46
	v_fma_f32 v46, v46, -2.0, 1.0
.LBB30_375:                             ;   in Loop: Header=BB30_357 Depth=2
	s_andn2_saveexec_b64 s[30:31], s[30:31]
; %bb.376:                              ;   in Loop: Header=BB30_357 Depth=2
	v_mul_f32_e32 v46, v38, v38
	v_mov_b32_e32 v47, 0x3ca908c9
	v_fmac_f32_e32 v47, 0xbbbac73d, v46
	v_fma_f32 v47, v46, v47, v58
	v_fma_f32 v47, v46, v47, v59
	;; [unrolled: 1-line block ×3, first 2 shown]
	v_mul_f32_e64 v47, |v38|, v47
	v_fma_f32 v46, v46, v47, |v38|
; %bb.377:                              ;   in Loop: Header=BB30_357 Depth=2
	s_or_b64 exec, exec, s[30:31]
	v_cmp_nlt_f32_e64 s[30:31], |v39|, s69
                                        ; implicit-def: $vgpr47
	s_and_saveexec_b64 s[44:45], s[30:31]
	s_xor_b64 s[30:31], exec, s[44:45]
	s_cbranch_execz .LBB30_379
; %bb.378:                              ;   in Loop: Header=BB30_357 Depth=2
	v_add_f32_e64 v47, |v39|, |v39|
	v_mul_f32_e32 v48, 0x3fb8aa3b, v47
	v_rndne_f32_e32 v49, v48
	v_sub_f32_e32 v79, v48, v49
	v_fma_f32 v48, v47, s85, -v48
	v_fmac_f32_e32 v48, 0x32a5705f, v47
	v_add_f32_e32 v48, v79, v48
	v_cvt_i32_f32_e32 v49, v49
	v_exp_f32_e32 v48, v48
	v_cmp_ngt_f32_e32 vcc, s8, v47
	v_ldexp_f32 v48, v48, v49
	v_cndmask_b32_e32 v48, 0, v48, vcc
	v_cmp_nlt_f32_e32 vcc, s9, v47
	v_cndmask_b32_e32 v47, v251, v48, vcc
	v_add_f32_e32 v47, 1.0, v47
	v_rcp_f32_e32 v47, v47
	v_fma_f32 v47, v47, -2.0, 1.0
.LBB30_379:                             ;   in Loop: Header=BB30_357 Depth=2
	s_andn2_saveexec_b64 s[30:31], s[30:31]
; %bb.380:                              ;   in Loop: Header=BB30_357 Depth=2
	v_mul_f32_e32 v47, v39, v39
	v_mov_b32_e32 v48, 0x3ca908c9
	v_fmac_f32_e32 v48, 0xbbbac73d, v47
	v_fma_f32 v48, v47, v48, v58
	v_fma_f32 v48, v47, v48, v59
	;; [unrolled: 1-line block ×3, first 2 shown]
	v_mul_f32_e64 v48, |v39|, v48
	v_fma_f32 v47, v47, v48, |v39|
; %bb.381:                              ;   in Loop: Header=BB30_357 Depth=2
	s_or_b64 exec, exec, s[30:31]
	v_cmp_nlt_f32_e64 s[30:31], |v40|, s69
                                        ; implicit-def: $vgpr48
	s_and_saveexec_b64 s[44:45], s[30:31]
	s_xor_b64 s[30:31], exec, s[44:45]
	s_cbranch_execz .LBB30_383
; %bb.382:                              ;   in Loop: Header=BB30_357 Depth=2
	v_add_f32_e64 v48, |v40|, |v40|
	v_mul_f32_e32 v49, 0x3fb8aa3b, v48
	v_rndne_f32_e32 v79, v49
	v_sub_f32_e32 v123, v49, v79
	v_fma_f32 v49, v48, s85, -v49
	v_fmac_f32_e32 v49, 0x32a5705f, v48
	v_add_f32_e32 v49, v123, v49
	v_cvt_i32_f32_e32 v79, v79
	v_exp_f32_e32 v49, v49
	v_cmp_ngt_f32_e32 vcc, s8, v48
	v_ldexp_f32 v49, v49, v79
	v_cndmask_b32_e32 v49, 0, v49, vcc
	v_cmp_nlt_f32_e32 vcc, s9, v48
	v_cndmask_b32_e32 v48, v251, v49, vcc
	v_add_f32_e32 v48, 1.0, v48
	v_rcp_f32_e32 v48, v48
	v_fma_f32 v48, v48, -2.0, 1.0
.LBB30_383:                             ;   in Loop: Header=BB30_357 Depth=2
	s_andn2_saveexec_b64 s[30:31], s[30:31]
; %bb.384:                              ;   in Loop: Header=BB30_357 Depth=2
	v_mul_f32_e32 v48, v40, v40
	v_mov_b32_e32 v49, 0x3ca908c9
	v_fmac_f32_e32 v49, 0xbbbac73d, v48
	v_fma_f32 v49, v48, v49, v58
	v_fma_f32 v49, v48, v49, v59
	;; [unrolled: 1-line block ×3, first 2 shown]
	v_mul_f32_e64 v49, |v40|, v49
	v_fma_f32 v48, v48, v49, |v40|
; %bb.385:                              ;   in Loop: Header=BB30_357 Depth=2
	s_or_b64 exec, exec, s[30:31]
	v_cmp_nlt_f32_e64 s[30:31], |v41|, s69
                                        ; implicit-def: $vgpr79
	s_and_saveexec_b64 s[44:45], s[30:31]
	s_xor_b64 s[30:31], exec, s[44:45]
	s_cbranch_execz .LBB30_387
; %bb.386:                              ;   in Loop: Header=BB30_357 Depth=2
	v_add_f32_e64 v49, |v41|, |v41|
	v_mul_f32_e32 v79, 0x3fb8aa3b, v49
	v_rndne_f32_e32 v123, v79
	v_sub_f32_e32 v124, v79, v123
	v_fma_f32 v79, v49, s85, -v79
	v_fmac_f32_e32 v79, 0x32a5705f, v49
	v_add_f32_e32 v79, v124, v79
	v_cvt_i32_f32_e32 v123, v123
	v_exp_f32_e32 v79, v79
	v_cmp_ngt_f32_e32 vcc, s8, v49
	v_ldexp_f32 v79, v79, v123
	v_cndmask_b32_e32 v79, 0, v79, vcc
	v_cmp_nlt_f32_e32 vcc, s9, v49
	v_cndmask_b32_e32 v49, v251, v79, vcc
	v_add_f32_e32 v49, 1.0, v49
	v_rcp_f32_e32 v49, v49
	v_fma_f32 v79, v49, -2.0, 1.0
.LBB30_387:                             ;   in Loop: Header=BB30_357 Depth=2
	s_andn2_saveexec_b64 s[30:31], s[30:31]
; %bb.388:                              ;   in Loop: Header=BB30_357 Depth=2
	v_mul_f32_e32 v49, v41, v41
	v_mov_b32_e32 v79, 0x3ca908c9
	v_fmac_f32_e32 v79, 0xbbbac73d, v49
	v_fma_f32 v79, v49, v79, v58
	v_fma_f32 v79, v49, v79, v59
	v_fma_f32 v79, v49, v79, v0
	v_mul_f32_e64 v79, |v41|, v79
	v_fma_f32 v79, v49, v79, |v41|
; %bb.389:                              ;   in Loop: Header=BB30_357 Depth=2
	s_or_b64 exec, exec, s[30:31]
	v_bfi_b32 v34, s68, v42, v34
	v_bfi_b32 v38, s68, v46, v38
	v_mul_f32_e32 v46, s97, v34
	v_bfi_b32 v34, s68, v43, v35
	v_bfi_b32 v39, s68, v47, v39
	v_mul_f32_e32 v47, s97, v34
	;; [unrolled: 3-line block ×3, first 2 shown]
	v_bfi_b32 v34, s68, v45, v37
	v_mul_f32_e32 v49, s97, v34
	v_bfi_b32 v34, s68, v79, v41
	v_mul_f32_e32 v38, s97, v38
	v_mul_f32_e32 v39, s97, v39
	;; [unrolled: 1-line block ×4, first 2 shown]
	s_and_b64 vcc, exec, s[40:41]
	s_cbranch_vccz .LBB30_394
; %bb.390:                              ;   in Loop: Header=BB30_357 Depth=2
	v_add_u32_e32 v34, 0x8400, v50
	ds_read2_b32 v[34:35], v34 offset1:1
	ds_read_b32 v42, v126 offset:33792
	ds_read_b32 v43, v145 offset:33792
	v_mov_b32_e32 v79, v78
	s_waitcnt lgkmcnt(2)
	v_cvt_f32_f16_e32 v36, v34
	v_cvt_f32_f16_sdwa v37, v34 dst_sel:DWORD dst_unused:UNUSED_PAD src0_sel:WORD_1
	v_cvt_f32_f16_e32 v34, v35
	v_cvt_f32_f16_sdwa v35, v35 dst_sel:DWORD dst_unused:UNUSED_PAD src0_sel:WORD_1
	s_waitcnt lgkmcnt(1)
	v_cvt_f32_f16_sdwa v125, v42 dst_sel:DWORD dst_unused:UNUSED_PAD src0_sel:WORD_1
	s_waitcnt lgkmcnt(0)
	v_cvt_f32_f16_sdwa v183, v43 dst_sel:DWORD dst_unused:UNUSED_PAD src0_sel:WORD_1
	v_cvt_f32_f16_e32 v182, v43
	v_cvt_f32_f16_e32 v124, v42
	v_pk_fma_f32 v[44:45], v[78:79], v[34:35], v[48:49]
	v_pk_fma_f32 v[42:43], v[80:81], v[36:37], v[46:47]
	v_pk_fma_f32 v[36:37], v[78:79], v[182:183], v[40:41]
	v_pk_fma_f32 v[34:35], v[80:81], v[124:125], v[38:39]
	s_cbranch_execnz .LBB30_392
.LBB30_391:                             ;   in Loop: Header=BB30_357 Depth=2
	v_pk_mov_b32 v[34:35], v[38:39], v[38:39] op_sel:[0,1]
	v_pk_mov_b32 v[42:43], v[46:47], v[46:47] op_sel:[0,1]
	;; [unrolled: 1-line block ×4, first 2 shown]
.LBB30_392:                             ;   in Loop: Header=BB30_357 Depth=2
	v_add_f32_e32 v38, 0x40051340, v42
	v_max_f32_e32 v39, v122, v122
	v_max_f32_e32 v38, v39, v38
	v_cndmask_b32_e64 v38, v122, v38, s[14:15]
	v_add_f32_e32 v39, 0x40051340, v43
	v_max_f32_e32 v40, v38, v38
	v_max_f32_e32 v39, v40, v39
	v_cndmask_b32_e64 v38, v38, v39, s[16:17]
	;; [unrolled: 4-line block ×8, first 2 shown]
	ds_bpermute_b32 v39, v245, v38
	v_max_f32_e32 v38, v38, v38
	v_cndmask_b32_e64 v35, v35, v35, s[22:23]
	v_cndmask_b32_e64 v36, v36, v36, s[22:23]
	;; [unrolled: 1-line block ×3, first 2 shown]
	s_waitcnt lgkmcnt(0)
	v_max_f32_e32 v39, v39, v39
	v_max_f32_e32 v38, v38, v39
	ds_bpermute_b32 v39, v116, v38
	buffer_store_dword v127, off, s[0:3], 0
	buffer_store_dword v127, off, s[0:3], 0 offset:4
	buffer_store_dword v127, off, s[0:3], 0 offset:8
	;; [unrolled: 1-line block ×3, first 2 shown]
	s_add_i32 s43, s43, -1
	s_cmp_lg_u32 s43, 0
	s_waitcnt lgkmcnt(0)
	v_max_f32_e32 v39, v39, v39
	v_max_f32_e32 v38, v38, v39
	v_sub_f32_e32 v39, v42, v38
	v_mul_f32_e32 v40, 0x3fb8aa3b, v39
	v_fma_f32 v41, v39, s85, -v40
	v_rndne_f32_e32 v42, v40
	v_fmac_f32_e32 v41, 0x32a5705f, v39
	v_sub_f32_e32 v40, v40, v42
	v_add_f32_e32 v40, v40, v41
	v_exp_f32_e32 v40, v40
	v_cvt_i32_f32_e32 v41, v42
	v_cmp_ngt_f32_e32 vcc, s8, v39
	v_sub_f32_e32 v34, v34, v38
	v_sub_f32_e32 v35, v35, v38
	v_ldexp_f32 v40, v40, v41
	v_cndmask_b32_e32 v40, 0, v40, vcc
	v_cmp_nlt_f32_e32 vcc, s9, v39
	v_cndmask_b32_e32 v39, v251, v40, vcc
	v_cndmask_b32_e64 v48, 0, v39, s[14:15]
	v_sub_f32_e32 v39, v43, v38
	v_mul_f32_e32 v40, 0x3fb8aa3b, v39
	v_fma_f32 v41, v39, s85, -v40
	v_rndne_f32_e32 v42, v40
	v_fmac_f32_e32 v41, 0x32a5705f, v39
	v_sub_f32_e32 v40, v40, v42
	v_add_f32_e32 v40, v40, v41
	v_exp_f32_e32 v40, v40
	v_cvt_i32_f32_e32 v41, v42
	v_cmp_ngt_f32_e32 vcc, s8, v39
	v_cndmask_b32_e64 v43, v44, v44, s[16:17]
	v_cndmask_b32_e64 v42, v45, v45, s[16:17]
	v_ldexp_f32 v40, v40, v41
	v_cndmask_b32_e32 v40, 0, v40, vcc
	v_cmp_nlt_f32_e32 vcc, s9, v39
	v_cndmask_b32_e32 v40, v251, v40, vcc
	v_mov_b32_e32 v39, s95
	v_add_f32_e32 v41, v40, v48
	v_cndmask_b32_e64 v125, v39, v40, s[16:17]
	v_sub_f32_e32 v40, v43, v38
	v_cndmask_b32_e64 v39, v48, v41, s[16:17]
	v_mul_f32_e32 v41, 0x3fb8aa3b, v40
	v_fma_f32 v43, v40, s85, -v41
	v_rndne_f32_e32 v44, v41
	v_fmac_f32_e32 v43, 0x32a5705f, v40
	v_sub_f32_e32 v41, v41, v44
	v_add_f32_e32 v41, v41, v43
	v_exp_f32_e32 v41, v41
	v_cvt_i32_f32_e32 v43, v44
	v_cmp_ngt_f32_e32 vcc, s8, v40
	v_ldexp_f32 v41, v41, v43
	v_cndmask_b32_e32 v41, 0, v41, vcc
	v_cmp_nlt_f32_e32 vcc, s9, v40
	v_cndmask_b32_e32 v41, v251, v41, vcc
	v_add_f32_e32 v43, v39, v41
	v_mov_b32_e32 v40, s95
	v_cndmask_b32_e64 v141, v40, v41, s[18:19]
	v_cndmask_b32_e64 v40, v39, v43, s[18:19]
	v_sub_f32_e32 v39, v42, v38
	v_mul_f32_e32 v41, 0x3fb8aa3b, v39
	v_fma_f32 v42, v39, s85, -v41
	v_rndne_f32_e32 v43, v41
	v_fmac_f32_e32 v42, 0x32a5705f, v39
	v_sub_f32_e32 v41, v41, v43
	v_add_f32_e32 v41, v41, v42
	v_exp_f32_e32 v41, v41
	v_cvt_i32_f32_e32 v42, v43
	v_cmp_ngt_f32_e32 vcc, s8, v39
	v_ldexp_f32 v41, v41, v42
	v_cndmask_b32_e32 v41, 0, v41, vcc
	v_cmp_nlt_f32_e32 vcc, s9, v39
	v_cndmask_b32_e32 v41, v251, v41, vcc
	v_add_f32_e32 v42, v40, v41
	v_mov_b32_e32 v39, s95
	v_cndmask_b32_e64 v143, v39, v41, s[20:21]
	v_cndmask_b32_e64 v39, v40, v42, s[20:21]
	v_mul_f32_e32 v40, 0x3fb8aa3b, v34
	v_fma_f32 v41, v34, s85, -v40
	v_rndne_f32_e32 v42, v40
	v_fmac_f32_e32 v41, 0x32a5705f, v34
	v_sub_f32_e32 v40, v40, v42
	v_add_f32_e32 v40, v40, v41
	v_exp_f32_e32 v40, v40
	v_cvt_i32_f32_e32 v41, v42
	v_cmp_ngt_f32_e32 vcc, s8, v34
	v_ldexp_f32 v40, v40, v41
	v_cndmask_b32_e32 v40, 0, v40, vcc
	v_cmp_nlt_f32_e32 vcc, s9, v34
	v_cndmask_b32_e32 v40, v251, v40, vcc
	v_add_f32_e32 v41, v40, v39
	v_mov_b32_e32 v34, s95
	v_cndmask_b32_e64 v182, v34, v40, s[22:23]
	v_cndmask_b32_e64 v34, v39, v41, s[22:23]
	;; [unrolled: 17-line block ×3, first 2 shown]
	v_sub_f32_e32 v34, v36, v38
	v_mul_f32_e32 v36, 0x3fb8aa3b, v34
	v_fma_f32 v39, v34, s85, -v36
	v_rndne_f32_e32 v40, v36
	v_fmac_f32_e32 v39, 0x32a5705f, v34
	v_sub_f32_e32 v36, v36, v40
	v_add_f32_e32 v36, v36, v39
	v_exp_f32_e32 v36, v36
	v_cvt_i32_f32_e32 v39, v40
	v_cmp_ngt_f32_e32 vcc, s8, v34
	v_ldexp_f32 v36, v36, v39
	v_cndmask_b32_e32 v36, 0, v36, vcc
	v_cmp_nlt_f32_e32 vcc, s9, v34
	v_cndmask_b32_e32 v36, v251, v36, vcc
	v_add_f32_e32 v39, v36, v35
	v_mov_b32_e32 v34, s95
	v_cndmask_b32_e64 v128, v34, v36, s[26:27]
	v_cndmask_b32_e64 v34, v35, v39, s[26:27]
	v_sub_f32_e32 v35, v37, v38
	v_mul_f32_e32 v36, 0x3fb8aa3b, v35
	v_fma_f32 v37, v35, s85, -v36
	v_rndne_f32_e32 v39, v36
	v_fmac_f32_e32 v37, 0x32a5705f, v35
	v_sub_f32_e32 v36, v36, v39
	v_add_f32_e32 v36, v36, v37
	v_exp_f32_e32 v36, v36
	v_cvt_i32_f32_e32 v37, v39
	v_cmp_ngt_f32_e32 vcc, s8, v35
	v_ldexp_f32 v36, v36, v37
	v_cndmask_b32_e32 v36, 0, v36, vcc
	v_cmp_nlt_f32_e32 vcc, s9, v35
	v_cndmask_b32_e32 v36, v251, v36, vcc
	v_add_f32_e32 v37, v36, v34
	v_mov_b32_e32 v35, s95
	v_cndmask_b32_e64 v39, v34, v37, s[28:29]
	v_sub_f32_e32 v34, v122, v38
	v_cndmask_b32_e64 v35, v35, v36, s[28:29]
	v_mul_f32_e32 v36, 0x3fb8aa3b, v34
	v_fma_f32 v37, v34, s85, -v36
	v_rndne_f32_e32 v40, v36
	v_fmac_f32_e32 v37, 0x32a5705f, v34
	v_sub_f32_e32 v36, v36, v40
	v_add_f32_e32 v36, v36, v37
	v_exp_f32_e32 v36, v36
	v_cvt_i32_f32_e32 v37, v40
	v_cmp_ngt_f32_e32 vcc, s8, v34
	v_cvt_f16_f32_e32 v35, v35
	v_ldexp_f32 v36, v36, v37
	v_cndmask_b32_e32 v36, 0, v36, vcc
	v_cmp_nlt_f32_e32 vcc, s9, v34
	v_cndmask_b32_e32 v36, v251, v36, vcc
	v_cmp_le_f32_e32 vcc, s70, v34
	v_cndmask_b32_e32 v34, 0, v36, vcc
	v_fmac_f32_e32 v39, v121, v34
	v_cvt_f16_f32_e32 v34, v34
	v_cvt_f16_f32_e32 v36, v125
	;; [unrolled: 1-line block ×3, first 2 shown]
	v_mov_b32_e32 v125, s36
	v_pk_mul_f16 v124, v34, v249 op_sel_hi:[0,1]
	v_pk_mul_f16 v249, v34, v252 op_sel_hi:[0,1]
	;; [unrolled: 1-line block ×32, first 2 shown]
	v_cvt_f16_f32_e32 v34, v48
	v_cvt_f16_f32_e32 v48, v183
	v_mov_b32_e32 v120, s37
	v_pack_b32_f16 v36, v34, v36
	v_cvt_f16_f32_e32 v34, v141
	v_pack_b32_f16 v37, v34, v37
	v_cvt_f16_f32_e32 v34, v182
	;; [unrolled: 2-line block ×3, first 2 shown]
	v_pack_b32_f16 v35, v48, v35
	v_add_co_u32_e32 v48, vcc, v82, v60
	v_addc_co_u32_e32 v114, vcc, 0, v1, vcc
	v_cndmask_b32_e64 v115, v120, v114, s[6:7]
	v_cndmask_b32_e64 v114, v125, v48, s[6:7]
	flat_load_dwordx4 v[140:143], v[114:115]
	v_add_co_u32_e32 v48, vcc, v84, v60
	v_addc_co_u32_e32 v128, vcc, 0, v51, vcc
	v_cndmask_b32_e64 v183, v120, v128, s[88:89]
	v_cndmask_b32_e64 v182, v125, v48, s[88:89]
	v_add_co_u32_e32 v48, vcc, v86, v60
	v_addc_co_u32_e32 v128, vcc, 0, v53, vcc
	v_cndmask_b32_e64 v237, v120, v128, s[10:11]
	v_cndmask_b32_e64 v236, v125, v48, s[10:11]
	;; [unrolled: 4-line block ×3, first 2 shown]
	v_add_u32_e32 v48, v146, v178
	v_add_co_u32_e32 v82, vcc, s92, v82
	s_waitcnt vmcnt(0) lgkmcnt(0)
	ds_write_b128 v132, v[140:143]
	flat_load_dwordx4 v[140:143], v[182:183]
	s_waitcnt vmcnt(0) lgkmcnt(0)
	ds_write_b128 v134, v[140:143]
	flat_load_dwordx4 v[140:143], v[236:237]
	;; [unrolled: 3-line block ×3, first 2 shown]
	s_waitcnt vmcnt(0) lgkmcnt(0)
	ds_write_b128 v138, v[140:143]
	s_waitcnt lgkmcnt(0)
	s_barrier
	ds_read_u16 v114, v48 offset:528
	ds_read_u16 v115, v181 offset:1056
	v_add_u32_e32 v48, v146, v179
	v_cvt_f32_f16_e32 v140, v124
	v_cvt_f32_f16_sdwa v141, v124 dst_sel:DWORD dst_unused:UNUSED_PAD src0_sel:WORD_1
	ds_read_u16 v120, v48
	ds_read_u16 v124, v48 offset:32
	v_cvt_f32_f16_e32 v142, v249
	v_cvt_f32_f16_sdwa v143, v249 dst_sel:DWORD dst_unused:UNUSED_PAD src0_sel:WORD_1
	s_waitcnt lgkmcnt(1)
	v_perm_b32 v115, v120, v115, s71
	ds_read_u16 v120, v180
	ds_read_u16 v125, v180 offset:32
	ds_read_u16 v131, v180 offset:16896
	s_waitcnt lgkmcnt(2)
	v_perm_b32 v114, v114, v120, s71
	s_nop 1
	v_mfma_f32_16x16x16f16 v[140:143], v[114:115], v[36:37], v[140:143]
	s_nop 7
	s_nop 2
	v_cvt_f16_f32_e32 v114, v140
	v_add_u32_e32 v140, v147, v178
	ds_read_u16 v144, v140 offset:528
	ds_read_u16 v182, v232 offset:1056
	ds_read_u16 v183, v48 offset:16896
	v_cvt_f16_f32_e32 v115, v141
	v_cvt_f16_f32_e32 v120, v142
	;; [unrolled: 1-line block ×3, first 2 shown]
	v_cvt_f32_f16_e32 v140, v114
	v_cvt_f32_f16_e32 v141, v115
	s_waitcnt lgkmcnt(0)
	v_perm_b32 v115, v183, v182, s71
	v_perm_b32 v114, v144, v131, s71
	v_cvt_f32_f16_e32 v142, v120
	v_cvt_f32_f16_e32 v143, v128
	v_add_u32_e32 v131, v148, v179
	s_nop 0
	v_mfma_f32_16x16x16f16 v[140:143], v[114:115], v[34:35], v[140:143]
	s_nop 7
	s_nop 2
	v_cvt_f16_f32_e32 v114, v140
	v_cvt_f16_f32_e32 v115, v141
	;; [unrolled: 1-line block ×4, first 2 shown]
	v_cvt_f32_f16_e32 v140, v244
	v_pack_b32_f16 v249, v114, v115
	v_add_u32_e32 v114, v148, v178
	ds_read_u16 v114, v114 offset:528
	ds_read_u16 v115, v248 offset:1056
	v_cvt_f32_f16_sdwa v141, v244 dst_sel:DWORD dst_unused:UNUSED_PAD src0_sel:WORD_1
	v_cvt_f32_f16_e32 v142, v118
	v_cvt_f32_f16_sdwa v143, v118 dst_sel:DWORD dst_unused:UNUSED_PAD src0_sel:WORD_1
	s_waitcnt lgkmcnt(1)
	v_perm_b32 v114, v114, v125, s71
	s_waitcnt lgkmcnt(0)
	v_perm_b32 v115, v124, v115, s71
	v_add_u32_e32 v125, v149, v178
	v_pack_b32_f16 v252, v120, v128
	v_mfma_f32_16x16x16f16 v[140:143], v[114:115], v[36:37], v[140:143]
	ds_read_u16 v124, v184 offset:16896
	ds_read_u16 v125, v125 offset:528
	;; [unrolled: 1-line block ×4, first 2 shown]
	s_nop 6
	v_cvt_f16_f32_e32 v114, v140
	v_cvt_f16_f32_e32 v115, v141
	;; [unrolled: 1-line block ×4, first 2 shown]
	v_cvt_f32_f16_e32 v140, v114
	v_cvt_f32_f16_e32 v141, v115
	s_waitcnt lgkmcnt(0)
	v_perm_b32 v115, v131, v128, s71
	v_perm_b32 v114, v125, v124, s71
	v_cvt_f32_f16_e32 v142, v118
	v_cvt_f32_f16_e32 v143, v120
	v_add_u32_e32 v125, v151, v178
	v_add_u32_e32 v131, v150, v179
	v_mfma_f32_16x16x16f16 v[140:143], v[114:115], v[34:35], v[140:143]
	s_nop 7
	s_nop 2
	v_cvt_f16_f32_e32 v114, v140
	v_cvt_f16_f32_e32 v115, v141
	;; [unrolled: 1-line block ×4, first 2 shown]
	v_cvt_f32_f16_e32 v140, v123
	v_pack_b32_f16 v244, v114, v115
	v_add_u32_e32 v115, v150, v178
	v_pack_b32_f16 v118, v118, v120
	ds_read_u16 v114, v180 offset:64
	ds_read_u16 v120, v115 offset:528
	;; [unrolled: 1-line block ×4, first 2 shown]
	v_cvt_f32_f16_sdwa v141, v123 dst_sel:DWORD dst_unused:UNUSED_PAD src0_sel:WORD_1
	v_cvt_f32_f16_e32 v142, v241
	v_cvt_f32_f16_sdwa v143, v241 dst_sel:DWORD dst_unused:UNUSED_PAD src0_sel:WORD_1
	s_waitcnt lgkmcnt(2)
	v_perm_b32 v114, v120, v114, s71
	s_waitcnt lgkmcnt(0)
	v_perm_b32 v115, v124, v115, s71
	ds_read_u16 v124, v187 offset:16896
	ds_read_u16 v125, v125 offset:528
	;; [unrolled: 1-line block ×3, first 2 shown]
	v_mfma_f32_16x16x16f16 v[140:143], v[114:115], v[36:37], v[140:143]
	ds_read_u16 v131, v131 offset:16896
	s_nop 7
	s_nop 1
	v_cvt_f16_f32_e32 v114, v140
	v_cvt_f16_f32_e32 v115, v141
	;; [unrolled: 1-line block ×4, first 2 shown]
	v_cvt_f32_f16_e32 v140, v114
	v_cvt_f32_f16_e32 v141, v115
	s_waitcnt lgkmcnt(0)
	v_perm_b32 v115, v131, v128, s71
	v_perm_b32 v114, v125, v124, s71
	v_cvt_f32_f16_e32 v142, v120
	v_cvt_f32_f16_e32 v143, v123
	v_add_u32_e32 v125, v152, v179
	s_nop 0
	v_mfma_f32_16x16x16f16 v[140:143], v[114:115], v[34:35], v[140:143]
	s_nop 7
	s_nop 2
	v_cvt_f16_f32_e32 v114, v140
	v_cvt_f16_f32_e32 v115, v141
	;; [unrolled: 1-line block ×4, first 2 shown]
	v_cvt_f32_f16_e32 v140, v122
	v_pack_b32_f16 v241, v114, v115
	v_add_u32_e32 v115, v152, v178
	v_pack_b32_f16 v246, v120, v123
	ds_read_u16 v114, v180 offset:96
	ds_read_u16 v120, v115 offset:528
	;; [unrolled: 1-line block ×4, first 2 shown]
	v_cvt_f32_f16_sdwa v141, v122 dst_sel:DWORD dst_unused:UNUSED_PAD src0_sel:WORD_1
	v_cvt_f32_f16_e32 v142, v117
	v_cvt_f32_f16_sdwa v143, v117 dst_sel:DWORD dst_unused:UNUSED_PAD src0_sel:WORD_1
	s_waitcnt lgkmcnt(2)
	v_perm_b32 v114, v120, v114, s71
	s_waitcnt lgkmcnt(0)
	v_perm_b32 v115, v123, v115, s71
	v_add_u32_e32 v123, v153, v178
	ds_read_u16 v122, v190 offset:16896
	v_mfma_f32_16x16x16f16 v[140:143], v[114:115], v[36:37], v[140:143]
	ds_read_u16 v123, v123 offset:528
	ds_read_u16 v124, v191 offset:1056
	;; [unrolled: 1-line block ×3, first 2 shown]
	s_nop 7
	v_cvt_f16_f32_e32 v114, v140
	v_cvt_f16_f32_e32 v115, v141
	;; [unrolled: 1-line block ×4, first 2 shown]
	v_cvt_f32_f16_e32 v140, v114
	v_cvt_f32_f16_e32 v141, v115
	s_waitcnt lgkmcnt(0)
	v_perm_b32 v115, v125, v124, s71
	v_perm_b32 v114, v123, v122, s71
	v_cvt_f32_f16_e32 v142, v117
	v_cvt_f32_f16_e32 v143, v120
	v_cvt_f32_f16_sdwa v123, v52 dst_sel:DWORD dst_unused:UNUSED_PAD src0_sel:WORD_1
	s_nop 0
	v_mfma_f32_16x16x16f16 v[140:143], v[114:115], v[34:35], v[140:143]
	s_nop 7
	s_nop 2
	v_cvt_f16_f32_e32 v114, v140
	v_cvt_f16_f32_e32 v115, v141
	;; [unrolled: 1-line block ×4, first 2 shown]
	v_pack_b32_f16 v117, v114, v115
	v_add_u32_e32 v115, v154, v178
	ds_read_u16 v114, v180 offset:128
	ds_read_u16 v124, v115 offset:528
	;; [unrolled: 1-line block ×4, first 2 shown]
	v_pack_b32_f16 v242, v120, v122
	v_cvt_f32_f16_e32 v120, v121
	v_cvt_f32_f16_sdwa v121, v121 dst_sel:DWORD dst_unused:UNUSED_PAD src0_sel:WORD_1
	s_waitcnt lgkmcnt(2)
	v_perm_b32 v114, v124, v114, s71
	s_waitcnt lgkmcnt(0)
	v_perm_b32 v115, v125, v115, s71
	v_cvt_f32_f16_e32 v122, v52
	ds_read_u16 v124, v193 offset:16896
	s_nop 0
	v_mfma_f32_16x16x16f16 v[120:123], v[114:115], v[36:37], v[120:123]
	s_nop 7
	s_nop 2
	v_cvt_f16_f32_e32 v52, v120
	v_add_u32_e32 v120, v155, v178
	ds_read_u16 v125, v120 offset:528
	ds_read_u16 v128, v194 offset:1056
	v_add_u32_e32 v120, v154, v179
	ds_read_u16 v131, v120 offset:16896
	v_cvt_f16_f32_e32 v114, v121
	v_cvt_f16_f32_e32 v115, v122
	;; [unrolled: 1-line block ×3, first 2 shown]
	v_cvt_f32_f16_e32 v120, v52
	v_cvt_f32_f16_e32 v121, v114
	;; [unrolled: 1-line block ×3, first 2 shown]
	s_waitcnt lgkmcnt(0)
	v_perm_b32 v115, v131, v128, s71
	v_perm_b32 v114, v125, v124, s71
	v_cvt_f32_f16_e32 v123, v123
	s_nop 1
	v_mfma_f32_16x16x16f16 v[120:123], v[114:115], v[34:35], v[120:123]
	s_nop 7
	s_nop 2
	v_cvt_f16_f32_e32 v52, v120
	v_cvt_f16_f32_e32 v115, v122
	;; [unrolled: 1-line block ×4, first 2 shown]
	v_cvt_f32_f16_sdwa v121, v229 dst_sel:DWORD dst_unused:UNUSED_PAD src0_sel:WORD_1
	v_cvt_f32_f16_e32 v122, v228
	v_pack_b32_f16 v243, v115, v120
	v_add_u32_e32 v115, v156, v178
	v_pack_b32_f16 v52, v52, v114
	ds_read_u16 v114, v180 offset:160
	ds_read_u16 v124, v115 offset:528
	;; [unrolled: 1-line block ×4, first 2 shown]
	v_cvt_f32_f16_e32 v120, v229
	v_cvt_f32_f16_sdwa v123, v228 dst_sel:DWORD dst_unused:UNUSED_PAD src0_sel:WORD_1
	s_waitcnt lgkmcnt(2)
	v_perm_b32 v114, v124, v114, s71
	s_waitcnt lgkmcnt(0)
	v_perm_b32 v115, v125, v115, s71
	ds_read_u16 v124, v196 offset:16896
	s_nop 0
	v_mfma_f32_16x16x16f16 v[120:123], v[114:115], v[36:37], v[120:123]
	s_nop 7
	s_nop 2
	v_cvt_f16_f32_e32 v114, v120
	v_add_u32_e32 v120, v157, v178
	ds_read_u16 v125, v120 offset:528
	ds_read_u16 v128, v197 offset:1056
	v_add_u32_e32 v120, v156, v179
	ds_read_u16 v131, v120 offset:16896
	v_cvt_f16_f32_e32 v115, v121
	v_cvt_f16_f32_e32 v122, v122
	v_cvt_f16_f32_e32 v123, v123
	v_cvt_f32_f16_e32 v120, v114
	v_cvt_f32_f16_e32 v121, v115
	s_waitcnt lgkmcnt(0)
	v_perm_b32 v115, v131, v128, s71
	v_perm_b32 v114, v125, v124, s71
	v_cvt_f32_f16_e32 v122, v122
	v_cvt_f32_f16_e32 v123, v123
	s_nop 1
	v_mfma_f32_16x16x16f16 v[120:123], v[114:115], v[34:35], v[120:123]
	s_nop 7
	s_nop 2
	v_cvt_f16_f32_e32 v114, v120
	v_cvt_f16_f32_e32 v115, v121
	v_cvt_f16_f32_e32 v120, v122
	v_cvt_f16_f32_e32 v121, v123
	v_cvt_f32_f16_e32 v122, v238
	v_pack_b32_f16 v229, v114, v115
	v_add_u32_e32 v115, v158, v178
	ds_read_u16 v114, v180 offset:192
	ds_read_u16 v124, v115 offset:528
	ds_read_u16 v115, v198 offset:1056
	ds_read_u16 v125, v48 offset:192
	v_pack_b32_f16 v228, v120, v121
	v_cvt_f32_f16_e32 v120, v239
	v_cvt_f32_f16_sdwa v121, v239 dst_sel:DWORD dst_unused:UNUSED_PAD src0_sel:WORD_1
	s_waitcnt lgkmcnt(2)
	v_perm_b32 v114, v124, v114, s71
	s_waitcnt lgkmcnt(0)
	v_perm_b32 v115, v125, v115, s71
	v_cvt_f32_f16_sdwa v123, v238 dst_sel:DWORD dst_unused:UNUSED_PAD src0_sel:WORD_1
	ds_read_u16 v124, v199 offset:16896
	s_nop 0
	v_mfma_f32_16x16x16f16 v[120:123], v[114:115], v[36:37], v[120:123]
	s_nop 7
	s_nop 2
	v_cvt_f16_f32_e32 v114, v120
	v_add_u32_e32 v120, v159, v178
	ds_read_u16 v125, v120 offset:528
	ds_read_u16 v128, v200 offset:1056
	v_add_u32_e32 v120, v158, v179
	ds_read_u16 v131, v120 offset:16896
	v_cvt_f16_f32_e32 v115, v121
	v_cvt_f16_f32_e32 v122, v122
	v_cvt_f16_f32_e32 v123, v123
	v_cvt_f32_f16_e32 v120, v114
	v_cvt_f32_f16_e32 v121, v115
	s_waitcnt lgkmcnt(0)
	v_perm_b32 v115, v131, v128, s71
	v_perm_b32 v114, v125, v124, s71
	v_cvt_f32_f16_e32 v122, v122
	v_cvt_f32_f16_e32 v123, v123
	s_nop 1
	v_mfma_f32_16x16x16f16 v[120:123], v[114:115], v[34:35], v[120:123]
	s_nop 7
	s_nop 2
	v_cvt_f16_f32_e32 v114, v120
	v_cvt_f16_f32_e32 v115, v121
	v_cvt_f16_f32_e32 v120, v122
	v_cvt_f16_f32_e32 v121, v123
	v_cvt_f32_f16_e32 v122, v240
	v_pack_b32_f16 v239, v114, v115
	v_add_u32_e32 v115, v160, v178
	ds_read_u16 v114, v180 offset:224
	ds_read_u16 v124, v115 offset:528
	ds_read_u16 v115, v201 offset:1056
	ds_read_u16 v125, v48 offset:224
	v_pack_b32_f16 v238, v120, v121
	v_cvt_f32_f16_e32 v120, v247
	v_cvt_f32_f16_sdwa v121, v247 dst_sel:DWORD dst_unused:UNUSED_PAD src0_sel:WORD_1
	s_waitcnt lgkmcnt(2)
	v_perm_b32 v114, v124, v114, s71
	s_waitcnt lgkmcnt(0)
	v_perm_b32 v115, v125, v115, s71
	v_cvt_f32_f16_sdwa v123, v240 dst_sel:DWORD dst_unused:UNUSED_PAD src0_sel:WORD_1
	;; [unrolled: 44-line block ×6, first 2 shown]
	ds_read_u16 v124, v214 offset:16896
	s_nop 0
	v_mfma_f32_16x16x16f16 v[120:123], v[114:115], v[36:37], v[120:123]
	s_nop 7
	s_nop 2
	v_cvt_f16_f32_e32 v49, v120
	v_add_u32_e32 v120, v169, v178
	ds_read_u16 v125, v120 offset:528
	ds_read_u16 v128, v215 offset:1056
	v_add_u32_e32 v120, v168, v179
	ds_read_u16 v131, v120 offset:16896
	v_cvt_f16_f32_e32 v114, v122
	v_cvt_f16_f32_e32 v115, v123
	;; [unrolled: 1-line block ×3, first 2 shown]
	v_cvt_f32_f16_e32 v120, v49
	v_cvt_f32_f16_e32 v122, v114
	;; [unrolled: 1-line block ×3, first 2 shown]
	s_waitcnt lgkmcnt(0)
	v_perm_b32 v115, v131, v128, s71
	v_perm_b32 v114, v125, v124, s71
	v_cvt_f32_f16_e32 v121, v79
	s_nop 1
	v_mfma_f32_16x16x16f16 v[120:123], v[114:115], v[34:35], v[120:123]
	s_nop 7
	s_nop 2
	v_cvt_f16_f32_e32 v49, v120
	v_cvt_f16_f32_e32 v79, v121
	;; [unrolled: 1-line block ×4, first 2 shown]
	v_cvt_f32_f16_e32 v120, v47
	v_pack_b32_f16 v237, v49, v79
	v_add_u32_e32 v79, v170, v178
	v_pack_b32_f16 v236, v114, v115
	ds_read_u16 v49, v180 offset:384
	ds_read_u16 v79, v79 offset:528
	;; [unrolled: 1-line block ×4, first 2 shown]
	v_cvt_f32_f16_sdwa v121, v47 dst_sel:DWORD dst_unused:UNUSED_PAD src0_sel:WORD_1
	v_cvt_f32_f16_e32 v122, v46
	v_cvt_f32_f16_sdwa v123, v46 dst_sel:DWORD dst_unused:UNUSED_PAD src0_sel:WORD_1
	s_waitcnt lgkmcnt(2)
	v_perm_b32 v46, v79, v49, s71
	s_waitcnt lgkmcnt(0)
	v_perm_b32 v47, v115, v114, s71
	v_add_u32_e32 v115, v171, v178
	ds_read_u16 v114, v217 offset:16896
	v_mfma_f32_16x16x16f16 v[120:123], v[46:47], v[36:37], v[120:123]
	ds_read_u16 v115, v115 offset:528
	ds_read_u16 v124, v218 offset:1056
	s_nop 7
	s_nop 0
	v_cvt_f16_f32_e32 v46, v120
	v_add_u32_e32 v120, v170, v179
	ds_read_u16 v125, v120 offset:16896
	v_cvt_f16_f32_e32 v47, v121
	v_cvt_f16_f32_e32 v49, v122
	;; [unrolled: 1-line block ×3, first 2 shown]
	v_cvt_f32_f16_e32 v120, v46
	v_cvt_f32_f16_e32 v121, v47
	s_waitcnt lgkmcnt(0)
	v_perm_b32 v47, v125, v124, s71
	v_perm_b32 v46, v115, v114, s71
	v_cvt_f32_f16_e32 v122, v49
	v_cvt_f32_f16_e32 v123, v79
	v_add_u32_e32 v115, v172, v179
	s_nop 0
	v_mfma_f32_16x16x16f16 v[120:123], v[46:47], v[34:35], v[120:123]
	s_nop 7
	s_nop 2
	v_cvt_f16_f32_e32 v46, v120
	v_cvt_f16_f32_e32 v47, v121
	;; [unrolled: 1-line block ×4, first 2 shown]
	v_cvt_f32_f16_e32 v120, v45
	v_pack_b32_f16 v144, v46, v47
	v_add_u32_e32 v47, v172, v178
	v_pack_b32_f16 v142, v49, v79
	ds_read_u16 v46, v180 offset:416
	ds_read_u16 v47, v47 offset:528
	ds_read_u16 v49, v219 offset:1056
	ds_read_u16 v79, v48 offset:416
	v_cvt_f32_f16_sdwa v121, v45 dst_sel:DWORD dst_unused:UNUSED_PAD src0_sel:WORD_1
	v_cvt_f32_f16_e32 v122, v44
	v_cvt_f32_f16_sdwa v123, v44 dst_sel:DWORD dst_unused:UNUSED_PAD src0_sel:WORD_1
	s_waitcnt lgkmcnt(2)
	v_perm_b32 v44, v47, v46, s71
	s_waitcnt lgkmcnt(0)
	v_perm_b32 v45, v79, v49, s71
	v_add_u32_e32 v79, v173, v178
	ds_read_u16 v49, v220 offset:16896
	v_mfma_f32_16x16x16f16 v[44:47], v[44:45], v[36:37], v[120:123]
	ds_read_u16 v79, v79 offset:528
	ds_read_u16 v114, v221 offset:1056
	;; [unrolled: 1-line block ×3, first 2 shown]
	s_waitcnt lgkmcnt(0)
	v_perm_b32 v115, v115, v114, s71
	s_nop 5
	v_cvt_f16_f32_e32 v44, v44
	v_cvt_f16_f32_e32 v45, v45
	;; [unrolled: 1-line block ×4, first 2 shown]
	v_perm_b32 v114, v79, v49, s71
	v_cvt_f32_f16_e32 v44, v44
	v_cvt_f32_f16_e32 v45, v45
	;; [unrolled: 1-line block ×4, first 2 shown]
	ds_read_u16 v49, v180 offset:448
	s_nop 0
	v_mfma_f32_16x16x16f16 v[44:47], v[114:115], v[34:35], v[44:47]
	s_nop 7
	s_nop 2
	v_cvt_f16_f32_e32 v44, v44
	v_cvt_f16_f32_e32 v45, v45
	;; [unrolled: 1-line block ×4, first 2 shown]
	v_pack_b32_f16 v131, v44, v45
	v_add_u32_e32 v44, v174, v178
	ds_read_u16 v79, v44 offset:528
	ds_read_u16 v114, v222 offset:1056
	;; [unrolled: 1-line block ×3, first 2 shown]
	v_pack_b32_f16 v231, v46, v47
	v_cvt_f32_f16_e32 v44, v43
	v_cvt_f32_f16_sdwa v45, v43 dst_sel:DWORD dst_unused:UNUSED_PAD src0_sel:WORD_1
	v_cvt_f32_f16_e32 v46, v42
	v_cvt_f32_f16_sdwa v47, v42 dst_sel:DWORD dst_unused:UNUSED_PAD src0_sel:WORD_1
	s_waitcnt lgkmcnt(0)
	v_perm_b32 v43, v115, v114, s71
	v_perm_b32 v42, v79, v49, s71
	v_add_u32_e32 v79, v174, v179
	s_nop 0
	v_mfma_f32_16x16x16f16 v[42:45], v[42:43], v[36:37], v[44:47]
	s_nop 6
	v_add_u32_e32 v47, v175, v178
	ds_read_u16 v46, v223 offset:16896
	ds_read_u16 v49, v47 offset:528
	;; [unrolled: 1-line block ×4, first 2 shown]
	v_cvt_f16_f32_e32 v42, v42
	v_cvt_f16_f32_e32 v43, v43
	;; [unrolled: 1-line block ×4, first 2 shown]
	s_waitcnt lgkmcnt(0)
	v_perm_b32 v47, v79, v47, s71
	v_perm_b32 v46, v49, v46, s71
	v_cvt_f32_f16_e32 v42, v42
	v_cvt_f32_f16_e32 v43, v43
	;; [unrolled: 1-line block ×4, first 2 shown]
	v_cvt_f32_f16_sdwa v49, v40 dst_sel:DWORD dst_unused:UNUSED_PAD src0_sel:WORD_1
	s_nop 0
	v_mfma_f32_16x16x16f16 v[42:45], v[46:47], v[34:35], v[42:45]
	v_cvt_f32_f16_e32 v46, v41
	v_cvt_f32_f16_sdwa v47, v41 dst_sel:DWORD dst_unused:UNUSED_PAD src0_sel:WORD_1
	s_nop 7
	s_nop 0
	v_cvt_f16_f32_e32 v42, v42
	v_cvt_f16_f32_e32 v43, v43
	;; [unrolled: 1-line block ×4, first 2 shown]
	v_pack_b32_f16 v140, v42, v43
	v_add_u32_e32 v43, v176, v178
	v_pack_b32_f16 v114, v44, v45
	ds_read_u16 v42, v180 offset:480
	ds_read_u16 v43, v43 offset:528
	;; [unrolled: 1-line block ×4, first 2 shown]
	v_cvt_f32_f16_e32 v48, v40
	s_waitcnt lgkmcnt(2)
	v_perm_b32 v40, v43, v42, s71
	s_waitcnt lgkmcnt(0)
	v_perm_b32 v41, v45, v44, s71
	v_add_u32_e32 v44, v176, v179
	s_nop 0
	v_mfma_f32_16x16x16f16 v[40:43], v[40:41], v[36:37], v[46:49]
	ds_read_u16 v36, v226 offset:16896
	s_nop 7
	s_nop 1
	v_cvt_f16_f32_e32 v37, v40
	v_cvt_f16_f32_e32 v40, v41
	;; [unrolled: 1-line block ×4, first 2 shown]
	v_add_u32_e32 v43, v177, v178
	ds_read_u16 v43, v43 offset:528
	ds_read_u16 v48, v227 offset:1056
	ds_read_u16 v49, v44 offset:16896
	v_cvt_f32_f16_e32 v44, v37
	v_cvt_f32_f16_e32 v45, v40
	s_waitcnt lgkmcnt(2)
	v_perm_b32 v36, v43, v36, s71
	v_cvt_f32_f16_e32 v46, v41
	s_waitcnt lgkmcnt(0)
	v_perm_b32 v37, v49, v48, s71
	v_cvt_f32_f16_e32 v47, v42
	s_barrier
	s_nop 0
	v_mfma_f32_16x16x16f16 v[34:37], v[36:37], v[34:35], v[44:47]
	s_nop 7
	s_nop 2
	v_cvt_f16_f32_e32 v34, v34
	v_cvt_f16_f32_e32 v35, v35
	;; [unrolled: 1-line block ×4, first 2 shown]
	v_pack_b32_f16 v115, v34, v35
	v_mov_b32_e32 v34, s93
	v_addc_co_u32_e32 v1, vcc, v1, v34, vcc
	v_add_co_u32_e32 v84, vcc, s92, v84
	v_addc_co_u32_e32 v51, vcc, v51, v34, vcc
	v_add_co_u32_e32 v86, vcc, s92, v86
	;; [unrolled: 2-line block ×4, first 2 shown]
	v_mov_b32_e32 v34, s35
	v_addc_co_u32_e32 v57, vcc, v57, v34, vcc
	v_add_co_u32_e32 v92, vcc, s34, v92
	v_addc_co_u32_e32 v61, vcc, v61, v34, vcc
	v_add_co_u32_e32 v94, vcc, s34, v94
	;; [unrolled: 2-line block ×11, first 2 shown]
	v_pack_b32_f16 v120, v36, v37
	v_addc_co_u32_e32 v113, vcc, 0, v113, vcc
	s_cbranch_scc0 .LBB30_396
; %bb.393:                              ;   in Loop: Header=BB30_357 Depth=2
	v_mov_b32_e32 v121, v39
	v_mov_b32_e32 v122, v38
	s_andn2_b64 vcc, exec, s[40:41]
	s_cbranch_vccz .LBB30_352
	s_branch .LBB30_357
.LBB30_394:                             ;   in Loop: Header=BB30_357 Depth=2
                                        ; implicit-def: $vgpr42_vgpr43_vgpr44_vgpr45
                                        ; implicit-def: $vgpr34_vgpr35_vgpr36_vgpr37
	s_branch .LBB30_391
.LBB30_395:                             ;   in Loop: Header=BB30_16 Depth=1
	v_mov_b32_e32 v39, 0
	v_mov_b32_e32 v38, 0xfeffffff
	;; [unrolled: 1-line block ×33, first 2 shown]
	s_branch .LBB30_397
.LBB30_396:                             ;   in Loop: Header=BB30_16 Depth=1
	buffer_load_dword v245, off, s[0:3], 0 offset:156 ; 4-byte Folded Reload
	buffer_load_dword v80, off, s[0:3], 0 offset:16 ; 4-byte Folded Reload
	;; [unrolled: 1-line block ×18, first 2 shown]
.LBB30_397:                             ;   in Loop: Header=BB30_16 Depth=1
	s_lshl_b32 s94, s42, 6
	v_readlane_b32 s30, v254, 4
	s_sub_i32 s64, s30, s94
	v_readlane_b32 s31, v254, 5
	s_cmp_lg_u64 s[90:91], 0
	s_cselect_b64 s[30:31], -1, 0
	s_cmp_eq_u64 s[90:91], 0
	s_cbranch_scc1 .LBB30_407
; %bb.398:                              ;   in Loop: Header=BB30_16 Depth=1
	s_lshl_b64 s[40:41], s[94:95], 1
	s_add_u32 s44, s90, s40
	s_addc_u32 s45, s91, s41
	s_waitcnt vmcnt(16)
	v_cmp_le_i32_e32 vcc, s64, v80
	v_add_u32_e32 v1, v129, v130
                                        ; implicit-def: $sgpr46
	s_and_saveexec_b64 s[40:41], vcc
	s_xor_b64 s[40:41], exec, s[40:41]
	s_cbranch_execz .LBB30_400
; %bb.399:                              ;   in Loop: Header=BB30_16 Depth=1
	ds_write_b16 v1, v127 offset:33792
	ds_write_b16 v1, v127 offset:34944
	s_mov_b32 s46, 0
                                        ; implicit-def: $vgpr87
                                        ; implicit-def: $vgpr89
                                        ; implicit-def: $vgpr93
                                        ; implicit-def: $vgpr95
.LBB30_400:                             ;   in Loop: Header=BB30_16 Depth=1
	s_or_saveexec_b64 s[42:43], s[40:41]
	v_lshlrev_b32_e32 v34, 1, v80
	v_mov_b32_e32 v35, s45
	v_add_co_u32_e64 v34, s[40:41], s44, v34
	v_addc_co_u32_e64 v35, s[40:41], 0, v35, s[40:41]
	v_mov_b32_e32 v36, s46
	v_mov_b32_e32 v37, s46
	v_readlane_b32 s46, v255, 17
	v_readlane_b32 s47, v255, 18
	s_xor_b64 exec, exec, s[42:43]
	s_cbranch_execz .LBB30_402
; %bb.401:                              ;   in Loop: Header=BB30_16 Depth=1
	v_readlane_b32 s44, v254, 10
	v_mul_hi_u32 v36, s44, v87
	v_readlane_b32 s45, v254, 11
	v_add_u32_e32 v36, v87, v36
	v_lshrrev_b32_e32 v36, s45, v36
	v_mul_lo_u32 v36, v36, s84
	v_sub_u32_e32 v36, v87, v36
	v_mad_i64_i32 v[36:37], s[40:41], v36, s46, 0
	v_lshlrev_b64 v[36:37], 1, v[36:37]
	v_add_co_u32_e64 v36, s[40:41], v34, v36
	v_addc_co_u32_e64 v37, s[40:41], v35, v37, s[40:41]
	flat_load_ushort v40, v[36:37]
	v_mul_hi_u32 v36, s44, v89
	v_add_u32_e32 v36, v89, v36
	v_lshrrev_b32_e32 v36, s45, v36
	v_mul_lo_u32 v36, v36, s84
	v_sub_u32_e32 v36, v89, v36
	v_mad_i64_i32 v[36:37], s[40:41], v36, s46, 0
	v_lshlrev_b64 v[36:37], 1, v[36:37]
	v_add_co_u32_e64 v36, s[40:41], v34, v36
	v_addc_co_u32_e64 v37, s[40:41], v35, v37, s[40:41]
	flat_load_ushort v36, v[36:37]
	s_waitcnt vmcnt(0) lgkmcnt(0)
	ds_write_b16 v1, v40 offset:33792
	ds_write_b16 v1, v36 offset:34944
	v_mul_hi_u32 v36, s44, v93
	v_add_u32_e32 v36, v93, v36
	v_lshrrev_b32_e32 v36, s45, v36
	v_mul_lo_u32 v36, v36, s84
	v_sub_u32_e32 v36, v93, v36
	v_mad_i64_i32 v[36:37], s[40:41], v36, s46, 0
	v_lshlrev_b64 v[36:37], 1, v[36:37]
	v_add_co_u32_e64 v36, s[40:41], v34, v36
	v_addc_co_u32_e64 v37, s[40:41], v35, v37, s[40:41]
	flat_load_ushort v36, v[36:37]
	v_mul_hi_u32 v37, s44, v95
	v_add_u32_e32 v37, v95, v37
	v_lshrrev_b32_e32 v37, s45, v37
	v_mul_lo_u32 v37, v37, s84
	v_sub_u32_e32 v37, v95, v37
	v_mad_i64_i32 v[40:41], s[40:41], v37, s46, 0
	v_lshlrev_b64 v[40:41], 1, v[40:41]
	v_add_co_u32_e64 v40, s[40:41], v34, v40
	v_addc_co_u32_e64 v41, s[40:41], v35, v41, s[40:41]
	flat_load_ushort v37, v[40:41]
.LBB30_402:                             ;   in Loop: Header=BB30_16 Depth=1
	s_or_b64 exec, exec, s[42:43]
	s_waitcnt vmcnt(0) lgkmcnt(0)
	ds_write_b16 v1, v36 offset:36096
	ds_write_b16 v1, v37 offset:37248
                                        ; implicit-def: $sgpr42
	s_and_saveexec_b64 s[40:41], vcc
	s_xor_b64 s[40:41], exec, s[40:41]
	s_cbranch_execz .LBB30_404
; %bb.403:                              ;   in Loop: Header=BB30_16 Depth=1
	ds_write_b16 v1, v127 offset:38400
	ds_write_b16 v1, v127 offset:39552
	s_mov_b32 s42, 0
                                        ; implicit-def: $vgpr91
                                        ; implicit-def: $vgpr34
                                        ; implicit-def: $vgpr35
                                        ; implicit-def: $vgpr97
                                        ; implicit-def: $vgpr250
                                        ; implicit-def: $vgpr253
.LBB30_404:                             ;   in Loop: Header=BB30_16 Depth=1
	s_or_saveexec_b64 s[40:41], s[40:41]
	v_mov_b32_e32 v36, s42
	v_mov_b32_e32 v37, s42
	s_xor_b64 exec, exec, s[40:41]
	s_cbranch_execz .LBB30_406
; %bb.405:                              ;   in Loop: Header=BB30_16 Depth=1
	v_readlane_b32 s44, v254, 10
	v_mul_hi_u32 v36, s44, v91
	v_readlane_b32 s45, v254, 11
	v_add_u32_e32 v36, v91, v36
	v_lshrrev_b32_e32 v36, s45, v36
	v_mul_lo_u32 v36, v36, s84
	v_sub_u32_e32 v36, v91, v36
	v_mad_i64_i32 v[36:37], s[42:43], v36, s46, 0
	v_lshlrev_b64 v[36:37], 1, v[36:37]
	v_add_co_u32_e32 v36, vcc, v34, v36
	v_addc_co_u32_e32 v37, vcc, v35, v37, vcc
	flat_load_ushort v40, v[36:37]
	v_mul_hi_u32 v36, s44, v97
	v_add_u32_e32 v36, v97, v36
	v_lshrrev_b32_e32 v36, s45, v36
	v_mul_lo_u32 v36, v36, s84
	v_sub_u32_e32 v36, v97, v36
	v_mad_i64_i32 v[36:37], s[42:43], v36, s46, 0
	v_lshlrev_b64 v[36:37], 1, v[36:37]
	v_add_co_u32_e32 v36, vcc, v34, v36
	v_addc_co_u32_e32 v37, vcc, v35, v37, vcc
	flat_load_ushort v36, v[36:37]
	s_waitcnt vmcnt(0) lgkmcnt(0)
	ds_write_b16 v1, v40 offset:38400
	ds_write_b16 v1, v36 offset:39552
	v_mul_hi_u32 v36, s44, v250
	v_add_u32_e32 v36, v250, v36
	v_lshrrev_b32_e32 v36, s45, v36
	v_mul_lo_u32 v36, v36, s84
	v_sub_u32_e32 v36, v250, v36
	v_mad_i64_i32 v[36:37], s[42:43], v36, s46, 0
	v_lshlrev_b64 v[36:37], 1, v[36:37]
	v_add_co_u32_e32 v36, vcc, v34, v36
	v_addc_co_u32_e32 v37, vcc, v35, v37, vcc
	flat_load_ushort v36, v[36:37]
	v_mul_hi_u32 v37, s44, v253
	v_add_u32_e32 v37, v253, v37
	v_lshrrev_b32_e32 v37, s45, v37
	v_mul_lo_u32 v37, v37, s84
	v_sub_u32_e32 v37, v253, v37
	v_mad_i64_i32 v[40:41], s[42:43], v37, s46, 0
	v_lshlrev_b64 v[40:41], 1, v[40:41]
	v_add_co_u32_e32 v34, vcc, v34, v40
	v_addc_co_u32_e32 v35, vcc, v35, v41, vcc
	flat_load_ushort v37, v[34:35]
.LBB30_406:                             ;   in Loop: Header=BB30_16 Depth=1
	s_or_b64 exec, exec, s[40:41]
	s_waitcnt vmcnt(0) lgkmcnt(0)
	ds_write_b16 v1, v36 offset:40704
	ds_write_b16 v1, v37 offset:41856
.LBB30_407:                             ;   in Loop: Header=BB30_16 Depth=1
	s_mul_i32 s40, s94, s39
	s_mul_hi_u32 s41, s94, s38
	s_add_i32 s41, s41, s40
	s_mul_i32 s40, s94, s38
	s_lshl_b64 s[40:41], s[40:41], 2
	s_add_u32 s48, s77, s40
	s_addc_u32 s49, s78, s41
	v_add_co_u32_e32 v1, vcc, s48, v70
	v_mov_b32_e32 v34, s49
	v_addc_co_u32_e32 v34, vcc, v34, v71, vcc
	v_lshlrev_b32_e32 v41, 2, v56
	v_add_co_u32_e32 v1, vcc, v1, v41
	s_waitcnt vmcnt(14)
	v_cmp_gt_i32_e64 s[40:41], s64, v79
	v_addc_co_u32_e32 v34, vcc, 0, v34, vcc
	v_mov_b32_e32 v40, s37
	v_mov_b32_e32 v42, s36
	buffer_store_dword v127, off, s[0:3], 0
	buffer_store_dword v127, off, s[0:3], 0 offset:4
	buffer_store_dword v127, off, s[0:3], 0 offset:8
	;; [unrolled: 1-line block ×3, first 2 shown]
	v_cndmask_b32_e64 v35, v40, v34, s[40:41]
	v_cndmask_b32_e64 v34, v42, v1, s[40:41]
	flat_load_dwordx4 v[34:37], v[34:35]
	v_add_co_u32_e32 v1, vcc, s48, v72
	s_waitcnt vmcnt(0)
	v_cmp_gt_i32_e64 s[42:43], s64, v81
	v_cmp_gt_i32_e64 s[44:45], s64, v82
	v_cmp_gt_i32_e64 s[46:47], s64, v83
	s_waitcnt lgkmcnt(0)
	ds_write_b128 v132, v[34:37]
	v_mov_b32_e32 v34, s49
	v_addc_co_u32_e32 v34, vcc, v34, v73, vcc
	v_add_co_u32_e32 v1, vcc, v1, v41
	v_addc_co_u32_e32 v34, vcc, 0, v34, vcc
	v_cndmask_b32_e64 v35, v40, v34, s[42:43]
	v_cndmask_b32_e64 v34, v42, v1, s[42:43]
	flat_load_dwordx4 v[34:37], v[34:35]
	v_add_co_u32_e32 v1, vcc, s48, v74
	s_waitcnt vmcnt(0) lgkmcnt(0)
	ds_write_b128 v134, v[34:37]
	v_mov_b32_e32 v34, s49
	v_addc_co_u32_e32 v34, vcc, v34, v75, vcc
	v_add_co_u32_e32 v1, vcc, v1, v41
	v_addc_co_u32_e32 v34, vcc, 0, v34, vcc
	v_cndmask_b32_e64 v35, v40, v34, s[44:45]
	v_cndmask_b32_e64 v34, v42, v1, s[44:45]
	flat_load_dwordx4 v[34:37], v[34:35]
	v_add_co_u32_e32 v1, vcc, s48, v76
	s_waitcnt vmcnt(0) lgkmcnt(0)
	ds_write_b128 v136, v[34:37]
	v_mov_b32_e32 v34, s49
	v_addc_co_u32_e32 v34, vcc, v34, v77, vcc
	v_add_co_u32_e32 v1, vcc, v1, v41
	v_addc_co_u32_e32 v34, vcc, 0, v34, vcc
	v_cndmask_b32_e64 v35, v40, v34, s[46:47]
	v_cndmask_b32_e64 v34, v42, v1, s[46:47]
	flat_load_dwordx4 v[34:37], v[34:35]
	v_add_u32_e32 v1, 0x4000, v139
	s_waitcnt vmcnt(0) lgkmcnt(0)
	ds_write_b128 v138, v[34:37]
	s_waitcnt lgkmcnt(0)
	s_barrier
	ds_read2_b64 v[34:37], v139 offset1:4
	s_waitcnt lgkmcnt(0)
	v_mfma_f32_16x16x16f16 v[42:45], v[34:35], v[30:31], 0
	v_mfma_f32_16x16x16f16 v[34:37], v[36:37], v[32:33], v[42:45]
	s_nop 7
	s_nop 1
	ds_read2_b64 v[42:45], v139 offset0:8 offset1:12
	s_waitcnt lgkmcnt(0)
	v_mfma_f32_16x16x16f16 v[34:37], v[42:43], v[26:27], v[34:37]
	v_mfma_f32_16x16x16f16 v[34:37], v[44:45], v[28:29], v[34:37]
	ds_read2_b64 v[42:45], v139 offset0:16 offset1:20
	s_waitcnt lgkmcnt(0)
	v_mfma_f32_16x16x16f16 v[34:37], v[42:43], v[22:23], v[34:37]
	v_mfma_f32_16x16x16f16 v[34:37], v[44:45], v[24:25], v[34:37]
	;; [unrolled: 4-line block ×7, first 2 shown]
	ds_read2_b64 v[42:45], v1 offset0:64 offset1:68
	s_waitcnt lgkmcnt(0)
	v_mfma_f32_16x16x16f16 v[46:49], v[42:43], v[30:31], 0
	s_nop 7
	v_cmp_nlt_f32_e64 s[48:49], |v34|, s69
	v_mfma_f32_16x16x16f16 v[30:33], v[44:45], v[32:33], v[46:49]
	ds_read2_b64 v[42:45], v1 offset0:72 offset1:76
	s_waitcnt lgkmcnt(0)
	v_mfma_f32_16x16x16f16 v[30:33], v[42:43], v[26:27], v[30:33]
	v_mfma_f32_16x16x16f16 v[26:29], v[44:45], v[28:29], v[30:33]
	s_nop 7
	s_nop 1
	ds_read2_b64 v[30:33], v1 offset0:80 offset1:84
	s_waitcnt lgkmcnt(0)
	v_mfma_f32_16x16x16f16 v[26:29], v[30:31], v[22:23], v[26:29]
	v_mfma_f32_16x16x16f16 v[22:25], v[32:33], v[24:25], v[26:29]
	s_nop 7
	s_nop 1
	;; [unrolled: 6-line block ×6, first 2 shown]
	ds_read2_b64 v[10:13], v1 offset0:120 offset1:124
	s_waitcnt lgkmcnt(0)
	v_mfma_f32_16x16x16f16 v[6:9], v[10:11], v[2:3], v[6:9]
	s_barrier
	s_waitcnt lgkmcnt(0)
                                        ; implicit-def: $vgpr1
	v_mfma_f32_16x16x16f16 v[2:5], v[12:13], v[4:5], v[6:9]
	s_and_saveexec_b64 s[50:51], s[48:49]
	s_xor_b64 s[48:49], exec, s[50:51]
	s_cbranch_execz .LBB30_409
; %bb.408:                              ;   in Loop: Header=BB30_16 Depth=1
	v_add_f32_e64 v1, |v34|, |v34|
	s_nop 3
	v_mul_f32_e32 v6, 0x3fb8aa3b, v1
	v_rndne_f32_e32 v7, v6
	v_sub_f32_e32 v8, v6, v7
	v_fma_f32 v6, v1, s85, -v6
	v_fmac_f32_e32 v6, 0x32a5705f, v1
	v_add_f32_e32 v6, v8, v6
	v_cvt_i32_f32_e32 v7, v7
	v_exp_f32_e32 v6, v6
	v_cmp_ngt_f32_e32 vcc, s8, v1
	v_ldexp_f32 v6, v6, v7
	v_cndmask_b32_e32 v6, 0, v6, vcc
	v_cmp_nlt_f32_e32 vcc, s9, v1
	v_cndmask_b32_e32 v1, v251, v6, vcc
	v_add_f32_e32 v1, 1.0, v1
	v_rcp_f32_e32 v1, v1
	v_fma_f32 v1, v1, -2.0, 1.0
.LBB30_409:                             ;   in Loop: Header=BB30_16 Depth=1
	s_andn2_saveexec_b64 s[48:49], s[48:49]
; %bb.410:                              ;   in Loop: Header=BB30_16 Depth=1
	v_mul_f32_e32 v1, v34, v34
	s_nop 2
	v_mov_b32_e32 v6, 0x3ca908c9
	v_fmac_f32_e32 v6, 0xbbbac73d, v1
	v_fma_f32 v6, v1, v6, v58
	v_fma_f32 v6, v1, v6, v59
	v_fma_f32 v6, v1, v6, v0
	v_mul_f32_e64 v6, |v34|, v6
	v_fma_f32 v1, v1, v6, |v34|
; %bb.411:                              ;   in Loop: Header=BB30_16 Depth=1
	s_or_b64 exec, exec, s[48:49]
	v_cmp_nlt_f32_e64 s[48:49], |v35|, s69
                                        ; implicit-def: $vgpr6
	s_and_saveexec_b64 s[50:51], s[48:49]
	s_xor_b64 s[48:49], exec, s[50:51]
	s_cbranch_execz .LBB30_413
; %bb.412:                              ;   in Loop: Header=BB30_16 Depth=1
	v_add_f32_e64 v6, |v35|, |v35|
	v_mul_f32_e32 v7, 0x3fb8aa3b, v6
	v_rndne_f32_e32 v8, v7
	v_sub_f32_e32 v9, v7, v8
	v_fma_f32 v7, v6, s85, -v7
	v_fmac_f32_e32 v7, 0x32a5705f, v6
	v_add_f32_e32 v7, v9, v7
	v_cvt_i32_f32_e32 v8, v8
	v_exp_f32_e32 v7, v7
	v_cmp_ngt_f32_e32 vcc, s8, v6
	v_ldexp_f32 v7, v7, v8
	v_cndmask_b32_e32 v7, 0, v7, vcc
	v_cmp_nlt_f32_e32 vcc, s9, v6
	v_cndmask_b32_e32 v6, v251, v7, vcc
	v_add_f32_e32 v6, 1.0, v6
	v_rcp_f32_e32 v6, v6
	v_fma_f32 v6, v6, -2.0, 1.0
.LBB30_413:                             ;   in Loop: Header=BB30_16 Depth=1
	s_andn2_saveexec_b64 s[48:49], s[48:49]
; %bb.414:                              ;   in Loop: Header=BB30_16 Depth=1
	v_mul_f32_e32 v6, v35, v35
	v_mov_b32_e32 v7, 0x3ca908c9
	v_fmac_f32_e32 v7, 0xbbbac73d, v6
	v_fma_f32 v7, v6, v7, v58
	v_fma_f32 v7, v6, v7, v59
	;; [unrolled: 1-line block ×3, first 2 shown]
	v_mul_f32_e64 v7, |v35|, v7
	v_fma_f32 v6, v6, v7, |v35|
; %bb.415:                              ;   in Loop: Header=BB30_16 Depth=1
	s_or_b64 exec, exec, s[48:49]
	v_cmp_nlt_f32_e64 s[48:49], |v36|, s69
                                        ; implicit-def: $vgpr7
	s_and_saveexec_b64 s[50:51], s[48:49]
	s_xor_b64 s[48:49], exec, s[50:51]
	s_cbranch_execz .LBB30_417
; %bb.416:                              ;   in Loop: Header=BB30_16 Depth=1
	v_add_f32_e64 v7, |v36|, |v36|
	v_mul_f32_e32 v8, 0x3fb8aa3b, v7
	v_rndne_f32_e32 v9, v8
	v_sub_f32_e32 v10, v8, v9
	v_fma_f32 v8, v7, s85, -v8
	v_fmac_f32_e32 v8, 0x32a5705f, v7
	v_add_f32_e32 v8, v10, v8
	v_cvt_i32_f32_e32 v9, v9
	v_exp_f32_e32 v8, v8
	v_cmp_ngt_f32_e32 vcc, s8, v7
	v_ldexp_f32 v8, v8, v9
	v_cndmask_b32_e32 v8, 0, v8, vcc
	v_cmp_nlt_f32_e32 vcc, s9, v7
	v_cndmask_b32_e32 v7, v251, v8, vcc
	v_add_f32_e32 v7, 1.0, v7
	v_rcp_f32_e32 v7, v7
	v_fma_f32 v7, v7, -2.0, 1.0
.LBB30_417:                             ;   in Loop: Header=BB30_16 Depth=1
	s_andn2_saveexec_b64 s[48:49], s[48:49]
; %bb.418:                              ;   in Loop: Header=BB30_16 Depth=1
	v_mul_f32_e32 v7, v36, v36
	v_mov_b32_e32 v8, 0x3ca908c9
	v_fmac_f32_e32 v8, 0xbbbac73d, v7
	v_fma_f32 v8, v7, v8, v58
	v_fma_f32 v8, v7, v8, v59
	;; [unrolled: 1-line block ×3, first 2 shown]
	v_mul_f32_e64 v8, |v36|, v8
	v_fma_f32 v7, v7, v8, |v36|
; %bb.419:                              ;   in Loop: Header=BB30_16 Depth=1
	s_or_b64 exec, exec, s[48:49]
	v_cmp_nlt_f32_e64 s[48:49], |v37|, s69
                                        ; implicit-def: $vgpr8
	s_and_saveexec_b64 s[50:51], s[48:49]
	s_xor_b64 s[48:49], exec, s[50:51]
	s_cbranch_execz .LBB30_421
; %bb.420:                              ;   in Loop: Header=BB30_16 Depth=1
	v_add_f32_e64 v8, |v37|, |v37|
	v_mul_f32_e32 v9, 0x3fb8aa3b, v8
	v_rndne_f32_e32 v10, v9
	v_sub_f32_e32 v11, v9, v10
	v_fma_f32 v9, v8, s85, -v9
	v_fmac_f32_e32 v9, 0x32a5705f, v8
	v_add_f32_e32 v9, v11, v9
	v_cvt_i32_f32_e32 v10, v10
	v_exp_f32_e32 v9, v9
	v_cmp_ngt_f32_e32 vcc, s8, v8
	v_ldexp_f32 v9, v9, v10
	v_cndmask_b32_e32 v9, 0, v9, vcc
	v_cmp_nlt_f32_e32 vcc, s9, v8
	v_cndmask_b32_e32 v8, v251, v9, vcc
	v_add_f32_e32 v8, 1.0, v8
	v_rcp_f32_e32 v8, v8
	v_fma_f32 v8, v8, -2.0, 1.0
.LBB30_421:                             ;   in Loop: Header=BB30_16 Depth=1
	s_andn2_saveexec_b64 s[48:49], s[48:49]
; %bb.422:                              ;   in Loop: Header=BB30_16 Depth=1
	v_mul_f32_e32 v8, v37, v37
	v_mov_b32_e32 v9, 0x3ca908c9
	v_fmac_f32_e32 v9, 0xbbbac73d, v8
	v_fma_f32 v9, v8, v9, v58
	v_fma_f32 v9, v8, v9, v59
	;; [unrolled: 1-line block ×3, first 2 shown]
	v_mul_f32_e64 v9, |v37|, v9
	v_fma_f32 v8, v8, v9, |v37|
; %bb.423:                              ;   in Loop: Header=BB30_16 Depth=1
	s_or_b64 exec, exec, s[48:49]
	v_cmp_nlt_f32_e64 s[48:49], |v2|, s69
                                        ; implicit-def: $vgpr9
	s_and_saveexec_b64 s[50:51], s[48:49]
	s_xor_b64 s[48:49], exec, s[50:51]
	s_cbranch_execz .LBB30_425
; %bb.424:                              ;   in Loop: Header=BB30_16 Depth=1
	v_add_f32_e64 v9, |v2|, |v2|
	v_mul_f32_e32 v10, 0x3fb8aa3b, v9
	v_rndne_f32_e32 v11, v10
	v_sub_f32_e32 v12, v10, v11
	v_fma_f32 v10, v9, s85, -v10
	v_fmac_f32_e32 v10, 0x32a5705f, v9
	v_add_f32_e32 v10, v12, v10
	v_cvt_i32_f32_e32 v11, v11
	v_exp_f32_e32 v10, v10
	v_cmp_ngt_f32_e32 vcc, s8, v9
	v_ldexp_f32 v10, v10, v11
	v_cndmask_b32_e32 v10, 0, v10, vcc
	v_cmp_nlt_f32_e32 vcc, s9, v9
	v_cndmask_b32_e32 v9, v251, v10, vcc
	v_add_f32_e32 v9, 1.0, v9
	v_rcp_f32_e32 v9, v9
	v_fma_f32 v9, v9, -2.0, 1.0
.LBB30_425:                             ;   in Loop: Header=BB30_16 Depth=1
	s_andn2_saveexec_b64 s[48:49], s[48:49]
; %bb.426:                              ;   in Loop: Header=BB30_16 Depth=1
	v_mul_f32_e32 v9, v2, v2
	v_mov_b32_e32 v10, 0x3ca908c9
	v_fmac_f32_e32 v10, 0xbbbac73d, v9
	v_fma_f32 v10, v9, v10, v58
	v_fma_f32 v10, v9, v10, v59
	;; [unrolled: 1-line block ×3, first 2 shown]
	v_mul_f32_e64 v10, |v2|, v10
	v_fma_f32 v9, v9, v10, |v2|
; %bb.427:                              ;   in Loop: Header=BB30_16 Depth=1
	s_or_b64 exec, exec, s[48:49]
	v_cmp_nlt_f32_e64 s[48:49], |v3|, s69
                                        ; implicit-def: $vgpr11
	s_and_saveexec_b64 s[50:51], s[48:49]
	s_xor_b64 s[48:49], exec, s[50:51]
	s_cbranch_execz .LBB30_429
; %bb.428:                              ;   in Loop: Header=BB30_16 Depth=1
	v_add_f32_e64 v10, |v3|, |v3|
	v_mul_f32_e32 v11, 0x3fb8aa3b, v10
	v_rndne_f32_e32 v12, v11
	v_sub_f32_e32 v13, v11, v12
	v_fma_f32 v11, v10, s85, -v11
	v_fmac_f32_e32 v11, 0x32a5705f, v10
	v_add_f32_e32 v11, v13, v11
	v_cvt_i32_f32_e32 v12, v12
	v_exp_f32_e32 v11, v11
	v_cmp_ngt_f32_e32 vcc, s8, v10
	v_ldexp_f32 v11, v11, v12
	v_cndmask_b32_e32 v11, 0, v11, vcc
	v_cmp_nlt_f32_e32 vcc, s9, v10
	v_cndmask_b32_e32 v10, v251, v11, vcc
	v_add_f32_e32 v10, 1.0, v10
	v_rcp_f32_e32 v10, v10
	v_fma_f32 v11, v10, -2.0, 1.0
.LBB30_429:                             ;   in Loop: Header=BB30_16 Depth=1
	s_andn2_saveexec_b64 s[48:49], s[48:49]
; %bb.430:                              ;   in Loop: Header=BB30_16 Depth=1
	v_mul_f32_e32 v10, v3, v3
	v_mov_b32_e32 v11, 0x3ca908c9
	v_fmac_f32_e32 v11, 0xbbbac73d, v10
	v_fma_f32 v11, v10, v11, v58
	v_fma_f32 v11, v10, v11, v59
	;; [unrolled: 1-line block ×3, first 2 shown]
	v_mul_f32_e64 v11, |v3|, v11
	v_fma_f32 v11, v10, v11, |v3|
; %bb.431:                              ;   in Loop: Header=BB30_16 Depth=1
	s_or_b64 exec, exec, s[48:49]
	v_cmp_nlt_f32_e64 s[48:49], |v4|, s69
                                        ; implicit-def: $vgpr12
	s_and_saveexec_b64 s[50:51], s[48:49]
	s_xor_b64 s[48:49], exec, s[50:51]
	s_cbranch_execz .LBB30_433
; %bb.432:                              ;   in Loop: Header=BB30_16 Depth=1
	v_add_f32_e64 v10, |v4|, |v4|
	v_mul_f32_e32 v12, 0x3fb8aa3b, v10
	v_rndne_f32_e32 v13, v12
	v_sub_f32_e32 v14, v12, v13
	v_fma_f32 v12, v10, s85, -v12
	v_fmac_f32_e32 v12, 0x32a5705f, v10
	v_add_f32_e32 v12, v14, v12
	v_cvt_i32_f32_e32 v13, v13
	v_exp_f32_e32 v12, v12
	v_cmp_ngt_f32_e32 vcc, s8, v10
	v_ldexp_f32 v12, v12, v13
	v_cndmask_b32_e32 v12, 0, v12, vcc
	v_cmp_nlt_f32_e32 vcc, s9, v10
	v_cndmask_b32_e32 v10, v251, v12, vcc
	v_add_f32_e32 v10, 1.0, v10
	v_rcp_f32_e32 v10, v10
	v_fma_f32 v12, v10, -2.0, 1.0
.LBB30_433:                             ;   in Loop: Header=BB30_16 Depth=1
	s_andn2_saveexec_b64 s[48:49], s[48:49]
; %bb.434:                              ;   in Loop: Header=BB30_16 Depth=1
	v_mul_f32_e32 v10, v4, v4
	v_mov_b32_e32 v12, 0x3ca908c9
	v_fmac_f32_e32 v12, 0xbbbac73d, v10
	v_fma_f32 v12, v10, v12, v58
	v_fma_f32 v12, v10, v12, v59
	;; [unrolled: 1-line block ×3, first 2 shown]
	v_mul_f32_e64 v12, |v4|, v12
	v_fma_f32 v12, v10, v12, |v4|
; %bb.435:                              ;   in Loop: Header=BB30_16 Depth=1
	s_or_b64 exec, exec, s[48:49]
	v_cmp_nlt_f32_e64 s[48:49], |v5|, s69
                                        ; implicit-def: $vgpr13
	s_and_saveexec_b64 s[50:51], s[48:49]
	s_xor_b64 s[48:49], exec, s[50:51]
	s_cbranch_execz .LBB30_437
; %bb.436:                              ;   in Loop: Header=BB30_16 Depth=1
	v_add_f32_e64 v10, |v5|, |v5|
	v_mul_f32_e32 v13, 0x3fb8aa3b, v10
	v_rndne_f32_e32 v14, v13
	v_sub_f32_e32 v15, v13, v14
	v_fma_f32 v13, v10, s85, -v13
	v_fmac_f32_e32 v13, 0x32a5705f, v10
	v_add_f32_e32 v13, v15, v13
	v_cvt_i32_f32_e32 v14, v14
	v_exp_f32_e32 v13, v13
	v_cmp_ngt_f32_e32 vcc, s8, v10
	v_ldexp_f32 v13, v13, v14
	v_cndmask_b32_e32 v13, 0, v13, vcc
	v_cmp_nlt_f32_e32 vcc, s9, v10
	v_cndmask_b32_e32 v10, v251, v13, vcc
	v_add_f32_e32 v10, 1.0, v10
	v_rcp_f32_e32 v10, v10
	v_fma_f32 v13, v10, -2.0, 1.0
.LBB30_437:                             ;   in Loop: Header=BB30_16 Depth=1
	s_andn2_saveexec_b64 s[48:49], s[48:49]
; %bb.438:                              ;   in Loop: Header=BB30_16 Depth=1
	v_mul_f32_e32 v10, v5, v5
	v_mov_b32_e32 v13, 0x3ca908c9
	v_fmac_f32_e32 v13, 0xbbbac73d, v10
	v_fma_f32 v13, v10, v13, v58
	v_fma_f32 v13, v10, v13, v59
	;; [unrolled: 1-line block ×3, first 2 shown]
	v_mul_f32_e64 v13, |v5|, v13
	v_fma_f32 v13, v10, v13, |v5|
; %bb.439:                              ;   in Loop: Header=BB30_16 Depth=1
	s_or_b64 exec, exec, s[48:49]
	v_bfi_b32 v1, s68, v1, v34
	v_mul_f32_e32 v14, s97, v1
	v_bfi_b32 v1, s68, v6, v35
	v_bfi_b32 v2, s68, v9, v2
	v_mul_f32_e32 v15, s97, v1
	v_bfi_b32 v1, s68, v7, v36
	v_mul_f32_e32 v10, s97, v2
	;; [unrolled: 2-line block ×6, first 2 shown]
	v_mul_f32_e32 v13, s97, v1
	s_and_b64 vcc, exec, s[30:31]
	s_cbranch_vccz .LBB30_609
; %bb.440:                              ;   in Loop: Header=BB30_16 Depth=1
	v_add_u32_e32 v1, 0x8400, v50
	ds_read2_b32 v[2:3], v1 offset1:1
	ds_read_b32 v1, v126 offset:33792
	ds_read_b32 v6, v145 offset:33792
	s_waitcnt lgkmcnt(2)
	v_cvt_f32_f16_e32 v4, v2
	v_cvt_f32_f16_sdwa v5, v2 dst_sel:DWORD dst_unused:UNUSED_PAD src0_sel:WORD_1
	v_cvt_f32_f16_e32 v2, v3
	v_cvt_f32_f16_sdwa v3, v3 dst_sel:DWORD dst_unused:UNUSED_PAD src0_sel:WORD_1
	s_waitcnt lgkmcnt(1)
	v_cvt_f32_f16_sdwa v19, v1 dst_sel:DWORD dst_unused:UNUSED_PAD src0_sel:WORD_1
	s_waitcnt lgkmcnt(0)
	v_cvt_f32_f16_sdwa v21, v6 dst_sel:DWORD dst_unused:UNUSED_PAD src0_sel:WORD_1
	v_cvt_f32_f16_e32 v20, v6
	v_cvt_f32_f16_e32 v18, v1
	v_pk_fma_f32 v[8:9], v[78:79], v[2:3], v[16:17] op_sel_hi:[0,1,1]
	v_pk_fma_f32 v[6:7], v[78:79], v[4:5], v[14:15] op_sel_hi:[0,1,1]
	;; [unrolled: 1-line block ×4, first 2 shown]
	s_cbranch_execnz .LBB30_442
.LBB30_441:                             ;   in Loop: Header=BB30_16 Depth=1
	v_pk_mov_b32 v[2:3], v[10:11], v[10:11] op_sel:[0,1]
	v_pk_mov_b32 v[6:7], v[14:15], v[14:15] op_sel:[0,1]
	;; [unrolled: 1-line block ×4, first 2 shown]
.LBB30_442:                             ;   in Loop: Header=BB30_16 Depth=1
	v_add_f32_e32 v1, 0x40051340, v6
	v_max_f32_e32 v10, v38, v38
	v_cmp_gt_u32_e64 s[60:61], s64, v84
	v_max_f32_e32 v1, v10, v1
	v_cndmask_b32_e64 v1, v38, v1, s[60:61]
	v_add_f32_e32 v10, 0x40051340, v7
	v_max_f32_e32 v11, v1, v1
	v_cmp_gt_u32_e64 s[62:63], s64, v92
	v_max_f32_e32 v10, v11, v10
	v_cndmask_b32_e64 v1, v1, v10, s[62:63]
	;; [unrolled: 5-line block ×7, first 2 shown]
	v_add_f32_e32 v10, 0x40051340, v5
	v_max_f32_e32 v11, v1, v1
	v_cmp_gt_u32_e32 vcc, s64, v101
	v_max_f32_e32 v10, v11, v10
	v_cndmask_b32_e32 v1, v1, v10, vcc
	v_and_b32_e32 v10, 64, v103
	v_add_u32_e32 v10, 64, v10
	v_xor_b32_e32 v11, 32, v103
	v_cmp_lt_i32_e64 s[64:65], v11, v10
	v_cndmask_b32_e64 v11, v103, v11, s[64:65]
	v_lshlrev_b32_e32 v11, 2, v11
	ds_bpermute_b32 v12, v11, v1
	v_max_f32_e32 v1, v1, v1
	v_cndmask_b32_e64 v8, v8, v8, s[62:63]
	v_cndmask_b32_e64 v9, v9, v9, s[62:63]
	;; [unrolled: 1-line block ×3, first 2 shown]
	s_waitcnt lgkmcnt(0)
	v_max_f32_e32 v12, v12, v12
	v_max_f32_e32 v1, v1, v12
	v_xor_b32_e32 v12, 16, v103
	v_cmp_lt_i32_e64 s[64:65], v12, v10
	v_cndmask_b32_e64 v10, v103, v12, s[64:65]
	v_lshlrev_b32_e32 v37, 2, v10
	ds_bpermute_b32 v10, v37, v1
	v_cndmask_b32_e64 v5, v5, v5, s[52:53]
	v_cndmask_b32_e64 v4, v4, v4, s[52:53]
	s_mul_i32 s30, s94, s87
	s_mul_hi_u32 s31, s94, s86
	s_waitcnt lgkmcnt(0)
	v_max_f32_e32 v10, v10, v10
	v_max_f32_e32 v10, v1, v10
	v_sub_f32_e32 v1, v6, v10
	v_mul_f32_e32 v6, 0x3fb8aa3b, v1
	v_fma_f32 v12, v1, s85, -v6
	v_rndne_f32_e32 v13, v6
	v_fmac_f32_e32 v12, 0x32a5705f, v1
	v_sub_f32_e32 v6, v6, v13
	v_add_f32_e32 v6, v6, v12
	v_exp_f32_e32 v6, v6
	v_cvt_i32_f32_e32 v12, v13
	v_cmp_ngt_f32_e64 s[64:65], s8, v1
	v_sub_f32_e32 v2, v2, v10
	s_add_i32 s31, s31, s30
	v_ldexp_f32 v6, v6, v12
	v_cndmask_b32_e64 v6, 0, v6, s[64:65]
	v_cmp_nlt_f32_e64 s[64:65], s9, v1
	v_cndmask_b32_e64 v1, v251, v6, s[64:65]
	v_cndmask_b32_e64 v18, 0, v1, s[60:61]
	v_sub_f32_e32 v1, v7, v10
	v_mul_f32_e32 v6, 0x3fb8aa3b, v1
	v_fma_f32 v7, v1, s85, -v6
	v_rndne_f32_e32 v12, v6
	v_fmac_f32_e32 v7, 0x32a5705f, v1
	v_sub_f32_e32 v6, v6, v12
	v_add_f32_e32 v6, v6, v7
	v_exp_f32_e32 v6, v6
	v_cvt_i32_f32_e32 v7, v12
	v_cmp_ngt_f32_e64 s[60:61], s8, v1
	s_mul_i32 s30, s94, s86
	s_lshl_b64 s[30:31], s[30:31], 2
	v_ldexp_f32 v6, v6, v7
	v_cndmask_b32_e64 v6, 0, v6, s[60:61]
	v_cmp_nlt_f32_e64 s[60:61], s9, v1
	v_cndmask_b32_e64 v6, v251, v6, s[60:61]
	v_mov_b32_e32 v1, s95
	v_add_f32_e32 v7, v6, v18
	v_cndmask_b32_e64 v19, v1, v6, s[62:63]
	v_sub_f32_e32 v6, v8, v10
	v_cndmask_b32_e64 v1, v18, v7, s[62:63]
	v_mul_f32_e32 v7, 0x3fb8aa3b, v6
	v_fma_f32 v8, v6, s85, -v7
	v_rndne_f32_e32 v12, v7
	v_fmac_f32_e32 v8, 0x32a5705f, v6
	v_sub_f32_e32 v7, v7, v12
	v_add_f32_e32 v7, v7, v8
	v_exp_f32_e32 v7, v7
	v_cvt_i32_f32_e32 v8, v12
	v_cmp_ngt_f32_e64 s[60:61], s8, v6
	v_cvt_f16_f32_e32 v18, v18
	v_cvt_f16_f32_e32 v19, v19
	v_ldexp_f32 v7, v7, v8
	v_cndmask_b32_e64 v7, 0, v7, s[60:61]
	v_cmp_nlt_f32_e64 s[60:61], s9, v6
	v_cndmask_b32_e64 v7, v251, v7, s[60:61]
	v_mov_b32_e32 v6, s95
	v_cndmask_b32_e64 v21, v6, v7, s[56:57]
	v_sub_f32_e32 v6, v9, v10
	v_add_f32_e32 v8, v1, v7
	v_mul_f32_e32 v7, 0x3fb8aa3b, v6
	v_cndmask_b32_e64 v1, v1, v8, s[56:57]
	v_fma_f32 v8, v6, s85, -v7
	v_rndne_f32_e32 v9, v7
	v_fmac_f32_e32 v8, 0x32a5705f, v6
	v_sub_f32_e32 v7, v7, v9
	v_add_f32_e32 v7, v7, v8
	v_exp_f32_e32 v7, v7
	v_cvt_i32_f32_e32 v8, v9
	v_cmp_ngt_f32_e64 s[56:57], s8, v6
	s_add_u32 s30, s75, s30
	s_addc_u32 s31, s76, s31
	v_ldexp_f32 v7, v7, v8
	v_cndmask_b32_e64 v7, 0, v7, s[56:57]
	v_cmp_nlt_f32_e64 s[56:57], s9, v6
	v_cndmask_b32_e64 v6, v251, v7, s[56:57]
	v_mov_b32_e32 v7, s95
	v_add_f32_e32 v8, v1, v6
	v_cndmask_b32_e64 v42, v7, v6, s[54:55]
	v_mul_f32_e32 v6, 0x3fb8aa3b, v2
	v_cndmask_b32_e64 v1, v1, v8, s[54:55]
	v_fma_f32 v7, v2, s85, -v6
	v_rndne_f32_e32 v8, v6
	v_fmac_f32_e32 v7, 0x32a5705f, v2
	v_sub_f32_e32 v6, v6, v8
	v_add_f32_e32 v6, v6, v7
	v_exp_f32_e32 v6, v6
	v_cvt_i32_f32_e32 v7, v8
	v_cmp_ngt_f32_e64 s[54:55], s8, v2
	v_mov_b32_e32 v47, s31
	v_mov_b32_e32 v49, s31
	v_ldexp_f32 v6, v6, v7
	v_cndmask_b32_e64 v6, 0, v6, s[54:55]
	v_cmp_nlt_f32_e64 s[54:55], s9, v2
	v_cndmask_b32_e64 v6, v251, v6, s[54:55]
	v_add_f32_e32 v7, v6, v1
	v_mov_b32_e32 v2, s95
	v_cndmask_b32_e64 v43, v2, v6, s[52:53]
	v_cndmask_b32_e64 v2, v1, v7, s[52:53]
	v_sub_f32_e32 v1, v3, v10
	v_mul_f32_e32 v3, 0x3fb8aa3b, v1
	v_fma_f32 v6, v1, s85, -v3
	v_rndne_f32_e32 v7, v3
	v_fmac_f32_e32 v6, 0x32a5705f, v1
	v_sub_f32_e32 v3, v3, v7
	v_add_f32_e32 v3, v3, v6
	v_exp_f32_e32 v3, v3
	v_cvt_i32_f32_e32 v6, v7
	v_cmp_ngt_f32_e64 s[52:53], s8, v1
	buffer_store_dword v127, off, s[0:3], 0
	buffer_store_dword v127, off, s[0:3], 0 offset:4
	buffer_store_dword v127, off, s[0:3], 0 offset:8
	;; [unrolled: 1-line block ×3, first 2 shown]
	s_cmp_eq_u64 s[58:59], 0
	v_ldexp_f32 v3, v3, v6
	v_cndmask_b32_e64 v3, 0, v3, s[52:53]
	v_cmp_nlt_f32_e64 s[52:53], s9, v1
	v_cndmask_b32_e64 v3, v251, v3, s[52:53]
	v_add_f32_e32 v6, v3, v2
	v_mov_b32_e32 v1, s95
	v_cndmask_b32_e64 v44, v1, v3, s[50:51]
	v_cndmask_b32_e64 v1, v2, v6, s[50:51]
	v_sub_f32_e32 v2, v4, v10
	v_mul_f32_e32 v3, 0x3fb8aa3b, v2
	v_fma_f32 v4, v2, s85, -v3
	v_rndne_f32_e32 v6, v3
	v_fmac_f32_e32 v4, 0x32a5705f, v2
	v_sub_f32_e32 v3, v3, v6
	v_add_f32_e32 v3, v3, v4
	v_exp_f32_e32 v3, v3
	v_cvt_i32_f32_e32 v4, v6
	v_cmp_ngt_f32_e64 s[50:51], s8, v2
	v_ldexp_f32 v3, v3, v4
	v_cndmask_b32_e64 v3, 0, v3, s[50:51]
	v_cmp_nlt_f32_e64 s[50:51], s9, v2
	v_cndmask_b32_e64 v3, v251, v3, s[50:51]
	v_mov_b32_e32 v2, s95
	v_cndmask_b32_e64 v45, v2, v3, s[48:49]
	v_sub_f32_e32 v2, v5, v10
	v_add_f32_e32 v4, v3, v1
	v_mul_f32_e32 v3, 0x3fb8aa3b, v2
	v_cndmask_b32_e64 v1, v1, v4, s[48:49]
	v_fma_f32 v4, v2, s85, -v3
	v_rndne_f32_e32 v5, v3
	v_fmac_f32_e32 v4, 0x32a5705f, v2
	v_sub_f32_e32 v3, v3, v5
	v_add_f32_e32 v3, v3, v4
	v_exp_f32_e32 v3, v3
	v_cvt_i32_f32_e32 v4, v5
	v_cmp_ngt_f32_e64 s[48:49], s8, v2
	v_ldexp_f32 v3, v3, v4
	v_cndmask_b32_e64 v3, 0, v3, s[48:49]
	v_cmp_nlt_f32_e64 s[48:49], s9, v2
	v_cndmask_b32_e64 v2, v251, v3, s[48:49]
	v_add_f32_e32 v4, v2, v1
	v_mov_b32_e32 v3, s95
	v_cndmask_b32_e32 v40, v1, v4, vcc
	v_sub_f32_e32 v1, v38, v10
	v_cndmask_b32_e32 v46, v3, v2, vcc
	v_mul_f32_e32 v2, 0x3fb8aa3b, v1
	v_fma_f32 v3, v1, s85, -v2
	v_rndne_f32_e32 v4, v2
	v_fmac_f32_e32 v3, 0x32a5705f, v1
	v_sub_f32_e32 v2, v2, v4
	v_add_f32_e32 v2, v2, v3
	v_exp_f32_e32 v2, v2
	v_cvt_i32_f32_e32 v3, v4
	v_cmp_ngt_f32_e32 vcc, s8, v1
	v_ldexp_f32 v2, v2, v3
	v_cndmask_b32_e32 v2, 0, v2, vcc
	v_cmp_nlt_f32_e32 vcc, s9, v1
	v_cndmask_b32_e32 v2, v251, v2, vcc
	v_cmp_le_f32_e32 vcc, s70, v1
	v_cndmask_b32_e32 v1, 0, v2, vcc
	v_cvt_f16_f32_e32 v20, v1
	v_fmac_f32_e32 v40, v39, v1
	ds_bpermute_b32 v11, v11, v40
	v_pk_mul_f16 v22, v20, v249 op_sel_hi:[0,1]
	v_pk_mul_f16 v17, v20, v252 op_sel_hi:[0,1]
	;; [unrolled: 1-line block ×32, first 2 shown]
	v_pack_b32_f16 v20, v18, v19
	v_cvt_f16_f32_e32 v18, v21
	v_cvt_f16_f32_e32 v19, v42
	;; [unrolled: 1-line block ×3, first 2 shown]
	v_mov_b32_e32 v52, s31
	s_waitcnt lgkmcnt(0)
	v_add_f32_e32 v11, v40, v11
	v_pack_b32_f16 v21, v18, v19
	v_cvt_f16_f32_e32 v18, v43
	v_cvt_f16_f32_e32 v19, v44
	v_mov_b32_e32 v43, s31
	v_mov_b32_e32 v44, s37
	v_pack_b32_f16 v18, v18, v19
	v_cvt_f16_f32_e32 v19, v45
	v_mov_b32_e32 v45, s36
	v_pack_b32_f16 v19, v19, v42
	v_add_co_u32_e32 v42, vcc, s30, v62
	v_addc_co_u32_e32 v43, vcc, v43, v63, vcc
	v_add_co_u32_e32 v42, vcc, v42, v41
	v_addc_co_u32_e32 v43, vcc, 0, v43, vcc
	;; [unrolled: 2-line block ×7, first 2 shown]
	v_add_co_u32_e32 v41, vcc, v51, v41
	v_cndmask_b32_e64 v43, v44, v43, s[40:41]
	v_cndmask_b32_e64 v42, v45, v42, s[40:41]
	v_addc_co_u32_e32 v51, vcc, 0, v52, vcc
	v_cndmask_b32_e64 v47, v44, v47, s[42:43]
	v_cndmask_b32_e64 v46, v45, v46, s[42:43]
	;; [unrolled: 1-line block ×6, first 2 shown]
	flat_load_dwordx4 v[42:45], v[42:43]
	v_add_u32_e32 v41, v146, v178
	v_readlane_b32 s40, v254, 58
	v_readlane_b32 s41, v254, 59
	s_cselect_b64 s[30:31], -1, 0
	s_xor_b64 s[40:41], s[40:41], -1
	s_or_b64 s[30:31], s[40:41], s[30:31]
	s_waitcnt vmcnt(0) lgkmcnt(0)
	ds_write_b128 v132, v[42:45]
	flat_load_dwordx4 v[42:45], v[46:47]
	v_cvt_f32_f16_e32 v46, v17
	v_cvt_f32_f16_sdwa v47, v17 dst_sel:DWORD dst_unused:UNUSED_PAD src0_sel:WORD_1
	s_waitcnt vmcnt(0) lgkmcnt(0)
	ds_write_b128 v134, v[42:45]
	flat_load_dwordx4 v[42:45], v[48:49]
	s_waitcnt vmcnt(0) lgkmcnt(0)
	ds_write_b128 v136, v[42:45]
	flat_load_dwordx4 v[42:45], v[52:53]
	s_waitcnt vmcnt(0) lgkmcnt(0)
	ds_write_b128 v138, v[42:45]
	s_waitcnt lgkmcnt(0)
	s_barrier
	ds_read_u16 v42, v41 offset:528
	ds_read_u16 v43, v181 offset:1056
	v_add_u32_e32 v41, v146, v179
	ds_read_u16 v17, v41
	ds_read_u16 v48, v41 offset:32
	v_cvt_f32_f16_e32 v44, v22
	v_cvt_f32_f16_sdwa v45, v22 dst_sel:DWORD dst_unused:UNUSED_PAD src0_sel:WORD_1
	s_waitcnt lgkmcnt(1)
	v_perm_b32 v43, v17, v43, s71
	ds_read_u16 v17, v180
	ds_read_u16 v49, v180 offset:32
	s_waitcnt lgkmcnt(1)
	v_perm_b32 v42, v42, v17, s71
	s_nop 1
	v_mfma_f32_16x16x16f16 v[42:45], v[42:43], v[20:21], v[44:47]
	s_nop 6
	ds_read_u16 v46, v180 offset:16896
	s_nop 2
	v_cvt_f16_f32_e32 v17, v42
	v_add_u32_e32 v42, v147, v178
	ds_read_u16 v51, v42 offset:528
	ds_read_u16 v47, v232 offset:1056
	;; [unrolled: 1-line block ×3, first 2 shown]
	v_cvt_f16_f32_e32 v22, v43
	v_cvt_f16_f32_e32 v44, v44
	;; [unrolled: 1-line block ×3, first 2 shown]
	s_waitcnt lgkmcnt(2)
	v_perm_b32 v46, v51, v46, s71
	s_waitcnt lgkmcnt(0)
	v_perm_b32 v47, v52, v47, s71
	v_cvt_f32_f16_e32 v42, v17
	v_cvt_f32_f16_e32 v43, v22
	;; [unrolled: 1-line block ×4, first 2 shown]
	s_nop 1
	v_mfma_f32_16x16x16f16 v[42:45], v[46:47], v[18:19], v[42:45]
	s_nop 7
	s_nop 2
	v_cvt_f16_f32_e32 v17, v42
	v_cvt_f16_f32_e32 v22, v43
	;; [unrolled: 1-line block ×4, first 2 shown]
	v_cvt_f32_f16_e32 v44, v23
	v_pack_b32_f16 v22, v17, v22
	v_cvt_f32_f16_sdwa v45, v23 dst_sel:DWORD dst_unused:UNUSED_PAD src0_sel:WORD_1
	v_pack_b32_f16 v17, v42, v43
	v_add_u32_e32 v42, v148, v178
	ds_read_u16 v46, v42 offset:528
	ds_read_u16 v47, v248 offset:1056
	v_cvt_f32_f16_e32 v42, v24
	v_cvt_f32_f16_sdwa v43, v24 dst_sel:DWORD dst_unused:UNUSED_PAD src0_sel:WORD_1
	s_waitcnt lgkmcnt(1)
	v_perm_b32 v46, v46, v49, s71
	s_waitcnt lgkmcnt(0)
	v_perm_b32 v47, v48, v47, s71
	s_nop 1
	v_mfma_f32_16x16x16f16 v[42:45], v[46:47], v[20:21], v[42:45]
	ds_read_u16 v46, v184 offset:16896
	s_nop 7
	s_nop 1
	v_cvt_f16_f32_e32 v23, v42
	v_add_u32_e32 v42, v149, v178
	ds_read_u16 v48, v42 offset:528
	ds_read_u16 v47, v185 offset:1056
	v_add_u32_e32 v42, v148, v179
	ds_read_u16 v49, v42 offset:16896
	v_cvt_f16_f32_e32 v24, v43
	v_cvt_f16_f32_e32 v44, v44
	v_cvt_f16_f32_e32 v45, v45
	s_waitcnt lgkmcnt(2)
	v_perm_b32 v46, v48, v46, s71
	s_waitcnt lgkmcnt(0)
	v_perm_b32 v47, v49, v47, s71
	v_cvt_f32_f16_e32 v42, v23
	v_cvt_f32_f16_e32 v43, v24
	v_cvt_f32_f16_e32 v44, v44
	v_cvt_f32_f16_e32 v45, v45
	s_nop 1
	v_mfma_f32_16x16x16f16 v[42:45], v[46:47], v[18:19], v[42:45]
	ds_read_u16 v46, v180 offset:64
	s_nop 7
	s_nop 1
	v_cvt_f16_f32_e32 v23, v42
	v_cvt_f16_f32_e32 v24, v43
	v_cvt_f16_f32_e32 v42, v44
	v_cvt_f16_f32_e32 v43, v45
	v_cvt_f32_f16_e32 v44, v25
	v_pack_b32_f16 v24, v23, v24
	v_cvt_f32_f16_sdwa v45, v25 dst_sel:DWORD dst_unused:UNUSED_PAD src0_sel:WORD_1
	v_pack_b32_f16 v23, v42, v43
	v_add_u32_e32 v42, v150, v178
	ds_read_u16 v48, v42 offset:528
	ds_read_u16 v47, v186 offset:1056
	ds_read_u16 v49, v41 offset:64
	v_cvt_f32_f16_e32 v42, v26
	v_cvt_f32_f16_sdwa v43, v26 dst_sel:DWORD dst_unused:UNUSED_PAD src0_sel:WORD_1
	s_waitcnt lgkmcnt(2)
	v_perm_b32 v46, v48, v46, s71
	s_waitcnt lgkmcnt(0)
	v_perm_b32 v47, v49, v47, s71
	s_nop 1
	v_mfma_f32_16x16x16f16 v[42:45], v[46:47], v[20:21], v[42:45]
	ds_read_u16 v46, v187 offset:16896
	s_nop 7
	s_nop 1
	v_cvt_f16_f32_e32 v25, v42
	v_add_u32_e32 v42, v151, v178
	ds_read_u16 v48, v42 offset:528
	ds_read_u16 v47, v188 offset:1056
	v_add_u32_e32 v42, v150, v179
	ds_read_u16 v49, v42 offset:16896
	v_cvt_f16_f32_e32 v26, v43
	v_cvt_f16_f32_e32 v44, v44
	v_cvt_f16_f32_e32 v45, v45
	s_waitcnt lgkmcnt(2)
	v_perm_b32 v46, v48, v46, s71
	s_waitcnt lgkmcnt(0)
	v_perm_b32 v47, v49, v47, s71
	v_cvt_f32_f16_e32 v42, v25
	v_cvt_f32_f16_e32 v43, v26
	v_cvt_f32_f16_e32 v44, v44
	v_cvt_f32_f16_e32 v45, v45
	s_nop 1
	v_mfma_f32_16x16x16f16 v[42:45], v[46:47], v[18:19], v[42:45]
	ds_read_u16 v46, v180 offset:96
	s_nop 7
	s_nop 1
	v_cvt_f16_f32_e32 v25, v42
	v_cvt_f16_f32_e32 v26, v43
	v_cvt_f16_f32_e32 v42, v44
	v_cvt_f16_f32_e32 v43, v45
	v_cvt_f32_f16_e32 v44, v27
	v_pack_b32_f16 v26, v25, v26
	v_cvt_f32_f16_sdwa v45, v27 dst_sel:DWORD dst_unused:UNUSED_PAD src0_sel:WORD_1
	v_pack_b32_f16 v25, v42, v43
	v_add_u32_e32 v42, v152, v178
	ds_read_u16 v48, v42 offset:528
	;; [unrolled: 45-line block ×13, first 2 shown]
	ds_read_u16 v47, v222 offset:1056
	ds_read_u16 v49, v41 offset:448
	v_cvt_f32_f16_e32 v42, v16
	v_cvt_f32_f16_sdwa v43, v16 dst_sel:DWORD dst_unused:UNUSED_PAD src0_sel:WORD_1
	s_waitcnt lgkmcnt(2)
	v_perm_b32 v46, v48, v46, s71
	s_waitcnt lgkmcnt(0)
	v_perm_b32 v47, v49, v47, s71
	s_nop 1
	v_mfma_f32_16x16x16f16 v[42:45], v[46:47], v[20:21], v[42:45]
	ds_read_u16 v46, v223 offset:16896
	s_nop 7
	s_nop 1
	v_cvt_f16_f32_e32 v15, v42
	v_add_u32_e32 v42, v175, v178
	ds_read_u16 v48, v42 offset:528
	ds_read_u16 v47, v224 offset:1056
	v_add_u32_e32 v42, v174, v179
	ds_read_u16 v49, v42 offset:16896
	v_cvt_f16_f32_e32 v16, v43
	v_cvt_f16_f32_e32 v44, v44
	;; [unrolled: 1-line block ×3, first 2 shown]
	s_waitcnt lgkmcnt(2)
	v_perm_b32 v46, v48, v46, s71
	s_waitcnt lgkmcnt(0)
	v_perm_b32 v47, v49, v47, s71
	v_cvt_f32_f16_e32 v42, v15
	v_cvt_f32_f16_e32 v43, v16
	;; [unrolled: 1-line block ×5, first 2 shown]
	v_cvt_f32_f16_sdwa v49, v38 dst_sel:DWORD dst_unused:UNUSED_PAD src0_sel:WORD_1
	v_mfma_f32_16x16x16f16 v[42:45], v[46:47], v[18:19], v[42:45]
	v_cvt_f32_f16_e32 v46, v39
	v_cvt_f32_f16_sdwa v47, v39 dst_sel:DWORD dst_unused:UNUSED_PAD src0_sel:WORD_1
	s_nop 7
	s_nop 0
	v_cvt_f16_f32_e32 v15, v42
	v_cvt_f16_f32_e32 v16, v43
	;; [unrolled: 1-line block ×4, first 2 shown]
	v_pack_b32_f16 v16, v15, v16
	v_pack_b32_f16 v15, v42, v43
	v_add_u32_e32 v43, v176, v178
	ds_read_u16 v42, v180 offset:480
	ds_read_u16 v43, v43 offset:528
	;; [unrolled: 1-line block ×4, first 2 shown]
	s_waitcnt lgkmcnt(2)
	v_perm_b32 v38, v43, v42, s71
	s_waitcnt lgkmcnt(0)
	v_perm_b32 v39, v41, v44, s71
	s_nop 1
	v_mfma_f32_16x16x16f16 v[42:45], v[38:39], v[20:21], v[46:49]
	ds_read_u16 v20, v226 offset:16896
	s_nop 7
	s_nop 1
	v_cvt_f16_f32_e32 v21, v42
	v_add_u32_e32 v42, v177, v178
	ds_read_u16 v46, v42 offset:528
	ds_read_u16 v47, v227 offset:1056
	v_add_u32_e32 v42, v176, v179
	ds_read_u16 v48, v42 offset:16896
	v_cvt_f16_f32_e32 v38, v43
	v_cvt_f16_f32_e32 v39, v44
	;; [unrolled: 1-line block ×3, first 2 shown]
	v_cvt_f32_f16_e32 v42, v21
	s_waitcnt lgkmcnt(0)
	v_perm_b32 v21, v48, v47, s71
	v_perm_b32 v20, v46, v20, s71
	v_cvt_f32_f16_e32 v43, v38
	v_cvt_f32_f16_e32 v44, v39
	;; [unrolled: 1-line block ×3, first 2 shown]
	s_barrier
	s_nop 0
	v_mfma_f32_16x16x16f16 v[18:21], v[20:21], v[18:19], v[42:45]
	s_nop 7
	s_nop 2
	v_cvt_f16_f32_e32 v18, v18
	v_cvt_f16_f32_e32 v19, v19
	;; [unrolled: 1-line block ×4, first 2 shown]
	v_pack_b32_f16 v18, v18, v19
	v_pack_b32_f16 v19, v20, v21
	ds_bpermute_b32 v20, v37, v11
	s_waitcnt lgkmcnt(0)
	v_add_f32_e32 v11, v11, v20
	s_and_saveexec_b64 s[40:41], s[30:31]
	s_xor_b64 s[30:31], exec, s[40:41]
	s_or_saveexec_b64 s[30:31], s[30:31]
	buffer_load_dword v238, off, s[0:3], 0 offset:112 ; 4-byte Folded Reload
	buffer_load_dword v239, off, s[0:3], 0 offset:116 ; 4-byte Folded Reload
	buffer_load_dword v240, off, s[0:3], 0 offset:120 ; 4-byte Folded Reload
	buffer_load_dword v242, off, s[0:3], 0 offset:124 ; 4-byte Folded Reload
	buffer_load_dword v243, off, s[0:3], 0 offset:128 ; 4-byte Folded Reload
	buffer_load_dword v244, off, s[0:3], 0 offset:132 ; 4-byte Folded Reload
	buffer_load_dword v246, off, s[0:3], 0 offset:136 ; 4-byte Folded Reload
	buffer_load_dword v247, off, s[0:3], 0 offset:140 ; 4-byte Folded Reload
	v_bfe_u32 v241, v245, 10, 10
	v_lshrrev_b32_e32 v249, 1, v241
	s_xor_b64 exec, exec, s[30:31]
	s_cbranch_execz .LBB30_444
; %bb.443:                              ;   in Loop: Header=BB30_16 Depth=1
	global_load_dword v21, v127, s[58:59]
	v_max_f32_e32 v38, v10, v10
	s_waitcnt vmcnt(0)
	v_max_f32_e32 v20, v21, v21
	v_max_f32_e32 v20, v38, v20
	v_sub_f32_e32 v10, v10, v20
	v_mul_f32_e32 v38, 0x3fb8aa3b, v10
	v_fma_f32 v39, v10, s85, -v38
	v_rndne_f32_e32 v40, v38
	v_fmac_f32_e32 v39, 0x32a5705f, v10
	v_sub_f32_e32 v38, v38, v40
	v_add_f32_e32 v38, v38, v39
	v_exp_f32_e32 v38, v38
	v_cvt_i32_f32_e32 v39, v40
	v_cmp_ngt_f32_e32 vcc, s8, v10
	v_sub_f32_e32 v21, v21, v20
	v_ldexp_f32 v38, v38, v39
	v_cndmask_b32_e32 v38, 0, v38, vcc
	v_cmp_nlt_f32_e32 vcc, s9, v10
	v_cndmask_b32_e32 v38, v251, v38, vcc
	v_cmp_le_f32_e32 vcc, s70, v10
	v_cndmask_b32_e32 v10, 0, v38, vcc
	v_cvt_f16_f32_e32 v38, v10
	v_cmp_ngt_f32_e32 vcc, s8, v21
	v_pk_mul_f16 v22, v38, v22 op_sel_hi:[0,1]
	v_pk_mul_f16 v17, v38, v17 op_sel_hi:[0,1]
	v_pk_mul_f16 v24, v38, v24 op_sel_hi:[0,1]
	v_pk_mul_f16 v23, v38, v23 op_sel_hi:[0,1]
	v_pk_mul_f16 v26, v38, v26 op_sel_hi:[0,1]
	v_pk_mul_f16 v25, v38, v25 op_sel_hi:[0,1]
	v_pk_mul_f16 v28, v38, v28 op_sel_hi:[0,1]
	v_pk_mul_f16 v27, v38, v27 op_sel_hi:[0,1]
	v_pk_mul_f16 v30, v38, v30 op_sel_hi:[0,1]
	v_pk_mul_f16 v29, v38, v29 op_sel_hi:[0,1]
	v_pk_mul_f16 v32, v38, v32 op_sel_hi:[0,1]
	v_pk_mul_f16 v31, v38, v31 op_sel_hi:[0,1]
	v_pk_mul_f16 v34, v38, v34 op_sel_hi:[0,1]
	v_pk_mul_f16 v33, v38, v33 op_sel_hi:[0,1]
	v_pk_mul_f16 v36, v38, v36 op_sel_hi:[0,1]
	v_pk_mul_f16 v35, v38, v35 op_sel_hi:[0,1]
	v_pk_mul_f16 v2, v38, v2 op_sel_hi:[0,1]
	v_pk_mul_f16 v1, v38, v1 op_sel_hi:[0,1]
	v_pk_mul_f16 v4, v38, v4 op_sel_hi:[0,1]
	v_pk_mul_f16 v3, v38, v3 op_sel_hi:[0,1]
	v_pk_mul_f16 v6, v38, v6 op_sel_hi:[0,1]
	v_pk_mul_f16 v5, v38, v5 op_sel_hi:[0,1]
	v_pk_mul_f16 v8, v38, v8 op_sel_hi:[0,1]
	v_pk_mul_f16 v7, v38, v7 op_sel_hi:[0,1]
	v_pk_mul_f16 v12, v38, v12 op_sel_hi:[0,1]
	v_pk_mul_f16 v9, v38, v9 op_sel_hi:[0,1]
	v_pk_mul_f16 v14, v38, v14 op_sel_hi:[0,1]
	v_pk_mul_f16 v13, v38, v13 op_sel_hi:[0,1]
	v_pk_mul_f16 v16, v38, v16 op_sel_hi:[0,1]
	v_pk_mul_f16 v15, v38, v15 op_sel_hi:[0,1]
	v_pk_mul_f16 v18, v38, v18 op_sel_hi:[0,1]
	v_pk_mul_f16 v19, v38, v19 op_sel_hi:[0,1]
	v_mul_f32_e32 v38, 0x3fb8aa3b, v21
	v_fma_f32 v39, v21, s85, -v38
	v_rndne_f32_e32 v40, v38
	v_fmac_f32_e32 v39, 0x32a5705f, v21
	v_sub_f32_e32 v38, v38, v40
	v_add_f32_e32 v38, v38, v39
	v_exp_f32_e32 v38, v38
	v_cvt_i32_f32_e32 v39, v40
	v_ldexp_f32 v38, v38, v39
	v_cndmask_b32_e32 v38, 0, v38, vcc
	v_cmp_nlt_f32_e32 vcc, s9, v21
	v_cndmask_b32_e32 v21, v251, v38, vcc
	v_fmac_f32_e32 v21, v11, v10
	v_pk_mov_b32 v[10:11], v[20:21], v[20:21] op_sel:[0,1]
.LBB30_444:                             ;   in Loop: Header=BB30_16 Depth=1
	s_or_b64 exec, exec, s[30:31]
	s_mov_b64 s[30:31], exec
	v_readlane_b32 s40, v254, 62
	v_readlane_b32 s41, v254, 63
	s_and_b64 s[40:41], s[30:31], s[40:41]
	s_mov_b64 exec, s[40:41]
	s_cbranch_execz .LBB30_446
; %bb.445:                              ;   in Loop: Header=BB30_16 Depth=1
	buffer_load_dword v20, off, s[0:3], 0 offset:52 ; 4-byte Folded Reload
	s_waitcnt vmcnt(0)
	v_add_u32_e32 v20, 0, v20
	ds_write2_b32 v20, v10, v11 offset0:64 offset1:65
.LBB30_446:                             ;   in Loop: Header=BB30_16 Depth=1
	s_or_b64 exec, exec, s[30:31]
	s_waitcnt lgkmcnt(0)
	s_barrier
	s_mov_b64 s[30:31], exec
	v_readlane_b32 s40, v254, 60
	v_readlane_b32 s41, v254, 61
	s_and_b64 s[40:41], s[30:31], s[40:41]
	s_xor_b64 s[30:31], s[40:41], s[30:31]
	s_mov_b64 exec, s[40:41]
	s_cbranch_execz .LBB30_448
; %bb.447:                              ;   in Loop: Header=BB30_16 Depth=1
	s_barrier
	s_waitcnt lgkmcnt(0)
                                        ; implicit-def: $vgpr37
.LBB30_448:                             ;   in Loop: Header=BB30_16 Depth=1
	s_andn2_saveexec_b64 s[30:31], s[30:31]
	s_cbranch_execz .LBB30_452
; %bb.449:                              ;   in Loop: Header=BB30_16 Depth=1
	buffer_load_dword v10, off, s[0:3], 0 offset:56 ; 4-byte Folded Reload
	s_waitcnt vmcnt(0)
	v_add_u32_e32 v20, 0, v10
	ds_read_b64 v[10:11], v20 offset:256
	s_waitcnt lgkmcnt(0)
	s_barrier
	ds_bpermute_b32 v21, v37, v10
	v_max_f32_e32 v38, v10, v10
	s_waitcnt lgkmcnt(0)
	v_max_f32_e32 v21, v21, v21
	v_max_f32_e32 v21, v38, v21
	v_sub_f32_e32 v10, v10, v21
	v_mul_f32_e32 v21, 0x3fb8aa3b, v10
	v_fma_f32 v38, v10, s85, -v21
	v_rndne_f32_e32 v39, v21
	v_fmac_f32_e32 v38, 0x32a5705f, v10
	v_sub_f32_e32 v21, v21, v39
	v_add_f32_e32 v21, v21, v38
	v_cvt_i32_f32_e32 v39, v39
	v_exp_f32_e32 v21, v21
	v_cmp_ngt_f32_e32 vcc, s8, v10
	v_ldexp_f32 v21, v21, v39
	v_cndmask_b32_e32 v21, 0, v21, vcc
	v_cmp_nlt_f32_e32 vcc, s9, v10
	v_cndmask_b32_e32 v10, v251, v21, vcc
	v_mul_f32_e32 v11, v11, v10
	ds_bpermute_b32 v21, v37, v11
	s_mov_b64 s[40:41], exec
	v_readlane_b32 s42, v255, 0
	v_readlane_b32 s43, v255, 1
	s_and_b64 s[42:43], s[40:41], s[42:43]
	s_mov_b64 exec, s[42:43]
	s_cbranch_execz .LBB30_451
; %bb.450:                              ;   in Loop: Header=BB30_16 Depth=1
	s_waitcnt lgkmcnt(0)
	v_add_f32_e32 v11, v11, v21
	ds_write_b64 v20, v[10:11] offset:256
.LBB30_451:                             ;   in Loop: Header=BB30_16 Depth=1
	s_or_b64 exec, exec, s[40:41]
.LBB30_452:                             ;   in Loop: Header=BB30_16 Depth=1
	s_or_b64 exec, exec, s[30:31]
	ds_write2_b32 v230, v22, v17 offset1:1
	ds_write2_b32 v230, v24, v23 offset0:8 offset1:9
	ds_write2_b32 v230, v26, v25 offset0:16 offset1:17
	;; [unrolled: 1-line block ×7, first 2 shown]
	s_waitcnt lgkmcnt(0)
	s_barrier
	s_mov_b64 s[40:41], exec
	v_readlane_b32 s30, v254, 58
	v_readlane_b32 s31, v254, 59
	s_and_b64 s[30:31], s[40:41], s[30:31]
	s_mov_b64 exec, s[30:31]
	s_cbranch_execz .LBB30_530
; %bb.453:                              ;   in Loop: Header=BB30_16 Depth=1
	v_add_u32_e32 v11, s80, v249
	v_cmp_gt_i32_e32 vcc, s84, v11
	v_mov_b32_e32 v10, 0x47
	s_and_saveexec_b64 s[30:31], vcc
	s_cbranch_execz .LBB30_455
; %bb.454:                              ;   in Loop: Header=BB30_16 Depth=1
	buffer_load_dword v10, off, s[0:3], 0 offset:88 ; 4-byte Folded Reload
	buffer_load_dword v17, off, s[0:3], 0 offset:92 ; 4-byte Folded Reload
	v_readlane_b32 s42, v255, 3
	v_mad_u64_u32 v[24:25], s[42:43], v11, s42, v[80:81]
	v_ashrrev_i32_e32 v25, 31, v24
	v_lshlrev_b64 v[24:25], 3, v[24:25]
	v_add_co_u32_e32 v24, vcc, s66, v24
	v_mov_b32_e32 v11, s67
	v_addc_co_u32_e32 v25, vcc, v11, v25, vcc
	s_waitcnt vmcnt(1)
	v_add_u32_e32 v10, 0, v10
	ds_read2_b32 v[20:21], v10 offset0:64 offset1:65
	s_waitcnt vmcnt(0)
	ds_read2st64_b32 v[22:23], v17 offset1:17
	ds_read_b32 v10, v10 offset:4608
	s_waitcnt lgkmcnt(1)
	v_cvt_f32_f16_sdwa v27, v22 dst_sel:DWORD dst_unused:UNUSED_PAD src0_sel:WORD_1
	v_cvt_f32_f16_e32 v26, v22
	v_cvt_f32_f16_sdwa v29, v23 dst_sel:DWORD dst_unused:UNUSED_PAD src0_sel:WORD_1
	v_cvt_f32_f16_e32 v28, v23
	v_pk_fma_f32 v[26:27], v[20:21], v[26:27], 0 op_sel_hi:[0,1,0]
	s_waitcnt lgkmcnt(0)
	v_pk_fma_f32 v[10:11], v[10:11], v[28:29], v[26:27] op_sel_hi:[0,1,1]
	v_div_scale_f32 v17, s[42:43], v21, v21, v11
	v_rcp_f32_e32 v20, v17
	v_fma_f32 v22, -v17, v20, 1.0
	v_fmac_f32_e32 v20, v22, v20
	v_div_scale_f32 v22, vcc, v11, v21, v11
	v_mul_f32_e32 v23, v22, v20
	v_fma_f32 v26, -v17, v23, v22
	v_fmac_f32_e32 v23, v26, v20
	v_fma_f32 v17, -v17, v23, v22
	v_div_fmas_f32 v17, v17, v20, v23
	v_div_fixup_f32 v11, v17, v21, v11
	v_div_scale_f32 v17, s[42:43], v21, v21, v10
	v_rcp_f32_e32 v20, v17
	v_fma_f32 v22, -v17, v20, 1.0
	v_fmac_f32_e32 v20, v22, v20
	v_div_scale_f32 v22, vcc, v10, v21, v10
	v_mul_f32_e32 v23, v22, v20
	v_fma_f32 v26, -v17, v23, v22
	v_fmac_f32_e32 v23, v26, v20
	v_fma_f32 v17, -v17, v23, v22
	v_div_fmas_f32 v17, v17, v20, v23
	v_div_fixup_f32 v10, v17, v21, v10
	global_store_dwordx2 v[24:25], v[10:11], off
	v_mov_b32_e32 v10, 0
.LBB30_455:                             ;   in Loop: Header=BB30_16 Depth=1
	s_or_b64 exec, exec, s[30:31]
	s_movk_i32 s30, 0x47
	v_cmp_gt_i32_e32 vcc, s30, v10
	s_mov_b64 s[30:31], -1
	s_and_saveexec_b64 s[42:43], vcc
; %bb.456:                              ;   in Loop: Header=BB30_16 Depth=1
	v_cmp_eq_u32_e32 vcc, 0, v10
	s_orn2_b64 s[30:31], vcc, exec
; %bb.457:                              ;   in Loop: Header=BB30_16 Depth=1
	s_or_b64 exec, exec, s[42:43]
	s_and_b64 exec, exec, s[30:31]
	s_cbranch_execz .LBB30_530
; %bb.458:                              ;   in Loop: Header=BB30_16 Depth=1
	buffer_load_dword v10, off, s[0:3], 0 offset:96 ; 4-byte Folded Reload
	s_waitcnt vmcnt(0)
	v_add_u32_e32 v11, s80, v10
	v_cmp_gt_i32_e32 vcc, s84, v11
	v_mov_b32_e32 v10, 0x47
	s_and_saveexec_b64 s[30:31], vcc
	s_cbranch_execz .LBB30_460
; %bb.459:                              ;   in Loop: Header=BB30_16 Depth=1
	buffer_load_dword v10, off, s[0:3], 0 offset:144 ; 4-byte Folded Reload
	buffer_load_dword v17, off, s[0:3], 0 offset:148 ; 4-byte Folded Reload
	v_readlane_b32 s42, v255, 3
	v_mad_u64_u32 v[24:25], s[42:43], v11, s42, v[80:81]
	v_ashrrev_i32_e32 v25, 31, v24
	v_lshlrev_b64 v[24:25], 3, v[24:25]
	v_add_co_u32_e32 v24, vcc, s66, v24
	v_mov_b32_e32 v11, s67
	v_addc_co_u32_e32 v25, vcc, v11, v25, vcc
	s_waitcnt vmcnt(1)
	v_add_u32_e32 v10, 0, v10
	ds_read2_b32 v[20:21], v10 offset0:64 offset1:65
	s_waitcnt vmcnt(0)
	ds_read2st64_b32 v[22:23], v17 offset1:17
	ds_read_b32 v10, v10 offset:4608
	s_waitcnt lgkmcnt(1)
	v_cvt_f32_f16_sdwa v27, v22 dst_sel:DWORD dst_unused:UNUSED_PAD src0_sel:WORD_1
	v_cvt_f32_f16_e32 v26, v22
	v_cvt_f32_f16_sdwa v29, v23 dst_sel:DWORD dst_unused:UNUSED_PAD src0_sel:WORD_1
	v_cvt_f32_f16_e32 v28, v23
	v_pk_fma_f32 v[26:27], v[20:21], v[26:27], 0 op_sel_hi:[0,1,0]
	s_waitcnt lgkmcnt(0)
	v_pk_fma_f32 v[10:11], v[10:11], v[28:29], v[26:27] op_sel_hi:[0,1,1]
	v_div_scale_f32 v17, s[42:43], v21, v21, v11
	v_rcp_f32_e32 v20, v17
	v_fma_f32 v22, -v17, v20, 1.0
	v_fmac_f32_e32 v20, v22, v20
	v_div_scale_f32 v22, vcc, v11, v21, v11
	v_mul_f32_e32 v23, v22, v20
	v_fma_f32 v26, -v17, v23, v22
	v_fmac_f32_e32 v23, v26, v20
	v_fma_f32 v17, -v17, v23, v22
	v_div_fmas_f32 v17, v17, v20, v23
	v_div_fixup_f32 v11, v17, v21, v11
	v_div_scale_f32 v17, s[42:43], v21, v21, v10
	v_rcp_f32_e32 v20, v17
	v_fma_f32 v22, -v17, v20, 1.0
	v_fmac_f32_e32 v20, v22, v20
	v_div_scale_f32 v22, vcc, v10, v21, v10
	v_mul_f32_e32 v23, v22, v20
	v_fma_f32 v26, -v17, v23, v22
	v_fmac_f32_e32 v23, v26, v20
	v_fma_f32 v17, -v17, v23, v22
	v_div_fmas_f32 v17, v17, v20, v23
	v_div_fixup_f32 v10, v17, v21, v10
	global_store_dwordx2 v[24:25], v[10:11], off
	v_mov_b32_e32 v10, 0
.LBB30_460:                             ;   in Loop: Header=BB30_16 Depth=1
	s_or_b64 exec, exec, s[30:31]
	s_movk_i32 s30, 0x47
	v_cmp_gt_i32_e32 vcc, s30, v10
	s_mov_b64 s[30:31], -1
	s_and_saveexec_b64 s[42:43], vcc
; %bb.461:                              ;   in Loop: Header=BB30_16 Depth=1
	v_cmp_eq_u32_e32 vcc, 0, v10
	s_orn2_b64 s[30:31], vcc, exec
; %bb.462:                              ;   in Loop: Header=BB30_16 Depth=1
	s_or_b64 exec, exec, s[42:43]
	s_and_b64 exec, exec, s[30:31]
	s_cbranch_execz .LBB30_530
; %bb.463:                              ;   in Loop: Header=BB30_16 Depth=1
	buffer_load_dword v10, off, s[0:3], 0 offset:152 ; 4-byte Folded Reload
	s_waitcnt vmcnt(0)
	v_add_u32_e32 v11, s80, v10
	v_cmp_gt_i32_e32 vcc, s84, v11
	v_mov_b32_e32 v10, 0x47
	s_and_saveexec_b64 s[30:31], vcc
	s_cbranch_execz .LBB30_465
; %bb.464:                              ;   in Loop: Header=BB30_16 Depth=1
	buffer_load_dword v10, off, s[0:3], 0 offset:232 ; 4-byte Folded Reload
	buffer_load_dword v17, off, s[0:3], 0 offset:236 ; 4-byte Folded Reload
	v_readlane_b32 s42, v255, 3
	v_mad_u64_u32 v[24:25], s[42:43], v11, s42, v[80:81]
	v_ashrrev_i32_e32 v25, 31, v24
	v_lshlrev_b64 v[24:25], 3, v[24:25]
	v_add_co_u32_e32 v24, vcc, s66, v24
	v_mov_b32_e32 v11, s67
	v_addc_co_u32_e32 v25, vcc, v11, v25, vcc
	s_waitcnt vmcnt(1)
	v_add_u32_e32 v10, 0, v10
	ds_read2_b32 v[20:21], v10 offset0:64 offset1:65
	s_waitcnt vmcnt(0)
	ds_read2st64_b32 v[22:23], v17 offset1:17
	ds_read_b32 v10, v10 offset:4608
	s_waitcnt lgkmcnt(1)
	v_cvt_f32_f16_sdwa v27, v22 dst_sel:DWORD dst_unused:UNUSED_PAD src0_sel:WORD_1
	v_cvt_f32_f16_e32 v26, v22
	v_cvt_f32_f16_sdwa v29, v23 dst_sel:DWORD dst_unused:UNUSED_PAD src0_sel:WORD_1
	v_cvt_f32_f16_e32 v28, v23
	v_pk_fma_f32 v[26:27], v[20:21], v[26:27], 0 op_sel_hi:[0,1,0]
	s_waitcnt lgkmcnt(0)
	v_pk_fma_f32 v[10:11], v[10:11], v[28:29], v[26:27] op_sel_hi:[0,1,1]
	v_div_scale_f32 v17, s[42:43], v21, v21, v11
	v_rcp_f32_e32 v20, v17
	v_fma_f32 v22, -v17, v20, 1.0
	v_fmac_f32_e32 v20, v22, v20
	v_div_scale_f32 v22, vcc, v11, v21, v11
	v_mul_f32_e32 v23, v22, v20
	v_fma_f32 v26, -v17, v23, v22
	v_fmac_f32_e32 v23, v26, v20
	v_fma_f32 v17, -v17, v23, v22
	v_div_fmas_f32 v17, v17, v20, v23
	v_div_fixup_f32 v11, v17, v21, v11
	v_div_scale_f32 v17, s[42:43], v21, v21, v10
	v_rcp_f32_e32 v20, v17
	v_fma_f32 v22, -v17, v20, 1.0
	v_fmac_f32_e32 v20, v22, v20
	v_div_scale_f32 v22, vcc, v10, v21, v10
	v_mul_f32_e32 v23, v22, v20
	v_fma_f32 v26, -v17, v23, v22
	v_fmac_f32_e32 v23, v26, v20
	v_fma_f32 v17, -v17, v23, v22
	v_div_fmas_f32 v17, v17, v20, v23
	v_div_fixup_f32 v10, v17, v21, v10
	global_store_dwordx2 v[24:25], v[10:11], off
	v_mov_b32_e32 v10, 0
.LBB30_465:                             ;   in Loop: Header=BB30_16 Depth=1
	s_or_b64 exec, exec, s[30:31]
	s_movk_i32 s30, 0x47
	v_cmp_gt_i32_e32 vcc, s30, v10
	s_mov_b64 s[30:31], -1
	s_and_saveexec_b64 s[42:43], vcc
; %bb.466:                              ;   in Loop: Header=BB30_16 Depth=1
	v_cmp_eq_u32_e32 vcc, 0, v10
	s_orn2_b64 s[30:31], vcc, exec
; %bb.467:                              ;   in Loop: Header=BB30_16 Depth=1
	s_or_b64 exec, exec, s[42:43]
	s_and_b64 exec, exec, s[30:31]
	s_cbranch_execz .LBB30_530
; %bb.468:                              ;   in Loop: Header=BB30_16 Depth=1
	buffer_load_dword v10, off, s[0:3], 0 offset:240 ; 4-byte Folded Reload
	s_waitcnt vmcnt(0)
	v_add_u32_e32 v11, s80, v10
	v_cmp_gt_i32_e32 vcc, s84, v11
	v_mov_b32_e32 v10, 0x47
	s_and_saveexec_b64 s[30:31], vcc
	s_cbranch_execz .LBB30_470
; %bb.469:                              ;   in Loop: Header=BB30_16 Depth=1
	buffer_load_dword v10, off, s[0:3], 0 offset:244 ; 4-byte Folded Reload
	buffer_load_dword v17, off, s[0:3], 0 offset:248 ; 4-byte Folded Reload
	v_readlane_b32 s42, v255, 3
	v_mad_u64_u32 v[24:25], s[42:43], v11, s42, v[80:81]
	v_ashrrev_i32_e32 v25, 31, v24
	v_lshlrev_b64 v[24:25], 3, v[24:25]
	v_add_co_u32_e32 v24, vcc, s66, v24
	v_mov_b32_e32 v11, s67
	v_addc_co_u32_e32 v25, vcc, v11, v25, vcc
	s_waitcnt vmcnt(1)
	v_add_u32_e32 v10, 0, v10
	ds_read2_b32 v[20:21], v10 offset0:64 offset1:65
	s_waitcnt vmcnt(0)
	ds_read2st64_b32 v[22:23], v17 offset1:17
	ds_read_b32 v10, v10 offset:4608
	s_waitcnt lgkmcnt(1)
	v_cvt_f32_f16_sdwa v27, v22 dst_sel:DWORD dst_unused:UNUSED_PAD src0_sel:WORD_1
	v_cvt_f32_f16_e32 v26, v22
	v_cvt_f32_f16_sdwa v29, v23 dst_sel:DWORD dst_unused:UNUSED_PAD src0_sel:WORD_1
	v_cvt_f32_f16_e32 v28, v23
	v_pk_fma_f32 v[26:27], v[20:21], v[26:27], 0 op_sel_hi:[0,1,0]
	s_waitcnt lgkmcnt(0)
	v_pk_fma_f32 v[10:11], v[10:11], v[28:29], v[26:27] op_sel_hi:[0,1,1]
	v_div_scale_f32 v17, s[42:43], v21, v21, v11
	v_rcp_f32_e32 v20, v17
	v_fma_f32 v22, -v17, v20, 1.0
	v_fmac_f32_e32 v20, v22, v20
	v_div_scale_f32 v22, vcc, v11, v21, v11
	v_mul_f32_e32 v23, v22, v20
	v_fma_f32 v26, -v17, v23, v22
	v_fmac_f32_e32 v23, v26, v20
	v_fma_f32 v17, -v17, v23, v22
	v_div_fmas_f32 v17, v17, v20, v23
	v_div_fixup_f32 v11, v17, v21, v11
	v_div_scale_f32 v17, s[42:43], v21, v21, v10
	v_rcp_f32_e32 v20, v17
	v_fma_f32 v22, -v17, v20, 1.0
	v_fmac_f32_e32 v20, v22, v20
	v_div_scale_f32 v22, vcc, v10, v21, v10
	v_mul_f32_e32 v23, v22, v20
	v_fma_f32 v26, -v17, v23, v22
	v_fmac_f32_e32 v23, v26, v20
	v_fma_f32 v17, -v17, v23, v22
	v_div_fmas_f32 v17, v17, v20, v23
	v_div_fixup_f32 v10, v17, v21, v10
	global_store_dwordx2 v[24:25], v[10:11], off
	v_mov_b32_e32 v10, 0
.LBB30_470:                             ;   in Loop: Header=BB30_16 Depth=1
	s_or_b64 exec, exec, s[30:31]
	s_movk_i32 s30, 0x47
	v_cmp_gt_i32_e32 vcc, s30, v10
	s_mov_b64 s[30:31], -1
	s_and_saveexec_b64 s[42:43], vcc
; %bb.471:                              ;   in Loop: Header=BB30_16 Depth=1
	v_cmp_eq_u32_e32 vcc, 0, v10
	s_orn2_b64 s[30:31], vcc, exec
; %bb.472:                              ;   in Loop: Header=BB30_16 Depth=1
	s_or_b64 exec, exec, s[42:43]
	s_and_b64 exec, exec, s[30:31]
	s_cbranch_execz .LBB30_530
; %bb.473:                              ;   in Loop: Header=BB30_16 Depth=1
	buffer_load_dword v10, off, s[0:3], 0 offset:252 ; 4-byte Folded Reload
	s_waitcnt vmcnt(0)
	v_add_u32_e32 v11, s80, v10
	v_cmp_gt_i32_e32 vcc, s84, v11
	v_mov_b32_e32 v10, 0x47
	s_and_saveexec_b64 s[30:31], vcc
	s_cbranch_execz .LBB30_475
; %bb.474:                              ;   in Loop: Header=BB30_16 Depth=1
	buffer_load_dword v10, off, s[0:3], 0 offset:260 ; 4-byte Folded Reload
	buffer_load_dword v17, off, s[0:3], 0 offset:264 ; 4-byte Folded Reload
	v_readlane_b32 s42, v255, 3
	v_mad_u64_u32 v[24:25], s[42:43], v11, s42, v[80:81]
	v_ashrrev_i32_e32 v25, 31, v24
	v_lshlrev_b64 v[24:25], 3, v[24:25]
	v_add_co_u32_e32 v24, vcc, s66, v24
	v_mov_b32_e32 v11, s67
	v_addc_co_u32_e32 v25, vcc, v11, v25, vcc
	s_waitcnt vmcnt(1)
	v_add_u32_e32 v10, 0, v10
	ds_read2_b32 v[20:21], v10 offset0:64 offset1:65
	s_waitcnt vmcnt(0)
	ds_read2st64_b32 v[22:23], v17 offset1:17
	ds_read_b32 v10, v10 offset:4608
	s_waitcnt lgkmcnt(1)
	v_cvt_f32_f16_sdwa v27, v22 dst_sel:DWORD dst_unused:UNUSED_PAD src0_sel:WORD_1
	v_cvt_f32_f16_e32 v26, v22
	v_cvt_f32_f16_sdwa v29, v23 dst_sel:DWORD dst_unused:UNUSED_PAD src0_sel:WORD_1
	v_cvt_f32_f16_e32 v28, v23
	v_pk_fma_f32 v[26:27], v[20:21], v[26:27], 0 op_sel_hi:[0,1,0]
	s_waitcnt lgkmcnt(0)
	v_pk_fma_f32 v[10:11], v[10:11], v[28:29], v[26:27] op_sel_hi:[0,1,1]
	v_div_scale_f32 v17, s[42:43], v21, v21, v11
	v_rcp_f32_e32 v20, v17
	v_fma_f32 v22, -v17, v20, 1.0
	v_fmac_f32_e32 v20, v22, v20
	v_div_scale_f32 v22, vcc, v11, v21, v11
	v_mul_f32_e32 v23, v22, v20
	v_fma_f32 v26, -v17, v23, v22
	v_fmac_f32_e32 v23, v26, v20
	v_fma_f32 v17, -v17, v23, v22
	v_div_fmas_f32 v17, v17, v20, v23
	v_div_fixup_f32 v11, v17, v21, v11
	v_div_scale_f32 v17, s[42:43], v21, v21, v10
	v_rcp_f32_e32 v20, v17
	v_fma_f32 v22, -v17, v20, 1.0
	v_fmac_f32_e32 v20, v22, v20
	v_div_scale_f32 v22, vcc, v10, v21, v10
	v_mul_f32_e32 v23, v22, v20
	v_fma_f32 v26, -v17, v23, v22
	v_fmac_f32_e32 v23, v26, v20
	v_fma_f32 v17, -v17, v23, v22
	v_div_fmas_f32 v17, v17, v20, v23
	v_div_fixup_f32 v10, v17, v21, v10
	global_store_dwordx2 v[24:25], v[10:11], off
	v_mov_b32_e32 v10, 0
.LBB30_475:                             ;   in Loop: Header=BB30_16 Depth=1
	s_or_b64 exec, exec, s[30:31]
	s_movk_i32 s30, 0x47
	v_cmp_gt_i32_e32 vcc, s30, v10
	s_mov_b64 s[30:31], -1
	s_and_saveexec_b64 s[42:43], vcc
; %bb.476:                              ;   in Loop: Header=BB30_16 Depth=1
	v_cmp_eq_u32_e32 vcc, 0, v10
	s_orn2_b64 s[30:31], vcc, exec
; %bb.477:                              ;   in Loop: Header=BB30_16 Depth=1
	s_or_b64 exec, exec, s[42:43]
	s_and_b64 exec, exec, s[30:31]
	s_cbranch_execz .LBB30_530
; %bb.478:                              ;   in Loop: Header=BB30_16 Depth=1
	buffer_load_dword v10, off, s[0:3], 0 offset:268 ; 4-byte Folded Reload
	s_waitcnt vmcnt(0)
	v_add_u32_e32 v11, s80, v10
	v_cmp_gt_i32_e32 vcc, s84, v11
	v_mov_b32_e32 v10, 0x47
	s_and_saveexec_b64 s[30:31], vcc
	s_cbranch_execz .LBB30_480
; %bb.479:                              ;   in Loop: Header=BB30_16 Depth=1
	buffer_load_dword v10, off, s[0:3], 0 offset:284 ; 4-byte Folded Reload
	buffer_load_dword v17, off, s[0:3], 0 offset:288 ; 4-byte Folded Reload
	v_readlane_b32 s42, v255, 3
	v_mad_u64_u32 v[24:25], s[42:43], v11, s42, v[80:81]
	v_ashrrev_i32_e32 v25, 31, v24
	v_lshlrev_b64 v[24:25], 3, v[24:25]
	v_add_co_u32_e32 v24, vcc, s66, v24
	v_mov_b32_e32 v11, s67
	v_addc_co_u32_e32 v25, vcc, v11, v25, vcc
	s_waitcnt vmcnt(1)
	v_add_u32_e32 v10, 0, v10
	ds_read2_b32 v[20:21], v10 offset0:64 offset1:65
	s_waitcnt vmcnt(0)
	ds_read2st64_b32 v[22:23], v17 offset1:17
	ds_read_b32 v10, v10 offset:4608
	s_waitcnt lgkmcnt(1)
	v_cvt_f32_f16_sdwa v27, v22 dst_sel:DWORD dst_unused:UNUSED_PAD src0_sel:WORD_1
	v_cvt_f32_f16_e32 v26, v22
	v_cvt_f32_f16_sdwa v29, v23 dst_sel:DWORD dst_unused:UNUSED_PAD src0_sel:WORD_1
	v_cvt_f32_f16_e32 v28, v23
	v_pk_fma_f32 v[26:27], v[20:21], v[26:27], 0 op_sel_hi:[0,1,0]
	s_waitcnt lgkmcnt(0)
	v_pk_fma_f32 v[10:11], v[10:11], v[28:29], v[26:27] op_sel_hi:[0,1,1]
	v_div_scale_f32 v17, s[42:43], v21, v21, v11
	v_rcp_f32_e32 v20, v17
	v_fma_f32 v22, -v17, v20, 1.0
	v_fmac_f32_e32 v20, v22, v20
	v_div_scale_f32 v22, vcc, v11, v21, v11
	v_mul_f32_e32 v23, v22, v20
	v_fma_f32 v26, -v17, v23, v22
	v_fmac_f32_e32 v23, v26, v20
	v_fma_f32 v17, -v17, v23, v22
	v_div_fmas_f32 v17, v17, v20, v23
	v_div_fixup_f32 v11, v17, v21, v11
	v_div_scale_f32 v17, s[42:43], v21, v21, v10
	v_rcp_f32_e32 v20, v17
	v_fma_f32 v22, -v17, v20, 1.0
	v_fmac_f32_e32 v20, v22, v20
	v_div_scale_f32 v22, vcc, v10, v21, v10
	v_mul_f32_e32 v23, v22, v20
	v_fma_f32 v26, -v17, v23, v22
	v_fmac_f32_e32 v23, v26, v20
	v_fma_f32 v17, -v17, v23, v22
	v_div_fmas_f32 v17, v17, v20, v23
	v_div_fixup_f32 v10, v17, v21, v10
	global_store_dwordx2 v[24:25], v[10:11], off
	v_mov_b32_e32 v10, 0
.LBB30_480:                             ;   in Loop: Header=BB30_16 Depth=1
	s_or_b64 exec, exec, s[30:31]
	s_movk_i32 s30, 0x47
	v_cmp_gt_i32_e32 vcc, s30, v10
	s_mov_b64 s[30:31], -1
	s_and_saveexec_b64 s[42:43], vcc
; %bb.481:                              ;   in Loop: Header=BB30_16 Depth=1
	v_cmp_eq_u32_e32 vcc, 0, v10
	s_orn2_b64 s[30:31], vcc, exec
; %bb.482:                              ;   in Loop: Header=BB30_16 Depth=1
	s_or_b64 exec, exec, s[42:43]
	s_and_b64 exec, exec, s[30:31]
	s_cbranch_execz .LBB30_530
; %bb.483:                              ;   in Loop: Header=BB30_16 Depth=1
	buffer_load_dword v10, off, s[0:3], 0 offset:292 ; 4-byte Folded Reload
	s_waitcnt vmcnt(0)
	v_add_u32_e32 v11, s80, v10
	v_cmp_gt_i32_e32 vcc, s84, v11
	v_mov_b32_e32 v10, 0x47
	s_and_saveexec_b64 s[30:31], vcc
	s_cbranch_execz .LBB30_485
; %bb.484:                              ;   in Loop: Header=BB30_16 Depth=1
	buffer_load_dword v10, off, s[0:3], 0 offset:296 ; 4-byte Folded Reload
	buffer_load_dword v17, off, s[0:3], 0 offset:300 ; 4-byte Folded Reload
	v_readlane_b32 s42, v255, 3
	v_mad_u64_u32 v[24:25], s[42:43], v11, s42, v[80:81]
	v_ashrrev_i32_e32 v25, 31, v24
	v_lshlrev_b64 v[24:25], 3, v[24:25]
	v_add_co_u32_e32 v24, vcc, s66, v24
	v_mov_b32_e32 v11, s67
	v_addc_co_u32_e32 v25, vcc, v11, v25, vcc
	s_waitcnt vmcnt(1)
	v_add_u32_e32 v10, 0, v10
	ds_read2_b32 v[20:21], v10 offset0:64 offset1:65
	s_waitcnt vmcnt(0)
	ds_read2st64_b32 v[22:23], v17 offset1:17
	ds_read_b32 v10, v10 offset:4608
	s_waitcnt lgkmcnt(1)
	v_cvt_f32_f16_sdwa v27, v22 dst_sel:DWORD dst_unused:UNUSED_PAD src0_sel:WORD_1
	v_cvt_f32_f16_e32 v26, v22
	v_cvt_f32_f16_sdwa v29, v23 dst_sel:DWORD dst_unused:UNUSED_PAD src0_sel:WORD_1
	v_cvt_f32_f16_e32 v28, v23
	v_pk_fma_f32 v[26:27], v[20:21], v[26:27], 0 op_sel_hi:[0,1,0]
	s_waitcnt lgkmcnt(0)
	v_pk_fma_f32 v[10:11], v[10:11], v[28:29], v[26:27] op_sel_hi:[0,1,1]
	v_div_scale_f32 v17, s[42:43], v21, v21, v11
	v_rcp_f32_e32 v20, v17
	v_fma_f32 v22, -v17, v20, 1.0
	v_fmac_f32_e32 v20, v22, v20
	v_div_scale_f32 v22, vcc, v11, v21, v11
	v_mul_f32_e32 v23, v22, v20
	v_fma_f32 v26, -v17, v23, v22
	v_fmac_f32_e32 v23, v26, v20
	v_fma_f32 v17, -v17, v23, v22
	v_div_fmas_f32 v17, v17, v20, v23
	v_div_fixup_f32 v11, v17, v21, v11
	v_div_scale_f32 v17, s[42:43], v21, v21, v10
	v_rcp_f32_e32 v20, v17
	v_fma_f32 v22, -v17, v20, 1.0
	v_fmac_f32_e32 v20, v22, v20
	v_div_scale_f32 v22, vcc, v10, v21, v10
	v_mul_f32_e32 v23, v22, v20
	v_fma_f32 v26, -v17, v23, v22
	v_fmac_f32_e32 v23, v26, v20
	v_fma_f32 v17, -v17, v23, v22
	v_div_fmas_f32 v17, v17, v20, v23
	v_div_fixup_f32 v10, v17, v21, v10
	global_store_dwordx2 v[24:25], v[10:11], off
	v_mov_b32_e32 v10, 0
.LBB30_485:                             ;   in Loop: Header=BB30_16 Depth=1
	s_or_b64 exec, exec, s[30:31]
	s_movk_i32 s30, 0x47
	v_cmp_gt_i32_e32 vcc, s30, v10
	s_mov_b64 s[30:31], -1
	s_and_saveexec_b64 s[42:43], vcc
; %bb.486:                              ;   in Loop: Header=BB30_16 Depth=1
	v_cmp_eq_u32_e32 vcc, 0, v10
	s_orn2_b64 s[30:31], vcc, exec
; %bb.487:                              ;   in Loop: Header=BB30_16 Depth=1
	s_or_b64 exec, exec, s[42:43]
	s_and_b64 exec, exec, s[30:31]
	s_cbranch_execz .LBB30_530
; %bb.488:                              ;   in Loop: Header=BB30_16 Depth=1
	buffer_load_dword v10, off, s[0:3], 0 offset:304 ; 4-byte Folded Reload
	s_waitcnt vmcnt(0)
	v_add_u32_e32 v11, s80, v10
	v_cmp_gt_i32_e32 vcc, s84, v11
	v_mov_b32_e32 v10, 0x47
	s_and_saveexec_b64 s[30:31], vcc
	s_cbranch_execz .LBB30_490
; %bb.489:                              ;   in Loop: Header=BB30_16 Depth=1
	buffer_load_dword v10, off, s[0:3], 0 offset:308 ; 4-byte Folded Reload
	buffer_load_dword v17, off, s[0:3], 0 offset:312 ; 4-byte Folded Reload
	v_readlane_b32 s42, v255, 3
	v_mad_u64_u32 v[24:25], s[42:43], v11, s42, v[80:81]
	v_ashrrev_i32_e32 v25, 31, v24
	v_lshlrev_b64 v[24:25], 3, v[24:25]
	v_add_co_u32_e32 v24, vcc, s66, v24
	v_mov_b32_e32 v11, s67
	v_addc_co_u32_e32 v25, vcc, v11, v25, vcc
	s_waitcnt vmcnt(1)
	v_add_u32_e32 v10, 0, v10
	ds_read2_b32 v[20:21], v10 offset0:64 offset1:65
	s_waitcnt vmcnt(0)
	ds_read2st64_b32 v[22:23], v17 offset1:17
	ds_read_b32 v10, v10 offset:4608
	s_waitcnt lgkmcnt(1)
	v_cvt_f32_f16_sdwa v27, v22 dst_sel:DWORD dst_unused:UNUSED_PAD src0_sel:WORD_1
	v_cvt_f32_f16_e32 v26, v22
	v_cvt_f32_f16_sdwa v29, v23 dst_sel:DWORD dst_unused:UNUSED_PAD src0_sel:WORD_1
	v_cvt_f32_f16_e32 v28, v23
	v_pk_fma_f32 v[26:27], v[20:21], v[26:27], 0 op_sel_hi:[0,1,0]
	s_waitcnt lgkmcnt(0)
	v_pk_fma_f32 v[10:11], v[10:11], v[28:29], v[26:27] op_sel_hi:[0,1,1]
	v_div_scale_f32 v17, s[42:43], v21, v21, v11
	v_rcp_f32_e32 v20, v17
	v_fma_f32 v22, -v17, v20, 1.0
	v_fmac_f32_e32 v20, v22, v20
	v_div_scale_f32 v22, vcc, v11, v21, v11
	v_mul_f32_e32 v23, v22, v20
	v_fma_f32 v26, -v17, v23, v22
	v_fmac_f32_e32 v23, v26, v20
	v_fma_f32 v17, -v17, v23, v22
	v_div_fmas_f32 v17, v17, v20, v23
	v_div_fixup_f32 v11, v17, v21, v11
	v_div_scale_f32 v17, s[42:43], v21, v21, v10
	v_rcp_f32_e32 v20, v17
	v_fma_f32 v22, -v17, v20, 1.0
	v_fmac_f32_e32 v20, v22, v20
	v_div_scale_f32 v22, vcc, v10, v21, v10
	v_mul_f32_e32 v23, v22, v20
	v_fma_f32 v26, -v17, v23, v22
	v_fmac_f32_e32 v23, v26, v20
	v_fma_f32 v17, -v17, v23, v22
	v_div_fmas_f32 v17, v17, v20, v23
	v_div_fixup_f32 v10, v17, v21, v10
	global_store_dwordx2 v[24:25], v[10:11], off
	v_mov_b32_e32 v10, 0
.LBB30_490:                             ;   in Loop: Header=BB30_16 Depth=1
	s_or_b64 exec, exec, s[30:31]
	s_movk_i32 s30, 0x47
	v_cmp_gt_i32_e32 vcc, s30, v10
	s_mov_b64 s[30:31], -1
	s_and_saveexec_b64 s[42:43], vcc
; %bb.491:                              ;   in Loop: Header=BB30_16 Depth=1
	v_cmp_eq_u32_e32 vcc, 0, v10
	s_orn2_b64 s[30:31], vcc, exec
; %bb.492:                              ;   in Loop: Header=BB30_16 Depth=1
	s_or_b64 exec, exec, s[42:43]
	s_and_b64 exec, exec, s[30:31]
	s_cbranch_execz .LBB30_530
; %bb.493:                              ;   in Loop: Header=BB30_16 Depth=1
	buffer_load_dword v10, off, s[0:3], 0 offset:316 ; 4-byte Folded Reload
	s_waitcnt vmcnt(0)
	v_add_u32_e32 v11, s80, v10
	v_cmp_gt_i32_e32 vcc, s84, v11
	v_mov_b32_e32 v10, 0x47
	s_and_saveexec_b64 s[30:31], vcc
	s_cbranch_execz .LBB30_495
; %bb.494:                              ;   in Loop: Header=BB30_16 Depth=1
	buffer_load_dword v10, off, s[0:3], 0 offset:320 ; 4-byte Folded Reload
	buffer_load_dword v17, off, s[0:3], 0 offset:324 ; 4-byte Folded Reload
	v_readlane_b32 s42, v255, 3
	v_mad_u64_u32 v[24:25], s[42:43], v11, s42, v[80:81]
	v_ashrrev_i32_e32 v25, 31, v24
	v_lshlrev_b64 v[24:25], 3, v[24:25]
	v_add_co_u32_e32 v24, vcc, s66, v24
	v_mov_b32_e32 v11, s67
	v_addc_co_u32_e32 v25, vcc, v11, v25, vcc
	s_waitcnt vmcnt(1)
	v_add_u32_e32 v10, 0, v10
	ds_read2_b32 v[20:21], v10 offset0:64 offset1:65
	s_waitcnt vmcnt(0)
	ds_read2st64_b32 v[22:23], v17 offset1:17
	ds_read_b32 v10, v10 offset:4608
	s_waitcnt lgkmcnt(1)
	v_cvt_f32_f16_sdwa v27, v22 dst_sel:DWORD dst_unused:UNUSED_PAD src0_sel:WORD_1
	v_cvt_f32_f16_e32 v26, v22
	v_cvt_f32_f16_sdwa v29, v23 dst_sel:DWORD dst_unused:UNUSED_PAD src0_sel:WORD_1
	v_cvt_f32_f16_e32 v28, v23
	v_pk_fma_f32 v[26:27], v[20:21], v[26:27], 0 op_sel_hi:[0,1,0]
	s_waitcnt lgkmcnt(0)
	v_pk_fma_f32 v[10:11], v[10:11], v[28:29], v[26:27] op_sel_hi:[0,1,1]
	v_div_scale_f32 v17, s[42:43], v21, v21, v11
	v_rcp_f32_e32 v20, v17
	v_fma_f32 v22, -v17, v20, 1.0
	v_fmac_f32_e32 v20, v22, v20
	v_div_scale_f32 v22, vcc, v11, v21, v11
	v_mul_f32_e32 v23, v22, v20
	v_fma_f32 v26, -v17, v23, v22
	v_fmac_f32_e32 v23, v26, v20
	v_fma_f32 v17, -v17, v23, v22
	v_div_fmas_f32 v17, v17, v20, v23
	v_div_fixup_f32 v11, v17, v21, v11
	v_div_scale_f32 v17, s[42:43], v21, v21, v10
	v_rcp_f32_e32 v20, v17
	v_fma_f32 v22, -v17, v20, 1.0
	v_fmac_f32_e32 v20, v22, v20
	v_div_scale_f32 v22, vcc, v10, v21, v10
	v_mul_f32_e32 v23, v22, v20
	v_fma_f32 v26, -v17, v23, v22
	v_fmac_f32_e32 v23, v26, v20
	v_fma_f32 v17, -v17, v23, v22
	v_div_fmas_f32 v17, v17, v20, v23
	v_div_fixup_f32 v10, v17, v21, v10
	global_store_dwordx2 v[24:25], v[10:11], off
	v_mov_b32_e32 v10, 0
.LBB30_495:                             ;   in Loop: Header=BB30_16 Depth=1
	s_or_b64 exec, exec, s[30:31]
	s_movk_i32 s30, 0x47
	v_cmp_gt_i32_e32 vcc, s30, v10
	s_mov_b64 s[30:31], -1
	s_and_saveexec_b64 s[42:43], vcc
; %bb.496:                              ;   in Loop: Header=BB30_16 Depth=1
	v_cmp_eq_u32_e32 vcc, 0, v10
	s_orn2_b64 s[30:31], vcc, exec
; %bb.497:                              ;   in Loop: Header=BB30_16 Depth=1
	s_or_b64 exec, exec, s[42:43]
	s_and_b64 exec, exec, s[30:31]
	s_cbranch_execz .LBB30_530
; %bb.498:                              ;   in Loop: Header=BB30_16 Depth=1
	buffer_load_dword v10, off, s[0:3], 0 offset:328 ; 4-byte Folded Reload
	s_waitcnt vmcnt(0)
	v_add_u32_e32 v11, s80, v10
	v_cmp_gt_i32_e32 vcc, s84, v11
	v_mov_b32_e32 v10, 0x47
	s_and_saveexec_b64 s[30:31], vcc
	s_cbranch_execz .LBB30_500
; %bb.499:                              ;   in Loop: Header=BB30_16 Depth=1
	buffer_load_dword v10, off, s[0:3], 0 offset:332 ; 4-byte Folded Reload
	buffer_load_dword v17, off, s[0:3], 0 offset:336 ; 4-byte Folded Reload
	v_readlane_b32 s42, v255, 3
	v_mad_u64_u32 v[24:25], s[42:43], v11, s42, v[80:81]
	v_ashrrev_i32_e32 v25, 31, v24
	v_lshlrev_b64 v[24:25], 3, v[24:25]
	v_add_co_u32_e32 v24, vcc, s66, v24
	v_mov_b32_e32 v11, s67
	v_addc_co_u32_e32 v25, vcc, v11, v25, vcc
	s_waitcnt vmcnt(1)
	v_add_u32_e32 v10, 0, v10
	ds_read2_b32 v[20:21], v10 offset0:64 offset1:65
	s_waitcnt vmcnt(0)
	ds_read2st64_b32 v[22:23], v17 offset1:17
	ds_read_b32 v10, v10 offset:4608
	s_waitcnt lgkmcnt(1)
	v_cvt_f32_f16_sdwa v27, v22 dst_sel:DWORD dst_unused:UNUSED_PAD src0_sel:WORD_1
	v_cvt_f32_f16_e32 v26, v22
	v_cvt_f32_f16_sdwa v29, v23 dst_sel:DWORD dst_unused:UNUSED_PAD src0_sel:WORD_1
	v_cvt_f32_f16_e32 v28, v23
	v_pk_fma_f32 v[26:27], v[20:21], v[26:27], 0 op_sel_hi:[0,1,0]
	s_waitcnt lgkmcnt(0)
	v_pk_fma_f32 v[10:11], v[10:11], v[28:29], v[26:27] op_sel_hi:[0,1,1]
	v_div_scale_f32 v17, s[42:43], v21, v21, v11
	v_rcp_f32_e32 v20, v17
	v_fma_f32 v22, -v17, v20, 1.0
	v_fmac_f32_e32 v20, v22, v20
	v_div_scale_f32 v22, vcc, v11, v21, v11
	v_mul_f32_e32 v23, v22, v20
	v_fma_f32 v26, -v17, v23, v22
	v_fmac_f32_e32 v23, v26, v20
	v_fma_f32 v17, -v17, v23, v22
	v_div_fmas_f32 v17, v17, v20, v23
	v_div_fixup_f32 v11, v17, v21, v11
	v_div_scale_f32 v17, s[42:43], v21, v21, v10
	v_rcp_f32_e32 v20, v17
	v_fma_f32 v22, -v17, v20, 1.0
	v_fmac_f32_e32 v20, v22, v20
	v_div_scale_f32 v22, vcc, v10, v21, v10
	v_mul_f32_e32 v23, v22, v20
	v_fma_f32 v26, -v17, v23, v22
	v_fmac_f32_e32 v23, v26, v20
	v_fma_f32 v17, -v17, v23, v22
	v_div_fmas_f32 v17, v17, v20, v23
	v_div_fixup_f32 v10, v17, v21, v10
	global_store_dwordx2 v[24:25], v[10:11], off
	v_mov_b32_e32 v10, 0
.LBB30_500:                             ;   in Loop: Header=BB30_16 Depth=1
	s_or_b64 exec, exec, s[30:31]
	s_movk_i32 s30, 0x47
	v_cmp_gt_i32_e32 vcc, s30, v10
	s_mov_b64 s[30:31], -1
	s_and_saveexec_b64 s[42:43], vcc
; %bb.501:                              ;   in Loop: Header=BB30_16 Depth=1
	v_cmp_eq_u32_e32 vcc, 0, v10
	s_orn2_b64 s[30:31], vcc, exec
; %bb.502:                              ;   in Loop: Header=BB30_16 Depth=1
	s_or_b64 exec, exec, s[42:43]
	s_and_b64 exec, exec, s[30:31]
	s_cbranch_execz .LBB30_530
; %bb.503:                              ;   in Loop: Header=BB30_16 Depth=1
	buffer_load_dword v10, off, s[0:3], 0 offset:340 ; 4-byte Folded Reload
	s_waitcnt vmcnt(0)
	v_add_u32_e32 v11, s80, v10
	v_cmp_gt_i32_e32 vcc, s84, v11
	v_mov_b32_e32 v10, 0x47
	s_and_saveexec_b64 s[30:31], vcc
	s_cbranch_execz .LBB30_505
; %bb.504:                              ;   in Loop: Header=BB30_16 Depth=1
	buffer_load_dword v10, off, s[0:3], 0 offset:344 ; 4-byte Folded Reload
	buffer_load_dword v17, off, s[0:3], 0 offset:348 ; 4-byte Folded Reload
	v_readlane_b32 s42, v255, 3
	v_mad_u64_u32 v[24:25], s[42:43], v11, s42, v[80:81]
	v_ashrrev_i32_e32 v25, 31, v24
	v_lshlrev_b64 v[24:25], 3, v[24:25]
	v_add_co_u32_e32 v24, vcc, s66, v24
	v_mov_b32_e32 v11, s67
	v_addc_co_u32_e32 v25, vcc, v11, v25, vcc
	s_waitcnt vmcnt(1)
	v_add_u32_e32 v10, 0, v10
	ds_read2_b32 v[20:21], v10 offset0:64 offset1:65
	s_waitcnt vmcnt(0)
	ds_read2st64_b32 v[22:23], v17 offset1:17
	ds_read_b32 v10, v10 offset:4608
	s_waitcnt lgkmcnt(1)
	v_cvt_f32_f16_sdwa v27, v22 dst_sel:DWORD dst_unused:UNUSED_PAD src0_sel:WORD_1
	v_cvt_f32_f16_e32 v26, v22
	v_cvt_f32_f16_sdwa v29, v23 dst_sel:DWORD dst_unused:UNUSED_PAD src0_sel:WORD_1
	v_cvt_f32_f16_e32 v28, v23
	v_pk_fma_f32 v[26:27], v[20:21], v[26:27], 0 op_sel_hi:[0,1,0]
	s_waitcnt lgkmcnt(0)
	v_pk_fma_f32 v[10:11], v[10:11], v[28:29], v[26:27] op_sel_hi:[0,1,1]
	v_div_scale_f32 v17, s[42:43], v21, v21, v11
	v_rcp_f32_e32 v20, v17
	v_fma_f32 v22, -v17, v20, 1.0
	v_fmac_f32_e32 v20, v22, v20
	v_div_scale_f32 v22, vcc, v11, v21, v11
	v_mul_f32_e32 v23, v22, v20
	v_fma_f32 v26, -v17, v23, v22
	v_fmac_f32_e32 v23, v26, v20
	v_fma_f32 v17, -v17, v23, v22
	v_div_fmas_f32 v17, v17, v20, v23
	v_div_fixup_f32 v11, v17, v21, v11
	v_div_scale_f32 v17, s[42:43], v21, v21, v10
	v_rcp_f32_e32 v20, v17
	v_fma_f32 v22, -v17, v20, 1.0
	v_fmac_f32_e32 v20, v22, v20
	v_div_scale_f32 v22, vcc, v10, v21, v10
	v_mul_f32_e32 v23, v22, v20
	v_fma_f32 v26, -v17, v23, v22
	v_fmac_f32_e32 v23, v26, v20
	v_fma_f32 v17, -v17, v23, v22
	v_div_fmas_f32 v17, v17, v20, v23
	v_div_fixup_f32 v10, v17, v21, v10
	global_store_dwordx2 v[24:25], v[10:11], off
	v_mov_b32_e32 v10, 0
.LBB30_505:                             ;   in Loop: Header=BB30_16 Depth=1
	s_or_b64 exec, exec, s[30:31]
	s_movk_i32 s30, 0x47
	v_cmp_gt_i32_e32 vcc, s30, v10
	s_mov_b64 s[30:31], -1
	s_and_saveexec_b64 s[42:43], vcc
; %bb.506:                              ;   in Loop: Header=BB30_16 Depth=1
	v_cmp_eq_u32_e32 vcc, 0, v10
	s_orn2_b64 s[30:31], vcc, exec
; %bb.507:                              ;   in Loop: Header=BB30_16 Depth=1
	s_or_b64 exec, exec, s[42:43]
	s_and_b64 exec, exec, s[30:31]
	s_cbranch_execz .LBB30_530
; %bb.508:                              ;   in Loop: Header=BB30_16 Depth=1
	buffer_load_dword v10, off, s[0:3], 0 offset:352 ; 4-byte Folded Reload
	s_waitcnt vmcnt(0)
	v_add_u32_e32 v11, s80, v10
	v_cmp_gt_i32_e32 vcc, s84, v11
	v_mov_b32_e32 v10, 0x47
	s_and_saveexec_b64 s[30:31], vcc
	s_cbranch_execz .LBB30_510
; %bb.509:                              ;   in Loop: Header=BB30_16 Depth=1
	buffer_load_dword v10, off, s[0:3], 0 offset:356 ; 4-byte Folded Reload
	buffer_load_dword v17, off, s[0:3], 0 offset:360 ; 4-byte Folded Reload
	v_readlane_b32 s42, v255, 3
	v_mad_u64_u32 v[24:25], s[42:43], v11, s42, v[80:81]
	v_ashrrev_i32_e32 v25, 31, v24
	v_lshlrev_b64 v[24:25], 3, v[24:25]
	v_add_co_u32_e32 v24, vcc, s66, v24
	v_mov_b32_e32 v11, s67
	v_addc_co_u32_e32 v25, vcc, v11, v25, vcc
	s_waitcnt vmcnt(1)
	v_add_u32_e32 v10, 0, v10
	ds_read2_b32 v[20:21], v10 offset0:64 offset1:65
	s_waitcnt vmcnt(0)
	ds_read2st64_b32 v[22:23], v17 offset1:17
	ds_read_b32 v10, v10 offset:4608
	s_waitcnt lgkmcnt(1)
	v_cvt_f32_f16_sdwa v27, v22 dst_sel:DWORD dst_unused:UNUSED_PAD src0_sel:WORD_1
	v_cvt_f32_f16_e32 v26, v22
	v_cvt_f32_f16_sdwa v29, v23 dst_sel:DWORD dst_unused:UNUSED_PAD src0_sel:WORD_1
	v_cvt_f32_f16_e32 v28, v23
	v_pk_fma_f32 v[26:27], v[20:21], v[26:27], 0 op_sel_hi:[0,1,0]
	s_waitcnt lgkmcnt(0)
	v_pk_fma_f32 v[10:11], v[10:11], v[28:29], v[26:27] op_sel_hi:[0,1,1]
	v_div_scale_f32 v17, s[42:43], v21, v21, v11
	v_rcp_f32_e32 v20, v17
	v_fma_f32 v22, -v17, v20, 1.0
	v_fmac_f32_e32 v20, v22, v20
	v_div_scale_f32 v22, vcc, v11, v21, v11
	v_mul_f32_e32 v23, v22, v20
	v_fma_f32 v26, -v17, v23, v22
	v_fmac_f32_e32 v23, v26, v20
	v_fma_f32 v17, -v17, v23, v22
	v_div_fmas_f32 v17, v17, v20, v23
	v_div_fixup_f32 v11, v17, v21, v11
	v_div_scale_f32 v17, s[42:43], v21, v21, v10
	v_rcp_f32_e32 v20, v17
	v_fma_f32 v22, -v17, v20, 1.0
	v_fmac_f32_e32 v20, v22, v20
	v_div_scale_f32 v22, vcc, v10, v21, v10
	v_mul_f32_e32 v23, v22, v20
	v_fma_f32 v26, -v17, v23, v22
	v_fmac_f32_e32 v23, v26, v20
	v_fma_f32 v17, -v17, v23, v22
	v_div_fmas_f32 v17, v17, v20, v23
	v_div_fixup_f32 v10, v17, v21, v10
	global_store_dwordx2 v[24:25], v[10:11], off
	v_mov_b32_e32 v10, 0
.LBB30_510:                             ;   in Loop: Header=BB30_16 Depth=1
	s_or_b64 exec, exec, s[30:31]
	s_movk_i32 s30, 0x47
	v_cmp_gt_i32_e32 vcc, s30, v10
	s_mov_b64 s[30:31], -1
	s_and_saveexec_b64 s[42:43], vcc
; %bb.511:                              ;   in Loop: Header=BB30_16 Depth=1
	v_cmp_eq_u32_e32 vcc, 0, v10
	s_orn2_b64 s[30:31], vcc, exec
; %bb.512:                              ;   in Loop: Header=BB30_16 Depth=1
	s_or_b64 exec, exec, s[42:43]
	s_and_b64 exec, exec, s[30:31]
	s_cbranch_execz .LBB30_530
; %bb.513:                              ;   in Loop: Header=BB30_16 Depth=1
	buffer_load_dword v10, off, s[0:3], 0 offset:364 ; 4-byte Folded Reload
	s_waitcnt vmcnt(0)
	v_add_u32_e32 v11, s80, v10
	v_cmp_gt_i32_e32 vcc, s84, v11
	v_mov_b32_e32 v10, 0x47
	s_and_saveexec_b64 s[30:31], vcc
	s_cbranch_execz .LBB30_515
; %bb.514:                              ;   in Loop: Header=BB30_16 Depth=1
	buffer_load_dword v10, off, s[0:3], 0 offset:368 ; 4-byte Folded Reload
	buffer_load_dword v17, off, s[0:3], 0 offset:372 ; 4-byte Folded Reload
	v_readlane_b32 s42, v255, 3
	v_mad_u64_u32 v[24:25], s[42:43], v11, s42, v[80:81]
	v_ashrrev_i32_e32 v25, 31, v24
	v_lshlrev_b64 v[24:25], 3, v[24:25]
	v_add_co_u32_e32 v24, vcc, s66, v24
	v_mov_b32_e32 v11, s67
	v_addc_co_u32_e32 v25, vcc, v11, v25, vcc
	s_waitcnt vmcnt(1)
	v_add_u32_e32 v10, 0, v10
	ds_read2_b32 v[20:21], v10 offset0:64 offset1:65
	s_waitcnt vmcnt(0)
	ds_read2st64_b32 v[22:23], v17 offset1:17
	ds_read_b32 v10, v10 offset:4608
	s_waitcnt lgkmcnt(1)
	v_cvt_f32_f16_sdwa v27, v22 dst_sel:DWORD dst_unused:UNUSED_PAD src0_sel:WORD_1
	v_cvt_f32_f16_e32 v26, v22
	v_cvt_f32_f16_sdwa v29, v23 dst_sel:DWORD dst_unused:UNUSED_PAD src0_sel:WORD_1
	v_cvt_f32_f16_e32 v28, v23
	v_pk_fma_f32 v[26:27], v[20:21], v[26:27], 0 op_sel_hi:[0,1,0]
	s_waitcnt lgkmcnt(0)
	v_pk_fma_f32 v[10:11], v[10:11], v[28:29], v[26:27] op_sel_hi:[0,1,1]
	v_div_scale_f32 v17, s[42:43], v21, v21, v11
	v_rcp_f32_e32 v20, v17
	v_fma_f32 v22, -v17, v20, 1.0
	v_fmac_f32_e32 v20, v22, v20
	v_div_scale_f32 v22, vcc, v11, v21, v11
	v_mul_f32_e32 v23, v22, v20
	v_fma_f32 v26, -v17, v23, v22
	v_fmac_f32_e32 v23, v26, v20
	v_fma_f32 v17, -v17, v23, v22
	v_div_fmas_f32 v17, v17, v20, v23
	v_div_fixup_f32 v11, v17, v21, v11
	v_div_scale_f32 v17, s[42:43], v21, v21, v10
	v_rcp_f32_e32 v20, v17
	v_fma_f32 v22, -v17, v20, 1.0
	v_fmac_f32_e32 v20, v22, v20
	v_div_scale_f32 v22, vcc, v10, v21, v10
	v_mul_f32_e32 v23, v22, v20
	v_fma_f32 v26, -v17, v23, v22
	v_fmac_f32_e32 v23, v26, v20
	v_fma_f32 v17, -v17, v23, v22
	v_div_fmas_f32 v17, v17, v20, v23
	v_div_fixup_f32 v10, v17, v21, v10
	global_store_dwordx2 v[24:25], v[10:11], off
	v_mov_b32_e32 v10, 0
.LBB30_515:                             ;   in Loop: Header=BB30_16 Depth=1
	s_or_b64 exec, exec, s[30:31]
	s_movk_i32 s30, 0x47
	v_cmp_gt_i32_e32 vcc, s30, v10
	s_mov_b64 s[30:31], -1
	s_and_saveexec_b64 s[42:43], vcc
; %bb.516:                              ;   in Loop: Header=BB30_16 Depth=1
	v_cmp_eq_u32_e32 vcc, 0, v10
	s_orn2_b64 s[30:31], vcc, exec
; %bb.517:                              ;   in Loop: Header=BB30_16 Depth=1
	s_or_b64 exec, exec, s[42:43]
	s_and_b64 exec, exec, s[30:31]
	s_cbranch_execz .LBB30_530
; %bb.518:                              ;   in Loop: Header=BB30_16 Depth=1
	buffer_load_dword v10, off, s[0:3], 0 offset:376 ; 4-byte Folded Reload
	s_waitcnt vmcnt(0)
	v_add_u32_e32 v11, s80, v10
	v_cmp_gt_i32_e32 vcc, s84, v11
	v_mov_b32_e32 v10, 0x47
	s_and_saveexec_b64 s[30:31], vcc
	s_cbranch_execz .LBB30_520
; %bb.519:                              ;   in Loop: Header=BB30_16 Depth=1
	buffer_load_dword v10, off, s[0:3], 0 offset:380 ; 4-byte Folded Reload
	buffer_load_dword v17, off, s[0:3], 0 offset:384 ; 4-byte Folded Reload
	v_readlane_b32 s42, v255, 3
	v_mad_u64_u32 v[24:25], s[42:43], v11, s42, v[80:81]
	v_ashrrev_i32_e32 v25, 31, v24
	v_lshlrev_b64 v[24:25], 3, v[24:25]
	v_add_co_u32_e32 v24, vcc, s66, v24
	v_mov_b32_e32 v11, s67
	v_addc_co_u32_e32 v25, vcc, v11, v25, vcc
	s_waitcnt vmcnt(1)
	v_add_u32_e32 v10, 0, v10
	ds_read2_b32 v[20:21], v10 offset0:64 offset1:65
	s_waitcnt vmcnt(0)
	ds_read2st64_b32 v[22:23], v17 offset1:17
	ds_read_b32 v10, v10 offset:4608
	s_waitcnt lgkmcnt(1)
	v_cvt_f32_f16_sdwa v27, v22 dst_sel:DWORD dst_unused:UNUSED_PAD src0_sel:WORD_1
	v_cvt_f32_f16_e32 v26, v22
	v_cvt_f32_f16_sdwa v29, v23 dst_sel:DWORD dst_unused:UNUSED_PAD src0_sel:WORD_1
	v_cvt_f32_f16_e32 v28, v23
	v_pk_fma_f32 v[26:27], v[20:21], v[26:27], 0 op_sel_hi:[0,1,0]
	s_waitcnt lgkmcnt(0)
	v_pk_fma_f32 v[10:11], v[10:11], v[28:29], v[26:27] op_sel_hi:[0,1,1]
	v_div_scale_f32 v17, s[42:43], v21, v21, v11
	v_rcp_f32_e32 v20, v17
	v_fma_f32 v22, -v17, v20, 1.0
	v_fmac_f32_e32 v20, v22, v20
	v_div_scale_f32 v22, vcc, v11, v21, v11
	v_mul_f32_e32 v23, v22, v20
	v_fma_f32 v26, -v17, v23, v22
	v_fmac_f32_e32 v23, v26, v20
	v_fma_f32 v17, -v17, v23, v22
	v_div_fmas_f32 v17, v17, v20, v23
	v_div_fixup_f32 v11, v17, v21, v11
	v_div_scale_f32 v17, s[42:43], v21, v21, v10
	v_rcp_f32_e32 v20, v17
	v_fma_f32 v22, -v17, v20, 1.0
	v_fmac_f32_e32 v20, v22, v20
	v_div_scale_f32 v22, vcc, v10, v21, v10
	v_mul_f32_e32 v23, v22, v20
	v_fma_f32 v26, -v17, v23, v22
	v_fmac_f32_e32 v23, v26, v20
	v_fma_f32 v17, -v17, v23, v22
	v_div_fmas_f32 v17, v17, v20, v23
	v_div_fixup_f32 v10, v17, v21, v10
	global_store_dwordx2 v[24:25], v[10:11], off
	v_mov_b32_e32 v10, 0
.LBB30_520:                             ;   in Loop: Header=BB30_16 Depth=1
	s_or_b64 exec, exec, s[30:31]
	s_movk_i32 s30, 0x47
	v_cmp_gt_i32_e32 vcc, s30, v10
	s_mov_b64 s[30:31], -1
	s_and_saveexec_b64 s[42:43], vcc
; %bb.521:                              ;   in Loop: Header=BB30_16 Depth=1
	v_cmp_eq_u32_e32 vcc, 0, v10
	s_orn2_b64 s[30:31], vcc, exec
; %bb.522:                              ;   in Loop: Header=BB30_16 Depth=1
	s_or_b64 exec, exec, s[42:43]
	s_and_b64 exec, exec, s[30:31]
	s_cbranch_execz .LBB30_530
; %bb.523:                              ;   in Loop: Header=BB30_16 Depth=1
	buffer_load_dword v10, off, s[0:3], 0 offset:388 ; 4-byte Folded Reload
	s_waitcnt vmcnt(0)
	v_add_u32_e32 v11, s80, v10
	v_cmp_gt_i32_e32 vcc, s84, v11
	v_mov_b32_e32 v10, 0x47
	s_and_saveexec_b64 s[30:31], vcc
	s_cbranch_execz .LBB30_525
; %bb.524:                              ;   in Loop: Header=BB30_16 Depth=1
	buffer_load_dword v10, off, s[0:3], 0 offset:392 ; 4-byte Folded Reload
	buffer_load_dword v17, off, s[0:3], 0 offset:396 ; 4-byte Folded Reload
	v_readlane_b32 s42, v255, 3
	v_mad_u64_u32 v[24:25], s[42:43], v11, s42, v[80:81]
	v_ashrrev_i32_e32 v25, 31, v24
	v_lshlrev_b64 v[24:25], 3, v[24:25]
	v_add_co_u32_e32 v24, vcc, s66, v24
	v_mov_b32_e32 v11, s67
	v_addc_co_u32_e32 v25, vcc, v11, v25, vcc
	s_waitcnt vmcnt(1)
	v_add_u32_e32 v10, 0, v10
	ds_read2_b32 v[20:21], v10 offset0:64 offset1:65
	s_waitcnt vmcnt(0)
	ds_read2st64_b32 v[22:23], v17 offset1:17
	ds_read_b32 v10, v10 offset:4608
	s_waitcnt lgkmcnt(1)
	v_cvt_f32_f16_sdwa v27, v22 dst_sel:DWORD dst_unused:UNUSED_PAD src0_sel:WORD_1
	v_cvt_f32_f16_e32 v26, v22
	v_cvt_f32_f16_sdwa v29, v23 dst_sel:DWORD dst_unused:UNUSED_PAD src0_sel:WORD_1
	v_cvt_f32_f16_e32 v28, v23
	v_pk_fma_f32 v[26:27], v[20:21], v[26:27], 0 op_sel_hi:[0,1,0]
	s_waitcnt lgkmcnt(0)
	v_pk_fma_f32 v[10:11], v[10:11], v[28:29], v[26:27] op_sel_hi:[0,1,1]
	v_div_scale_f32 v17, s[42:43], v21, v21, v11
	v_rcp_f32_e32 v20, v17
	v_fma_f32 v22, -v17, v20, 1.0
	v_fmac_f32_e32 v20, v22, v20
	v_div_scale_f32 v22, vcc, v11, v21, v11
	v_mul_f32_e32 v23, v22, v20
	v_fma_f32 v26, -v17, v23, v22
	v_fmac_f32_e32 v23, v26, v20
	v_fma_f32 v17, -v17, v23, v22
	v_div_fmas_f32 v17, v17, v20, v23
	v_div_fixup_f32 v11, v17, v21, v11
	v_div_scale_f32 v17, s[42:43], v21, v21, v10
	v_rcp_f32_e32 v20, v17
	v_fma_f32 v22, -v17, v20, 1.0
	v_fmac_f32_e32 v20, v22, v20
	v_div_scale_f32 v22, vcc, v10, v21, v10
	v_mul_f32_e32 v23, v22, v20
	v_fma_f32 v26, -v17, v23, v22
	v_fmac_f32_e32 v23, v26, v20
	v_fma_f32 v17, -v17, v23, v22
	v_div_fmas_f32 v17, v17, v20, v23
	v_div_fixup_f32 v10, v17, v21, v10
	global_store_dwordx2 v[24:25], v[10:11], off
	v_mov_b32_e32 v10, 0
.LBB30_525:                             ;   in Loop: Header=BB30_16 Depth=1
	s_or_b64 exec, exec, s[30:31]
	s_movk_i32 s30, 0x47
	v_cmp_gt_i32_e32 vcc, s30, v10
	s_mov_b64 s[30:31], -1
	s_and_saveexec_b64 s[42:43], vcc
; %bb.526:                              ;   in Loop: Header=BB30_16 Depth=1
	v_cmp_eq_u32_e32 vcc, 0, v10
	s_orn2_b64 s[30:31], vcc, exec
; %bb.527:                              ;   in Loop: Header=BB30_16 Depth=1
	s_or_b64 exec, exec, s[42:43]
	s_and_b64 exec, exec, s[30:31]
	s_cbranch_execz .LBB30_530
; %bb.528:                              ;   in Loop: Header=BB30_16 Depth=1
	buffer_load_dword v10, off, s[0:3], 0 offset:400 ; 4-byte Folded Reload
	s_waitcnt vmcnt(0)
	v_add_u32_e32 v10, s80, v10
	v_cmp_gt_i32_e32 vcc, s84, v10
	s_and_b64 exec, exec, vcc
	s_cbranch_execz .LBB30_530
; %bb.529:                              ;   in Loop: Header=BB30_16 Depth=1
	buffer_load_dword v11, off, s[0:3], 0 offset:404 ; 4-byte Folded Reload
	buffer_load_dword v17, off, s[0:3], 0 offset:408 ; 4-byte Folded Reload
	v_readlane_b32 s30, v255, 3
	s_waitcnt vmcnt(1)
	v_add_u32_e32 v11, 0, v11
	ds_read2_b32 v[20:21], v11 offset0:64 offset1:65
	s_waitcnt vmcnt(0)
	ds_read2st64_b32 v[22:23], v17 offset1:17
	ds_read_b32 v24, v11 offset:4608
	v_mad_u64_u32 v[10:11], s[30:31], v10, s30, v[80:81]
	v_ashrrev_i32_e32 v11, 31, v10
	s_waitcnt lgkmcnt(1)
	v_cvt_f32_f16_sdwa v27, v22 dst_sel:DWORD dst_unused:UNUSED_PAD src0_sel:WORD_1
	v_cvt_f32_f16_e32 v26, v22
	v_cvt_f32_f16_sdwa v29, v23 dst_sel:DWORD dst_unused:UNUSED_PAD src0_sel:WORD_1
	v_cvt_f32_f16_e32 v28, v23
	v_lshlrev_b64 v[10:11], 3, v[10:11]
	v_pk_fma_f32 v[26:27], v[20:21], v[26:27], 0 op_sel_hi:[0,1,0]
	v_add_co_u32_e32 v10, vcc, s66, v10
	v_mov_b32_e32 v17, s67
	s_waitcnt lgkmcnt(0)
	v_pk_fma_f32 v[22:23], v[24:25], v[28:29], v[26:27] op_sel_hi:[0,1,1]
	v_addc_co_u32_e32 v11, vcc, v17, v11, vcc
	v_div_scale_f32 v17, s[30:31], v21, v21, v23
	v_rcp_f32_e32 v20, v17
	v_fma_f32 v24, -v17, v20, 1.0
	v_fmac_f32_e32 v20, v24, v20
	v_div_scale_f32 v24, vcc, v23, v21, v23
	v_mul_f32_e32 v25, v24, v20
	v_fma_f32 v26, -v17, v25, v24
	v_fmac_f32_e32 v25, v26, v20
	v_fma_f32 v17, -v17, v25, v24
	v_div_fmas_f32 v17, v17, v20, v25
	v_div_fixup_f32 v23, v17, v21, v23
	v_div_scale_f32 v17, s[30:31], v21, v21, v22
	v_rcp_f32_e32 v20, v17
	v_fma_f32 v24, -v17, v20, 1.0
	v_fmac_f32_e32 v20, v24, v20
	v_div_scale_f32 v24, vcc, v22, v21, v22
	v_mul_f32_e32 v25, v24, v20
	v_fma_f32 v26, -v17, v25, v24
	v_fmac_f32_e32 v25, v26, v20
	v_fma_f32 v17, -v17, v25, v24
	v_div_fmas_f32 v17, v17, v20, v25
	v_div_fixup_f32 v22, v17, v21, v22
	global_store_dwordx2 v[10:11], v[22:23], off
.LBB30_530:                             ;   in Loop: Header=BB30_16 Depth=1
	s_or_b64 exec, exec, s[40:41]
	s_barrier
	ds_write2_b32 v230, v2, v1 offset1:1
	ds_write2_b32 v230, v4, v3 offset0:8 offset1:9
	ds_write2_b32 v230, v6, v5 offset0:16 offset1:17
	;; [unrolled: 1-line block ×7, first 2 shown]
	s_waitcnt lgkmcnt(0)
	s_barrier
	s_mov_b64 s[40:41], exec
	v_readlane_b32 s30, v254, 58
	v_readlane_b32 s31, v254, 59
	s_and_b64 s[30:31], s[40:41], s[30:31]
	s_mov_b64 exec, s[30:31]
	s_cbranch_execz .LBB30_14
; %bb.531:                              ;   in Loop: Header=BB30_16 Depth=1
	v_add_u32_e32 v2, s80, v249
	v_cmp_gt_i32_e32 vcc, s84, v2
	v_mov_b32_e32 v1, 0x47
	s_and_saveexec_b64 s[30:31], vcc
	s_cbranch_execz .LBB30_533
; %bb.532:                              ;   in Loop: Header=BB30_16 Depth=1
	buffer_load_dword v1, off, s[0:3], 0 offset:88 ; 4-byte Folded Reload
	buffer_load_dword v3, off, s[0:3], 0 offset:92 ; 4-byte Folded Reload
	v_readlane_b32 s42, v255, 3
	s_waitcnt vmcnt(1)
	v_add_u32_e32 v1, 0, v1
	ds_read2_b32 v[4:5], v1 offset0:64 offset1:65
	s_waitcnt vmcnt(0)
	ds_read2st64_b32 v[6:7], v3 offset1:17
	ds_read_b32 v8, v1 offset:4608
	buffer_load_dword v10, off, s[0:3], 0 offset:104 ; 4-byte Folded Reload
	buffer_load_dword v11, off, s[0:3], 0 offset:108 ; 4-byte Folded Reload
	v_mov_b32_e32 v1, s67
	s_waitcnt lgkmcnt(1)
	v_cvt_f32_f16_sdwa v13, v7 dst_sel:DWORD dst_unused:UNUSED_PAD src0_sel:WORD_1
	v_cvt_f32_f16_e32 v12, v7
	s_waitcnt vmcnt(0)
	v_mad_u64_u32 v[2:3], s[42:43], v2, s42, v[10:11]
	v_cvt_f32_f16_sdwa v11, v6 dst_sel:DWORD dst_unused:UNUSED_PAD src0_sel:WORD_1
	v_cvt_f32_f16_e32 v10, v6
	v_ashrrev_i32_e32 v3, 31, v2
	v_lshlrev_b64 v[2:3], 3, v[2:3]
	v_add_co_u32_e32 v2, vcc, s66, v2
	v_pk_fma_f32 v[10:11], v[4:5], v[10:11], 0 op_sel_hi:[0,1,0]
	s_waitcnt lgkmcnt(0)
	v_pk_fma_f32 v[6:7], v[8:9], v[12:13], v[10:11] op_sel_hi:[0,1,1]
	v_addc_co_u32_e32 v3, vcc, v1, v3, vcc
	v_div_scale_f32 v1, s[42:43], v5, v5, v7
	v_rcp_f32_e32 v4, v1
	v_fma_f32 v8, -v1, v4, 1.0
	v_fmac_f32_e32 v4, v8, v4
	v_div_scale_f32 v8, vcc, v7, v5, v7
	v_mul_f32_e32 v9, v8, v4
	v_fma_f32 v10, -v1, v9, v8
	v_fmac_f32_e32 v9, v10, v4
	v_fma_f32 v1, -v1, v9, v8
	v_div_fmas_f32 v1, v1, v4, v9
	v_div_fixup_f32 v7, v1, v5, v7
	v_div_scale_f32 v1, s[42:43], v5, v5, v6
	v_rcp_f32_e32 v4, v1
	v_fma_f32 v8, -v1, v4, 1.0
	v_fmac_f32_e32 v4, v8, v4
	v_div_scale_f32 v8, vcc, v6, v5, v6
	v_mul_f32_e32 v9, v8, v4
	v_fma_f32 v10, -v1, v9, v8
	v_fmac_f32_e32 v9, v10, v4
	v_fma_f32 v1, -v1, v9, v8
	v_div_fmas_f32 v1, v1, v4, v9
	v_div_fixup_f32 v6, v1, v5, v6
	v_mov_b32_e32 v1, 0
	global_store_dwordx2 v[2:3], v[6:7], off
.LBB30_533:                             ;   in Loop: Header=BB30_16 Depth=1
	s_or_b64 exec, exec, s[30:31]
	s_movk_i32 s30, 0x47
	v_cmp_gt_i32_e32 vcc, s30, v1
	s_mov_b64 s[30:31], -1
	s_and_saveexec_b64 s[42:43], vcc
; %bb.534:                              ;   in Loop: Header=BB30_16 Depth=1
	v_cmp_eq_u32_e32 vcc, 0, v1
	s_orn2_b64 s[30:31], vcc, exec
; %bb.535:                              ;   in Loop: Header=BB30_16 Depth=1
	s_or_b64 exec, exec, s[42:43]
	s_and_b64 exec, exec, s[30:31]
	s_cbranch_execz .LBB30_14
; %bb.536:                              ;   in Loop: Header=BB30_16 Depth=1
	buffer_load_dword v1, off, s[0:3], 0 offset:96 ; 4-byte Folded Reload
	s_waitcnt vmcnt(0)
	v_add_u32_e32 v2, s80, v1
	v_cmp_gt_i32_e32 vcc, s84, v2
	v_mov_b32_e32 v1, 0x47
	s_and_saveexec_b64 s[30:31], vcc
	s_cbranch_execz .LBB30_538
; %bb.537:                              ;   in Loop: Header=BB30_16 Depth=1
	buffer_load_dword v1, off, s[0:3], 0 offset:144 ; 4-byte Folded Reload
	buffer_load_dword v3, off, s[0:3], 0 offset:148 ; 4-byte Folded Reload
	v_readlane_b32 s42, v255, 3
	s_waitcnt vmcnt(1)
	v_add_u32_e32 v1, 0, v1
	ds_read2_b32 v[4:5], v1 offset0:64 offset1:65
	s_waitcnt vmcnt(0)
	ds_read2st64_b32 v[6:7], v3 offset1:17
	ds_read_b32 v8, v1 offset:4608
	buffer_load_dword v10, off, s[0:3], 0 offset:104 ; 4-byte Folded Reload
	buffer_load_dword v11, off, s[0:3], 0 offset:108 ; 4-byte Folded Reload
	v_mov_b32_e32 v1, s67
	s_waitcnt lgkmcnt(1)
	v_cvt_f32_f16_sdwa v13, v7 dst_sel:DWORD dst_unused:UNUSED_PAD src0_sel:WORD_1
	v_cvt_f32_f16_e32 v12, v7
	s_waitcnt vmcnt(0)
	v_mad_u64_u32 v[2:3], s[42:43], v2, s42, v[10:11]
	v_cvt_f32_f16_sdwa v11, v6 dst_sel:DWORD dst_unused:UNUSED_PAD src0_sel:WORD_1
	v_cvt_f32_f16_e32 v10, v6
	v_ashrrev_i32_e32 v3, 31, v2
	v_lshlrev_b64 v[2:3], 3, v[2:3]
	v_add_co_u32_e32 v2, vcc, s66, v2
	v_pk_fma_f32 v[10:11], v[4:5], v[10:11], 0 op_sel_hi:[0,1,0]
	s_waitcnt lgkmcnt(0)
	v_pk_fma_f32 v[6:7], v[8:9], v[12:13], v[10:11] op_sel_hi:[0,1,1]
	v_addc_co_u32_e32 v3, vcc, v1, v3, vcc
	v_div_scale_f32 v1, s[42:43], v5, v5, v7
	v_rcp_f32_e32 v4, v1
	v_fma_f32 v8, -v1, v4, 1.0
	v_fmac_f32_e32 v4, v8, v4
	v_div_scale_f32 v8, vcc, v7, v5, v7
	v_mul_f32_e32 v9, v8, v4
	v_fma_f32 v10, -v1, v9, v8
	v_fmac_f32_e32 v9, v10, v4
	v_fma_f32 v1, -v1, v9, v8
	v_div_fmas_f32 v1, v1, v4, v9
	v_div_fixup_f32 v7, v1, v5, v7
	v_div_scale_f32 v1, s[42:43], v5, v5, v6
	v_rcp_f32_e32 v4, v1
	v_fma_f32 v8, -v1, v4, 1.0
	v_fmac_f32_e32 v4, v8, v4
	v_div_scale_f32 v8, vcc, v6, v5, v6
	v_mul_f32_e32 v9, v8, v4
	v_fma_f32 v10, -v1, v9, v8
	v_fmac_f32_e32 v9, v10, v4
	v_fma_f32 v1, -v1, v9, v8
	v_div_fmas_f32 v1, v1, v4, v9
	v_div_fixup_f32 v6, v1, v5, v6
	v_mov_b32_e32 v1, 0
	global_store_dwordx2 v[2:3], v[6:7], off
.LBB30_538:                             ;   in Loop: Header=BB30_16 Depth=1
	s_or_b64 exec, exec, s[30:31]
	s_movk_i32 s30, 0x47
	v_cmp_gt_i32_e32 vcc, s30, v1
	s_mov_b64 s[30:31], -1
	s_and_saveexec_b64 s[42:43], vcc
; %bb.539:                              ;   in Loop: Header=BB30_16 Depth=1
	v_cmp_eq_u32_e32 vcc, 0, v1
	s_orn2_b64 s[30:31], vcc, exec
; %bb.540:                              ;   in Loop: Header=BB30_16 Depth=1
	s_or_b64 exec, exec, s[42:43]
	s_and_b64 exec, exec, s[30:31]
	s_cbranch_execz .LBB30_14
; %bb.541:                              ;   in Loop: Header=BB30_16 Depth=1
	buffer_load_dword v1, off, s[0:3], 0 offset:152 ; 4-byte Folded Reload
	s_waitcnt vmcnt(0)
	v_add_u32_e32 v2, s80, v1
	v_cmp_gt_i32_e32 vcc, s84, v2
	v_mov_b32_e32 v1, 0x47
	s_and_saveexec_b64 s[30:31], vcc
	s_cbranch_execz .LBB30_543
; %bb.542:                              ;   in Loop: Header=BB30_16 Depth=1
	buffer_load_dword v1, off, s[0:3], 0 offset:232 ; 4-byte Folded Reload
	buffer_load_dword v3, off, s[0:3], 0 offset:236 ; 4-byte Folded Reload
	v_readlane_b32 s42, v255, 3
	s_waitcnt vmcnt(1)
	v_add_u32_e32 v1, 0, v1
	ds_read2_b32 v[4:5], v1 offset0:64 offset1:65
	s_waitcnt vmcnt(0)
	ds_read2st64_b32 v[6:7], v3 offset1:17
	ds_read_b32 v8, v1 offset:4608
	buffer_load_dword v10, off, s[0:3], 0 offset:104 ; 4-byte Folded Reload
	buffer_load_dword v11, off, s[0:3], 0 offset:108 ; 4-byte Folded Reload
	v_mov_b32_e32 v1, s67
	s_waitcnt lgkmcnt(1)
	v_cvt_f32_f16_sdwa v13, v7 dst_sel:DWORD dst_unused:UNUSED_PAD src0_sel:WORD_1
	v_cvt_f32_f16_e32 v12, v7
	s_waitcnt vmcnt(0)
	v_mad_u64_u32 v[2:3], s[42:43], v2, s42, v[10:11]
	v_cvt_f32_f16_sdwa v11, v6 dst_sel:DWORD dst_unused:UNUSED_PAD src0_sel:WORD_1
	v_cvt_f32_f16_e32 v10, v6
	v_ashrrev_i32_e32 v3, 31, v2
	v_lshlrev_b64 v[2:3], 3, v[2:3]
	v_add_co_u32_e32 v2, vcc, s66, v2
	v_pk_fma_f32 v[10:11], v[4:5], v[10:11], 0 op_sel_hi:[0,1,0]
	s_waitcnt lgkmcnt(0)
	v_pk_fma_f32 v[6:7], v[8:9], v[12:13], v[10:11] op_sel_hi:[0,1,1]
	v_addc_co_u32_e32 v3, vcc, v1, v3, vcc
	v_div_scale_f32 v1, s[42:43], v5, v5, v7
	v_rcp_f32_e32 v4, v1
	v_fma_f32 v8, -v1, v4, 1.0
	v_fmac_f32_e32 v4, v8, v4
	v_div_scale_f32 v8, vcc, v7, v5, v7
	v_mul_f32_e32 v9, v8, v4
	v_fma_f32 v10, -v1, v9, v8
	v_fmac_f32_e32 v9, v10, v4
	v_fma_f32 v1, -v1, v9, v8
	v_div_fmas_f32 v1, v1, v4, v9
	v_div_fixup_f32 v7, v1, v5, v7
	v_div_scale_f32 v1, s[42:43], v5, v5, v6
	v_rcp_f32_e32 v4, v1
	v_fma_f32 v8, -v1, v4, 1.0
	v_fmac_f32_e32 v4, v8, v4
	v_div_scale_f32 v8, vcc, v6, v5, v6
	v_mul_f32_e32 v9, v8, v4
	v_fma_f32 v10, -v1, v9, v8
	v_fmac_f32_e32 v9, v10, v4
	v_fma_f32 v1, -v1, v9, v8
	v_div_fmas_f32 v1, v1, v4, v9
	v_div_fixup_f32 v6, v1, v5, v6
	v_mov_b32_e32 v1, 0
	global_store_dwordx2 v[2:3], v[6:7], off
.LBB30_543:                             ;   in Loop: Header=BB30_16 Depth=1
	s_or_b64 exec, exec, s[30:31]
	s_movk_i32 s30, 0x47
	v_cmp_gt_i32_e32 vcc, s30, v1
	s_mov_b64 s[30:31], -1
	s_and_saveexec_b64 s[42:43], vcc
; %bb.544:                              ;   in Loop: Header=BB30_16 Depth=1
	v_cmp_eq_u32_e32 vcc, 0, v1
	s_orn2_b64 s[30:31], vcc, exec
; %bb.545:                              ;   in Loop: Header=BB30_16 Depth=1
	s_or_b64 exec, exec, s[42:43]
	s_and_b64 exec, exec, s[30:31]
	s_cbranch_execz .LBB30_14
; %bb.546:                              ;   in Loop: Header=BB30_16 Depth=1
	buffer_load_dword v1, off, s[0:3], 0 offset:240 ; 4-byte Folded Reload
	s_waitcnt vmcnt(0)
	v_add_u32_e32 v2, s80, v1
	v_cmp_gt_i32_e32 vcc, s84, v2
	v_mov_b32_e32 v1, 0x47
	s_and_saveexec_b64 s[30:31], vcc
	s_cbranch_execz .LBB30_548
; %bb.547:                              ;   in Loop: Header=BB30_16 Depth=1
	buffer_load_dword v1, off, s[0:3], 0 offset:244 ; 4-byte Folded Reload
	buffer_load_dword v3, off, s[0:3], 0 offset:248 ; 4-byte Folded Reload
	v_readlane_b32 s42, v255, 3
	s_waitcnt vmcnt(1)
	v_add_u32_e32 v1, 0, v1
	ds_read2_b32 v[4:5], v1 offset0:64 offset1:65
	s_waitcnt vmcnt(0)
	ds_read2st64_b32 v[6:7], v3 offset1:17
	ds_read_b32 v8, v1 offset:4608
	buffer_load_dword v10, off, s[0:3], 0 offset:104 ; 4-byte Folded Reload
	buffer_load_dword v11, off, s[0:3], 0 offset:108 ; 4-byte Folded Reload
	v_mov_b32_e32 v1, s67
	s_waitcnt lgkmcnt(1)
	v_cvt_f32_f16_sdwa v13, v7 dst_sel:DWORD dst_unused:UNUSED_PAD src0_sel:WORD_1
	v_cvt_f32_f16_e32 v12, v7
	s_waitcnt vmcnt(0)
	v_mad_u64_u32 v[2:3], s[42:43], v2, s42, v[10:11]
	v_cvt_f32_f16_sdwa v11, v6 dst_sel:DWORD dst_unused:UNUSED_PAD src0_sel:WORD_1
	v_cvt_f32_f16_e32 v10, v6
	v_ashrrev_i32_e32 v3, 31, v2
	v_lshlrev_b64 v[2:3], 3, v[2:3]
	v_add_co_u32_e32 v2, vcc, s66, v2
	v_pk_fma_f32 v[10:11], v[4:5], v[10:11], 0 op_sel_hi:[0,1,0]
	s_waitcnt lgkmcnt(0)
	v_pk_fma_f32 v[6:7], v[8:9], v[12:13], v[10:11] op_sel_hi:[0,1,1]
	v_addc_co_u32_e32 v3, vcc, v1, v3, vcc
	v_div_scale_f32 v1, s[42:43], v5, v5, v7
	v_rcp_f32_e32 v4, v1
	v_fma_f32 v8, -v1, v4, 1.0
	v_fmac_f32_e32 v4, v8, v4
	v_div_scale_f32 v8, vcc, v7, v5, v7
	v_mul_f32_e32 v9, v8, v4
	v_fma_f32 v10, -v1, v9, v8
	v_fmac_f32_e32 v9, v10, v4
	v_fma_f32 v1, -v1, v9, v8
	v_div_fmas_f32 v1, v1, v4, v9
	v_div_fixup_f32 v7, v1, v5, v7
	v_div_scale_f32 v1, s[42:43], v5, v5, v6
	v_rcp_f32_e32 v4, v1
	v_fma_f32 v8, -v1, v4, 1.0
	v_fmac_f32_e32 v4, v8, v4
	v_div_scale_f32 v8, vcc, v6, v5, v6
	v_mul_f32_e32 v9, v8, v4
	v_fma_f32 v10, -v1, v9, v8
	v_fmac_f32_e32 v9, v10, v4
	v_fma_f32 v1, -v1, v9, v8
	v_div_fmas_f32 v1, v1, v4, v9
	v_div_fixup_f32 v6, v1, v5, v6
	v_mov_b32_e32 v1, 0
	global_store_dwordx2 v[2:3], v[6:7], off
.LBB30_548:                             ;   in Loop: Header=BB30_16 Depth=1
	s_or_b64 exec, exec, s[30:31]
	s_movk_i32 s30, 0x47
	v_cmp_gt_i32_e32 vcc, s30, v1
	s_mov_b64 s[30:31], -1
	s_and_saveexec_b64 s[42:43], vcc
; %bb.549:                              ;   in Loop: Header=BB30_16 Depth=1
	v_cmp_eq_u32_e32 vcc, 0, v1
	s_orn2_b64 s[30:31], vcc, exec
; %bb.550:                              ;   in Loop: Header=BB30_16 Depth=1
	s_or_b64 exec, exec, s[42:43]
	s_and_b64 exec, exec, s[30:31]
	s_cbranch_execz .LBB30_14
; %bb.551:                              ;   in Loop: Header=BB30_16 Depth=1
	buffer_load_dword v1, off, s[0:3], 0 offset:252 ; 4-byte Folded Reload
	s_waitcnt vmcnt(0)
	v_add_u32_e32 v2, s80, v1
	v_cmp_gt_i32_e32 vcc, s84, v2
	v_mov_b32_e32 v1, 0x47
	s_and_saveexec_b64 s[30:31], vcc
	s_cbranch_execz .LBB30_553
; %bb.552:                              ;   in Loop: Header=BB30_16 Depth=1
	buffer_load_dword v1, off, s[0:3], 0 offset:260 ; 4-byte Folded Reload
	buffer_load_dword v3, off, s[0:3], 0 offset:264 ; 4-byte Folded Reload
	v_readlane_b32 s42, v255, 3
	s_waitcnt vmcnt(1)
	v_add_u32_e32 v1, 0, v1
	ds_read2_b32 v[4:5], v1 offset0:64 offset1:65
	s_waitcnt vmcnt(0)
	ds_read2st64_b32 v[6:7], v3 offset1:17
	ds_read_b32 v8, v1 offset:4608
	buffer_load_dword v10, off, s[0:3], 0 offset:104 ; 4-byte Folded Reload
	buffer_load_dword v11, off, s[0:3], 0 offset:108 ; 4-byte Folded Reload
	v_mov_b32_e32 v1, s67
	s_waitcnt lgkmcnt(1)
	v_cvt_f32_f16_sdwa v13, v7 dst_sel:DWORD dst_unused:UNUSED_PAD src0_sel:WORD_1
	v_cvt_f32_f16_e32 v12, v7
	s_waitcnt vmcnt(0)
	v_mad_u64_u32 v[2:3], s[42:43], v2, s42, v[10:11]
	v_cvt_f32_f16_sdwa v11, v6 dst_sel:DWORD dst_unused:UNUSED_PAD src0_sel:WORD_1
	v_cvt_f32_f16_e32 v10, v6
	v_ashrrev_i32_e32 v3, 31, v2
	v_lshlrev_b64 v[2:3], 3, v[2:3]
	v_add_co_u32_e32 v2, vcc, s66, v2
	v_pk_fma_f32 v[10:11], v[4:5], v[10:11], 0 op_sel_hi:[0,1,0]
	s_waitcnt lgkmcnt(0)
	v_pk_fma_f32 v[6:7], v[8:9], v[12:13], v[10:11] op_sel_hi:[0,1,1]
	v_addc_co_u32_e32 v3, vcc, v1, v3, vcc
	v_div_scale_f32 v1, s[42:43], v5, v5, v7
	v_rcp_f32_e32 v4, v1
	v_fma_f32 v8, -v1, v4, 1.0
	v_fmac_f32_e32 v4, v8, v4
	v_div_scale_f32 v8, vcc, v7, v5, v7
	v_mul_f32_e32 v9, v8, v4
	v_fma_f32 v10, -v1, v9, v8
	v_fmac_f32_e32 v9, v10, v4
	v_fma_f32 v1, -v1, v9, v8
	v_div_fmas_f32 v1, v1, v4, v9
	v_div_fixup_f32 v7, v1, v5, v7
	v_div_scale_f32 v1, s[42:43], v5, v5, v6
	v_rcp_f32_e32 v4, v1
	v_fma_f32 v8, -v1, v4, 1.0
	v_fmac_f32_e32 v4, v8, v4
	v_div_scale_f32 v8, vcc, v6, v5, v6
	v_mul_f32_e32 v9, v8, v4
	v_fma_f32 v10, -v1, v9, v8
	v_fmac_f32_e32 v9, v10, v4
	v_fma_f32 v1, -v1, v9, v8
	v_div_fmas_f32 v1, v1, v4, v9
	v_div_fixup_f32 v6, v1, v5, v6
	v_mov_b32_e32 v1, 0
	global_store_dwordx2 v[2:3], v[6:7], off
.LBB30_553:                             ;   in Loop: Header=BB30_16 Depth=1
	s_or_b64 exec, exec, s[30:31]
	s_movk_i32 s30, 0x47
	v_cmp_gt_i32_e32 vcc, s30, v1
	s_mov_b64 s[30:31], -1
	s_and_saveexec_b64 s[42:43], vcc
; %bb.554:                              ;   in Loop: Header=BB30_16 Depth=1
	v_cmp_eq_u32_e32 vcc, 0, v1
	s_orn2_b64 s[30:31], vcc, exec
; %bb.555:                              ;   in Loop: Header=BB30_16 Depth=1
	s_or_b64 exec, exec, s[42:43]
	s_and_b64 exec, exec, s[30:31]
	s_cbranch_execz .LBB30_14
; %bb.556:                              ;   in Loop: Header=BB30_16 Depth=1
	buffer_load_dword v1, off, s[0:3], 0 offset:268 ; 4-byte Folded Reload
	s_waitcnt vmcnt(0)
	v_add_u32_e32 v2, s80, v1
	v_cmp_gt_i32_e32 vcc, s84, v2
	v_mov_b32_e32 v1, 0x47
	s_and_saveexec_b64 s[30:31], vcc
	s_cbranch_execz .LBB30_558
; %bb.557:                              ;   in Loop: Header=BB30_16 Depth=1
	buffer_load_dword v1, off, s[0:3], 0 offset:284 ; 4-byte Folded Reload
	buffer_load_dword v3, off, s[0:3], 0 offset:288 ; 4-byte Folded Reload
	v_readlane_b32 s42, v255, 3
	s_waitcnt vmcnt(1)
	v_add_u32_e32 v1, 0, v1
	ds_read2_b32 v[4:5], v1 offset0:64 offset1:65
	s_waitcnt vmcnt(0)
	ds_read2st64_b32 v[6:7], v3 offset1:17
	ds_read_b32 v8, v1 offset:4608
	buffer_load_dword v10, off, s[0:3], 0 offset:104 ; 4-byte Folded Reload
	buffer_load_dword v11, off, s[0:3], 0 offset:108 ; 4-byte Folded Reload
	v_mov_b32_e32 v1, s67
	s_waitcnt lgkmcnt(1)
	v_cvt_f32_f16_sdwa v13, v7 dst_sel:DWORD dst_unused:UNUSED_PAD src0_sel:WORD_1
	v_cvt_f32_f16_e32 v12, v7
	s_waitcnt vmcnt(0)
	v_mad_u64_u32 v[2:3], s[42:43], v2, s42, v[10:11]
	v_cvt_f32_f16_sdwa v11, v6 dst_sel:DWORD dst_unused:UNUSED_PAD src0_sel:WORD_1
	v_cvt_f32_f16_e32 v10, v6
	v_ashrrev_i32_e32 v3, 31, v2
	v_lshlrev_b64 v[2:3], 3, v[2:3]
	v_add_co_u32_e32 v2, vcc, s66, v2
	v_pk_fma_f32 v[10:11], v[4:5], v[10:11], 0 op_sel_hi:[0,1,0]
	s_waitcnt lgkmcnt(0)
	v_pk_fma_f32 v[6:7], v[8:9], v[12:13], v[10:11] op_sel_hi:[0,1,1]
	v_addc_co_u32_e32 v3, vcc, v1, v3, vcc
	v_div_scale_f32 v1, s[42:43], v5, v5, v7
	v_rcp_f32_e32 v4, v1
	v_fma_f32 v8, -v1, v4, 1.0
	v_fmac_f32_e32 v4, v8, v4
	v_div_scale_f32 v8, vcc, v7, v5, v7
	v_mul_f32_e32 v9, v8, v4
	v_fma_f32 v10, -v1, v9, v8
	v_fmac_f32_e32 v9, v10, v4
	v_fma_f32 v1, -v1, v9, v8
	v_div_fmas_f32 v1, v1, v4, v9
	v_div_fixup_f32 v7, v1, v5, v7
	v_div_scale_f32 v1, s[42:43], v5, v5, v6
	v_rcp_f32_e32 v4, v1
	v_fma_f32 v8, -v1, v4, 1.0
	v_fmac_f32_e32 v4, v8, v4
	v_div_scale_f32 v8, vcc, v6, v5, v6
	v_mul_f32_e32 v9, v8, v4
	v_fma_f32 v10, -v1, v9, v8
	v_fmac_f32_e32 v9, v10, v4
	v_fma_f32 v1, -v1, v9, v8
	v_div_fmas_f32 v1, v1, v4, v9
	v_div_fixup_f32 v6, v1, v5, v6
	v_mov_b32_e32 v1, 0
	global_store_dwordx2 v[2:3], v[6:7], off
.LBB30_558:                             ;   in Loop: Header=BB30_16 Depth=1
	s_or_b64 exec, exec, s[30:31]
	s_movk_i32 s30, 0x47
	v_cmp_gt_i32_e32 vcc, s30, v1
	s_mov_b64 s[30:31], -1
	s_and_saveexec_b64 s[42:43], vcc
; %bb.559:                              ;   in Loop: Header=BB30_16 Depth=1
	v_cmp_eq_u32_e32 vcc, 0, v1
	s_orn2_b64 s[30:31], vcc, exec
; %bb.560:                              ;   in Loop: Header=BB30_16 Depth=1
	s_or_b64 exec, exec, s[42:43]
	s_and_b64 exec, exec, s[30:31]
	s_cbranch_execz .LBB30_14
; %bb.561:                              ;   in Loop: Header=BB30_16 Depth=1
	buffer_load_dword v1, off, s[0:3], 0 offset:292 ; 4-byte Folded Reload
	s_waitcnt vmcnt(0)
	v_add_u32_e32 v2, s80, v1
	v_cmp_gt_i32_e32 vcc, s84, v2
	v_mov_b32_e32 v1, 0x47
	s_and_saveexec_b64 s[30:31], vcc
	s_cbranch_execz .LBB30_563
; %bb.562:                              ;   in Loop: Header=BB30_16 Depth=1
	buffer_load_dword v1, off, s[0:3], 0 offset:296 ; 4-byte Folded Reload
	buffer_load_dword v3, off, s[0:3], 0 offset:300 ; 4-byte Folded Reload
	v_readlane_b32 s42, v255, 3
	s_waitcnt vmcnt(1)
	v_add_u32_e32 v1, 0, v1
	ds_read2_b32 v[4:5], v1 offset0:64 offset1:65
	s_waitcnt vmcnt(0)
	ds_read2st64_b32 v[6:7], v3 offset1:17
	ds_read_b32 v8, v1 offset:4608
	buffer_load_dword v10, off, s[0:3], 0 offset:104 ; 4-byte Folded Reload
	buffer_load_dword v11, off, s[0:3], 0 offset:108 ; 4-byte Folded Reload
	v_mov_b32_e32 v1, s67
	s_waitcnt lgkmcnt(1)
	v_cvt_f32_f16_sdwa v13, v7 dst_sel:DWORD dst_unused:UNUSED_PAD src0_sel:WORD_1
	v_cvt_f32_f16_e32 v12, v7
	s_waitcnt vmcnt(0)
	v_mad_u64_u32 v[2:3], s[42:43], v2, s42, v[10:11]
	v_cvt_f32_f16_sdwa v11, v6 dst_sel:DWORD dst_unused:UNUSED_PAD src0_sel:WORD_1
	v_cvt_f32_f16_e32 v10, v6
	v_ashrrev_i32_e32 v3, 31, v2
	v_lshlrev_b64 v[2:3], 3, v[2:3]
	v_add_co_u32_e32 v2, vcc, s66, v2
	v_pk_fma_f32 v[10:11], v[4:5], v[10:11], 0 op_sel_hi:[0,1,0]
	s_waitcnt lgkmcnt(0)
	v_pk_fma_f32 v[6:7], v[8:9], v[12:13], v[10:11] op_sel_hi:[0,1,1]
	v_addc_co_u32_e32 v3, vcc, v1, v3, vcc
	v_div_scale_f32 v1, s[42:43], v5, v5, v7
	v_rcp_f32_e32 v4, v1
	v_fma_f32 v8, -v1, v4, 1.0
	v_fmac_f32_e32 v4, v8, v4
	v_div_scale_f32 v8, vcc, v7, v5, v7
	v_mul_f32_e32 v9, v8, v4
	v_fma_f32 v10, -v1, v9, v8
	v_fmac_f32_e32 v9, v10, v4
	v_fma_f32 v1, -v1, v9, v8
	v_div_fmas_f32 v1, v1, v4, v9
	v_div_fixup_f32 v7, v1, v5, v7
	v_div_scale_f32 v1, s[42:43], v5, v5, v6
	v_rcp_f32_e32 v4, v1
	v_fma_f32 v8, -v1, v4, 1.0
	v_fmac_f32_e32 v4, v8, v4
	v_div_scale_f32 v8, vcc, v6, v5, v6
	v_mul_f32_e32 v9, v8, v4
	v_fma_f32 v10, -v1, v9, v8
	v_fmac_f32_e32 v9, v10, v4
	v_fma_f32 v1, -v1, v9, v8
	v_div_fmas_f32 v1, v1, v4, v9
	v_div_fixup_f32 v6, v1, v5, v6
	v_mov_b32_e32 v1, 0
	global_store_dwordx2 v[2:3], v[6:7], off
.LBB30_563:                             ;   in Loop: Header=BB30_16 Depth=1
	s_or_b64 exec, exec, s[30:31]
	s_movk_i32 s30, 0x47
	v_cmp_gt_i32_e32 vcc, s30, v1
	s_mov_b64 s[30:31], -1
	s_and_saveexec_b64 s[42:43], vcc
; %bb.564:                              ;   in Loop: Header=BB30_16 Depth=1
	v_cmp_eq_u32_e32 vcc, 0, v1
	s_orn2_b64 s[30:31], vcc, exec
; %bb.565:                              ;   in Loop: Header=BB30_16 Depth=1
	s_or_b64 exec, exec, s[42:43]
	s_and_b64 exec, exec, s[30:31]
	s_cbranch_execz .LBB30_14
; %bb.566:                              ;   in Loop: Header=BB30_16 Depth=1
	buffer_load_dword v1, off, s[0:3], 0 offset:304 ; 4-byte Folded Reload
	s_waitcnt vmcnt(0)
	v_add_u32_e32 v2, s80, v1
	v_cmp_gt_i32_e32 vcc, s84, v2
	v_mov_b32_e32 v1, 0x47
	s_and_saveexec_b64 s[30:31], vcc
	s_cbranch_execz .LBB30_568
; %bb.567:                              ;   in Loop: Header=BB30_16 Depth=1
	buffer_load_dword v1, off, s[0:3], 0 offset:308 ; 4-byte Folded Reload
	buffer_load_dword v3, off, s[0:3], 0 offset:312 ; 4-byte Folded Reload
	v_readlane_b32 s42, v255, 3
	s_waitcnt vmcnt(1)
	v_add_u32_e32 v1, 0, v1
	ds_read2_b32 v[4:5], v1 offset0:64 offset1:65
	s_waitcnt vmcnt(0)
	ds_read2st64_b32 v[6:7], v3 offset1:17
	ds_read_b32 v8, v1 offset:4608
	buffer_load_dword v10, off, s[0:3], 0 offset:104 ; 4-byte Folded Reload
	buffer_load_dword v11, off, s[0:3], 0 offset:108 ; 4-byte Folded Reload
	v_mov_b32_e32 v1, s67
	s_waitcnt lgkmcnt(1)
	v_cvt_f32_f16_sdwa v13, v7 dst_sel:DWORD dst_unused:UNUSED_PAD src0_sel:WORD_1
	v_cvt_f32_f16_e32 v12, v7
	s_waitcnt vmcnt(0)
	v_mad_u64_u32 v[2:3], s[42:43], v2, s42, v[10:11]
	v_cvt_f32_f16_sdwa v11, v6 dst_sel:DWORD dst_unused:UNUSED_PAD src0_sel:WORD_1
	v_cvt_f32_f16_e32 v10, v6
	v_ashrrev_i32_e32 v3, 31, v2
	v_lshlrev_b64 v[2:3], 3, v[2:3]
	v_add_co_u32_e32 v2, vcc, s66, v2
	v_pk_fma_f32 v[10:11], v[4:5], v[10:11], 0 op_sel_hi:[0,1,0]
	s_waitcnt lgkmcnt(0)
	v_pk_fma_f32 v[6:7], v[8:9], v[12:13], v[10:11] op_sel_hi:[0,1,1]
	v_addc_co_u32_e32 v3, vcc, v1, v3, vcc
	v_div_scale_f32 v1, s[42:43], v5, v5, v7
	v_rcp_f32_e32 v4, v1
	v_fma_f32 v8, -v1, v4, 1.0
	v_fmac_f32_e32 v4, v8, v4
	v_div_scale_f32 v8, vcc, v7, v5, v7
	v_mul_f32_e32 v9, v8, v4
	v_fma_f32 v10, -v1, v9, v8
	v_fmac_f32_e32 v9, v10, v4
	v_fma_f32 v1, -v1, v9, v8
	v_div_fmas_f32 v1, v1, v4, v9
	v_div_fixup_f32 v7, v1, v5, v7
	v_div_scale_f32 v1, s[42:43], v5, v5, v6
	v_rcp_f32_e32 v4, v1
	v_fma_f32 v8, -v1, v4, 1.0
	v_fmac_f32_e32 v4, v8, v4
	v_div_scale_f32 v8, vcc, v6, v5, v6
	v_mul_f32_e32 v9, v8, v4
	v_fma_f32 v10, -v1, v9, v8
	v_fmac_f32_e32 v9, v10, v4
	v_fma_f32 v1, -v1, v9, v8
	v_div_fmas_f32 v1, v1, v4, v9
	v_div_fixup_f32 v6, v1, v5, v6
	v_mov_b32_e32 v1, 0
	global_store_dwordx2 v[2:3], v[6:7], off
.LBB30_568:                             ;   in Loop: Header=BB30_16 Depth=1
	s_or_b64 exec, exec, s[30:31]
	s_movk_i32 s30, 0x47
	v_cmp_gt_i32_e32 vcc, s30, v1
	s_mov_b64 s[30:31], -1
	s_and_saveexec_b64 s[42:43], vcc
; %bb.569:                              ;   in Loop: Header=BB30_16 Depth=1
	v_cmp_eq_u32_e32 vcc, 0, v1
	s_orn2_b64 s[30:31], vcc, exec
; %bb.570:                              ;   in Loop: Header=BB30_16 Depth=1
	s_or_b64 exec, exec, s[42:43]
	s_and_b64 exec, exec, s[30:31]
	s_cbranch_execz .LBB30_14
; %bb.571:                              ;   in Loop: Header=BB30_16 Depth=1
	buffer_load_dword v1, off, s[0:3], 0 offset:316 ; 4-byte Folded Reload
	s_waitcnt vmcnt(0)
	v_add_u32_e32 v2, s80, v1
	v_cmp_gt_i32_e32 vcc, s84, v2
	v_mov_b32_e32 v1, 0x47
	s_and_saveexec_b64 s[30:31], vcc
	s_cbranch_execz .LBB30_573
; %bb.572:                              ;   in Loop: Header=BB30_16 Depth=1
	buffer_load_dword v1, off, s[0:3], 0 offset:320 ; 4-byte Folded Reload
	buffer_load_dword v3, off, s[0:3], 0 offset:324 ; 4-byte Folded Reload
	v_readlane_b32 s42, v255, 3
	s_waitcnt vmcnt(1)
	v_add_u32_e32 v1, 0, v1
	ds_read2_b32 v[4:5], v1 offset0:64 offset1:65
	s_waitcnt vmcnt(0)
	ds_read2st64_b32 v[6:7], v3 offset1:17
	ds_read_b32 v8, v1 offset:4608
	buffer_load_dword v10, off, s[0:3], 0 offset:104 ; 4-byte Folded Reload
	buffer_load_dword v11, off, s[0:3], 0 offset:108 ; 4-byte Folded Reload
	v_mov_b32_e32 v1, s67
	s_waitcnt lgkmcnt(1)
	v_cvt_f32_f16_sdwa v13, v7 dst_sel:DWORD dst_unused:UNUSED_PAD src0_sel:WORD_1
	v_cvt_f32_f16_e32 v12, v7
	s_waitcnt vmcnt(0)
	v_mad_u64_u32 v[2:3], s[42:43], v2, s42, v[10:11]
	v_cvt_f32_f16_sdwa v11, v6 dst_sel:DWORD dst_unused:UNUSED_PAD src0_sel:WORD_1
	v_cvt_f32_f16_e32 v10, v6
	v_ashrrev_i32_e32 v3, 31, v2
	v_lshlrev_b64 v[2:3], 3, v[2:3]
	v_add_co_u32_e32 v2, vcc, s66, v2
	v_pk_fma_f32 v[10:11], v[4:5], v[10:11], 0 op_sel_hi:[0,1,0]
	s_waitcnt lgkmcnt(0)
	v_pk_fma_f32 v[6:7], v[8:9], v[12:13], v[10:11] op_sel_hi:[0,1,1]
	v_addc_co_u32_e32 v3, vcc, v1, v3, vcc
	v_div_scale_f32 v1, s[42:43], v5, v5, v7
	v_rcp_f32_e32 v4, v1
	v_fma_f32 v8, -v1, v4, 1.0
	v_fmac_f32_e32 v4, v8, v4
	v_div_scale_f32 v8, vcc, v7, v5, v7
	v_mul_f32_e32 v9, v8, v4
	v_fma_f32 v10, -v1, v9, v8
	v_fmac_f32_e32 v9, v10, v4
	v_fma_f32 v1, -v1, v9, v8
	v_div_fmas_f32 v1, v1, v4, v9
	v_div_fixup_f32 v7, v1, v5, v7
	v_div_scale_f32 v1, s[42:43], v5, v5, v6
	v_rcp_f32_e32 v4, v1
	v_fma_f32 v8, -v1, v4, 1.0
	v_fmac_f32_e32 v4, v8, v4
	v_div_scale_f32 v8, vcc, v6, v5, v6
	v_mul_f32_e32 v9, v8, v4
	v_fma_f32 v10, -v1, v9, v8
	v_fmac_f32_e32 v9, v10, v4
	v_fma_f32 v1, -v1, v9, v8
	v_div_fmas_f32 v1, v1, v4, v9
	v_div_fixup_f32 v6, v1, v5, v6
	v_mov_b32_e32 v1, 0
	global_store_dwordx2 v[2:3], v[6:7], off
.LBB30_573:                             ;   in Loop: Header=BB30_16 Depth=1
	s_or_b64 exec, exec, s[30:31]
	s_movk_i32 s30, 0x47
	v_cmp_gt_i32_e32 vcc, s30, v1
	s_mov_b64 s[30:31], -1
	s_and_saveexec_b64 s[42:43], vcc
; %bb.574:                              ;   in Loop: Header=BB30_16 Depth=1
	v_cmp_eq_u32_e32 vcc, 0, v1
	s_orn2_b64 s[30:31], vcc, exec
; %bb.575:                              ;   in Loop: Header=BB30_16 Depth=1
	s_or_b64 exec, exec, s[42:43]
	s_and_b64 exec, exec, s[30:31]
	s_cbranch_execz .LBB30_14
; %bb.576:                              ;   in Loop: Header=BB30_16 Depth=1
	buffer_load_dword v1, off, s[0:3], 0 offset:328 ; 4-byte Folded Reload
	s_waitcnt vmcnt(0)
	v_add_u32_e32 v2, s80, v1
	v_cmp_gt_i32_e32 vcc, s84, v2
	v_mov_b32_e32 v1, 0x47
	s_and_saveexec_b64 s[30:31], vcc
	s_cbranch_execz .LBB30_578
; %bb.577:                              ;   in Loop: Header=BB30_16 Depth=1
	buffer_load_dword v1, off, s[0:3], 0 offset:332 ; 4-byte Folded Reload
	buffer_load_dword v3, off, s[0:3], 0 offset:336 ; 4-byte Folded Reload
	v_readlane_b32 s42, v255, 3
	s_waitcnt vmcnt(1)
	v_add_u32_e32 v1, 0, v1
	ds_read2_b32 v[4:5], v1 offset0:64 offset1:65
	s_waitcnt vmcnt(0)
	ds_read2st64_b32 v[6:7], v3 offset1:17
	ds_read_b32 v8, v1 offset:4608
	buffer_load_dword v10, off, s[0:3], 0 offset:104 ; 4-byte Folded Reload
	buffer_load_dword v11, off, s[0:3], 0 offset:108 ; 4-byte Folded Reload
	v_mov_b32_e32 v1, s67
	s_waitcnt lgkmcnt(1)
	v_cvt_f32_f16_sdwa v13, v7 dst_sel:DWORD dst_unused:UNUSED_PAD src0_sel:WORD_1
	v_cvt_f32_f16_e32 v12, v7
	s_waitcnt vmcnt(0)
	v_mad_u64_u32 v[2:3], s[42:43], v2, s42, v[10:11]
	v_cvt_f32_f16_sdwa v11, v6 dst_sel:DWORD dst_unused:UNUSED_PAD src0_sel:WORD_1
	v_cvt_f32_f16_e32 v10, v6
	v_ashrrev_i32_e32 v3, 31, v2
	v_lshlrev_b64 v[2:3], 3, v[2:3]
	v_add_co_u32_e32 v2, vcc, s66, v2
	v_pk_fma_f32 v[10:11], v[4:5], v[10:11], 0 op_sel_hi:[0,1,0]
	s_waitcnt lgkmcnt(0)
	v_pk_fma_f32 v[6:7], v[8:9], v[12:13], v[10:11] op_sel_hi:[0,1,1]
	v_addc_co_u32_e32 v3, vcc, v1, v3, vcc
	v_div_scale_f32 v1, s[42:43], v5, v5, v7
	v_rcp_f32_e32 v4, v1
	v_fma_f32 v8, -v1, v4, 1.0
	v_fmac_f32_e32 v4, v8, v4
	v_div_scale_f32 v8, vcc, v7, v5, v7
	v_mul_f32_e32 v9, v8, v4
	v_fma_f32 v10, -v1, v9, v8
	v_fmac_f32_e32 v9, v10, v4
	v_fma_f32 v1, -v1, v9, v8
	v_div_fmas_f32 v1, v1, v4, v9
	v_div_fixup_f32 v7, v1, v5, v7
	v_div_scale_f32 v1, s[42:43], v5, v5, v6
	v_rcp_f32_e32 v4, v1
	v_fma_f32 v8, -v1, v4, 1.0
	v_fmac_f32_e32 v4, v8, v4
	v_div_scale_f32 v8, vcc, v6, v5, v6
	v_mul_f32_e32 v9, v8, v4
	v_fma_f32 v10, -v1, v9, v8
	v_fmac_f32_e32 v9, v10, v4
	v_fma_f32 v1, -v1, v9, v8
	v_div_fmas_f32 v1, v1, v4, v9
	v_div_fixup_f32 v6, v1, v5, v6
	v_mov_b32_e32 v1, 0
	global_store_dwordx2 v[2:3], v[6:7], off
.LBB30_578:                             ;   in Loop: Header=BB30_16 Depth=1
	s_or_b64 exec, exec, s[30:31]
	s_movk_i32 s30, 0x47
	v_cmp_gt_i32_e32 vcc, s30, v1
	s_mov_b64 s[30:31], -1
	s_and_saveexec_b64 s[42:43], vcc
; %bb.579:                              ;   in Loop: Header=BB30_16 Depth=1
	v_cmp_eq_u32_e32 vcc, 0, v1
	s_orn2_b64 s[30:31], vcc, exec
; %bb.580:                              ;   in Loop: Header=BB30_16 Depth=1
	s_or_b64 exec, exec, s[42:43]
	s_and_b64 exec, exec, s[30:31]
	s_cbranch_execz .LBB30_14
; %bb.581:                              ;   in Loop: Header=BB30_16 Depth=1
	buffer_load_dword v1, off, s[0:3], 0 offset:340 ; 4-byte Folded Reload
	s_waitcnt vmcnt(0)
	v_add_u32_e32 v2, s80, v1
	v_cmp_gt_i32_e32 vcc, s84, v2
	v_mov_b32_e32 v1, 0x47
	s_and_saveexec_b64 s[30:31], vcc
	s_cbranch_execz .LBB30_583
; %bb.582:                              ;   in Loop: Header=BB30_16 Depth=1
	buffer_load_dword v1, off, s[0:3], 0 offset:344 ; 4-byte Folded Reload
	buffer_load_dword v3, off, s[0:3], 0 offset:348 ; 4-byte Folded Reload
	v_readlane_b32 s42, v255, 3
	s_waitcnt vmcnt(1)
	v_add_u32_e32 v1, 0, v1
	ds_read2_b32 v[4:5], v1 offset0:64 offset1:65
	s_waitcnt vmcnt(0)
	ds_read2st64_b32 v[6:7], v3 offset1:17
	ds_read_b32 v8, v1 offset:4608
	buffer_load_dword v10, off, s[0:3], 0 offset:104 ; 4-byte Folded Reload
	buffer_load_dword v11, off, s[0:3], 0 offset:108 ; 4-byte Folded Reload
	v_mov_b32_e32 v1, s67
	s_waitcnt lgkmcnt(1)
	v_cvt_f32_f16_sdwa v13, v7 dst_sel:DWORD dst_unused:UNUSED_PAD src0_sel:WORD_1
	v_cvt_f32_f16_e32 v12, v7
	s_waitcnt vmcnt(0)
	v_mad_u64_u32 v[2:3], s[42:43], v2, s42, v[10:11]
	v_cvt_f32_f16_sdwa v11, v6 dst_sel:DWORD dst_unused:UNUSED_PAD src0_sel:WORD_1
	v_cvt_f32_f16_e32 v10, v6
	v_ashrrev_i32_e32 v3, 31, v2
	v_lshlrev_b64 v[2:3], 3, v[2:3]
	v_add_co_u32_e32 v2, vcc, s66, v2
	v_pk_fma_f32 v[10:11], v[4:5], v[10:11], 0 op_sel_hi:[0,1,0]
	s_waitcnt lgkmcnt(0)
	v_pk_fma_f32 v[6:7], v[8:9], v[12:13], v[10:11] op_sel_hi:[0,1,1]
	v_addc_co_u32_e32 v3, vcc, v1, v3, vcc
	v_div_scale_f32 v1, s[42:43], v5, v5, v7
	v_rcp_f32_e32 v4, v1
	v_fma_f32 v8, -v1, v4, 1.0
	v_fmac_f32_e32 v4, v8, v4
	v_div_scale_f32 v8, vcc, v7, v5, v7
	v_mul_f32_e32 v9, v8, v4
	v_fma_f32 v10, -v1, v9, v8
	v_fmac_f32_e32 v9, v10, v4
	v_fma_f32 v1, -v1, v9, v8
	v_div_fmas_f32 v1, v1, v4, v9
	v_div_fixup_f32 v7, v1, v5, v7
	v_div_scale_f32 v1, s[42:43], v5, v5, v6
	v_rcp_f32_e32 v4, v1
	v_fma_f32 v8, -v1, v4, 1.0
	v_fmac_f32_e32 v4, v8, v4
	v_div_scale_f32 v8, vcc, v6, v5, v6
	v_mul_f32_e32 v9, v8, v4
	v_fma_f32 v10, -v1, v9, v8
	v_fmac_f32_e32 v9, v10, v4
	v_fma_f32 v1, -v1, v9, v8
	v_div_fmas_f32 v1, v1, v4, v9
	v_div_fixup_f32 v6, v1, v5, v6
	v_mov_b32_e32 v1, 0
	global_store_dwordx2 v[2:3], v[6:7], off
.LBB30_583:                             ;   in Loop: Header=BB30_16 Depth=1
	s_or_b64 exec, exec, s[30:31]
	s_movk_i32 s30, 0x47
	v_cmp_gt_i32_e32 vcc, s30, v1
	s_mov_b64 s[30:31], -1
	s_and_saveexec_b64 s[42:43], vcc
; %bb.584:                              ;   in Loop: Header=BB30_16 Depth=1
	v_cmp_eq_u32_e32 vcc, 0, v1
	s_orn2_b64 s[30:31], vcc, exec
; %bb.585:                              ;   in Loop: Header=BB30_16 Depth=1
	s_or_b64 exec, exec, s[42:43]
	s_and_b64 exec, exec, s[30:31]
	s_cbranch_execz .LBB30_14
; %bb.586:                              ;   in Loop: Header=BB30_16 Depth=1
	buffer_load_dword v1, off, s[0:3], 0 offset:352 ; 4-byte Folded Reload
	s_waitcnt vmcnt(0)
	v_add_u32_e32 v2, s80, v1
	v_cmp_gt_i32_e32 vcc, s84, v2
	v_mov_b32_e32 v1, 0x47
	s_and_saveexec_b64 s[30:31], vcc
	s_cbranch_execz .LBB30_588
; %bb.587:                              ;   in Loop: Header=BB30_16 Depth=1
	buffer_load_dword v1, off, s[0:3], 0 offset:356 ; 4-byte Folded Reload
	buffer_load_dword v3, off, s[0:3], 0 offset:360 ; 4-byte Folded Reload
	v_readlane_b32 s42, v255, 3
	s_waitcnt vmcnt(1)
	v_add_u32_e32 v1, 0, v1
	ds_read2_b32 v[4:5], v1 offset0:64 offset1:65
	s_waitcnt vmcnt(0)
	ds_read2st64_b32 v[6:7], v3 offset1:17
	ds_read_b32 v8, v1 offset:4608
	buffer_load_dword v10, off, s[0:3], 0 offset:104 ; 4-byte Folded Reload
	buffer_load_dword v11, off, s[0:3], 0 offset:108 ; 4-byte Folded Reload
	v_mov_b32_e32 v1, s67
	s_waitcnt lgkmcnt(1)
	v_cvt_f32_f16_sdwa v13, v7 dst_sel:DWORD dst_unused:UNUSED_PAD src0_sel:WORD_1
	v_cvt_f32_f16_e32 v12, v7
	s_waitcnt vmcnt(0)
	v_mad_u64_u32 v[2:3], s[42:43], v2, s42, v[10:11]
	v_cvt_f32_f16_sdwa v11, v6 dst_sel:DWORD dst_unused:UNUSED_PAD src0_sel:WORD_1
	v_cvt_f32_f16_e32 v10, v6
	v_ashrrev_i32_e32 v3, 31, v2
	v_lshlrev_b64 v[2:3], 3, v[2:3]
	v_add_co_u32_e32 v2, vcc, s66, v2
	v_pk_fma_f32 v[10:11], v[4:5], v[10:11], 0 op_sel_hi:[0,1,0]
	s_waitcnt lgkmcnt(0)
	v_pk_fma_f32 v[6:7], v[8:9], v[12:13], v[10:11] op_sel_hi:[0,1,1]
	v_addc_co_u32_e32 v3, vcc, v1, v3, vcc
	v_div_scale_f32 v1, s[42:43], v5, v5, v7
	v_rcp_f32_e32 v4, v1
	v_fma_f32 v8, -v1, v4, 1.0
	v_fmac_f32_e32 v4, v8, v4
	v_div_scale_f32 v8, vcc, v7, v5, v7
	v_mul_f32_e32 v9, v8, v4
	v_fma_f32 v10, -v1, v9, v8
	v_fmac_f32_e32 v9, v10, v4
	v_fma_f32 v1, -v1, v9, v8
	v_div_fmas_f32 v1, v1, v4, v9
	v_div_fixup_f32 v7, v1, v5, v7
	v_div_scale_f32 v1, s[42:43], v5, v5, v6
	v_rcp_f32_e32 v4, v1
	v_fma_f32 v8, -v1, v4, 1.0
	v_fmac_f32_e32 v4, v8, v4
	v_div_scale_f32 v8, vcc, v6, v5, v6
	v_mul_f32_e32 v9, v8, v4
	v_fma_f32 v10, -v1, v9, v8
	v_fmac_f32_e32 v9, v10, v4
	v_fma_f32 v1, -v1, v9, v8
	v_div_fmas_f32 v1, v1, v4, v9
	v_div_fixup_f32 v6, v1, v5, v6
	v_mov_b32_e32 v1, 0
	global_store_dwordx2 v[2:3], v[6:7], off
.LBB30_588:                             ;   in Loop: Header=BB30_16 Depth=1
	s_or_b64 exec, exec, s[30:31]
	s_movk_i32 s30, 0x47
	v_cmp_gt_i32_e32 vcc, s30, v1
	s_mov_b64 s[30:31], -1
	s_and_saveexec_b64 s[42:43], vcc
; %bb.589:                              ;   in Loop: Header=BB30_16 Depth=1
	v_cmp_eq_u32_e32 vcc, 0, v1
	s_orn2_b64 s[30:31], vcc, exec
; %bb.590:                              ;   in Loop: Header=BB30_16 Depth=1
	s_or_b64 exec, exec, s[42:43]
	s_and_b64 exec, exec, s[30:31]
	s_cbranch_execz .LBB30_14
; %bb.591:                              ;   in Loop: Header=BB30_16 Depth=1
	buffer_load_dword v1, off, s[0:3], 0 offset:364 ; 4-byte Folded Reload
	s_waitcnt vmcnt(0)
	v_add_u32_e32 v2, s80, v1
	v_cmp_gt_i32_e32 vcc, s84, v2
	v_mov_b32_e32 v1, 0x47
	s_and_saveexec_b64 s[30:31], vcc
	s_cbranch_execz .LBB30_593
; %bb.592:                              ;   in Loop: Header=BB30_16 Depth=1
	buffer_load_dword v1, off, s[0:3], 0 offset:368 ; 4-byte Folded Reload
	buffer_load_dword v3, off, s[0:3], 0 offset:372 ; 4-byte Folded Reload
	v_readlane_b32 s42, v255, 3
	s_waitcnt vmcnt(1)
	v_add_u32_e32 v1, 0, v1
	ds_read2_b32 v[4:5], v1 offset0:64 offset1:65
	s_waitcnt vmcnt(0)
	ds_read2st64_b32 v[6:7], v3 offset1:17
	ds_read_b32 v8, v1 offset:4608
	buffer_load_dword v10, off, s[0:3], 0 offset:104 ; 4-byte Folded Reload
	buffer_load_dword v11, off, s[0:3], 0 offset:108 ; 4-byte Folded Reload
	v_mov_b32_e32 v1, s67
	s_waitcnt lgkmcnt(1)
	v_cvt_f32_f16_sdwa v13, v7 dst_sel:DWORD dst_unused:UNUSED_PAD src0_sel:WORD_1
	v_cvt_f32_f16_e32 v12, v7
	s_waitcnt vmcnt(0)
	v_mad_u64_u32 v[2:3], s[42:43], v2, s42, v[10:11]
	v_cvt_f32_f16_sdwa v11, v6 dst_sel:DWORD dst_unused:UNUSED_PAD src0_sel:WORD_1
	v_cvt_f32_f16_e32 v10, v6
	v_ashrrev_i32_e32 v3, 31, v2
	v_lshlrev_b64 v[2:3], 3, v[2:3]
	v_add_co_u32_e32 v2, vcc, s66, v2
	v_pk_fma_f32 v[10:11], v[4:5], v[10:11], 0 op_sel_hi:[0,1,0]
	s_waitcnt lgkmcnt(0)
	v_pk_fma_f32 v[6:7], v[8:9], v[12:13], v[10:11] op_sel_hi:[0,1,1]
	v_addc_co_u32_e32 v3, vcc, v1, v3, vcc
	v_div_scale_f32 v1, s[42:43], v5, v5, v7
	v_rcp_f32_e32 v4, v1
	v_fma_f32 v8, -v1, v4, 1.0
	v_fmac_f32_e32 v4, v8, v4
	v_div_scale_f32 v8, vcc, v7, v5, v7
	v_mul_f32_e32 v9, v8, v4
	v_fma_f32 v10, -v1, v9, v8
	v_fmac_f32_e32 v9, v10, v4
	v_fma_f32 v1, -v1, v9, v8
	v_div_fmas_f32 v1, v1, v4, v9
	v_div_fixup_f32 v7, v1, v5, v7
	v_div_scale_f32 v1, s[42:43], v5, v5, v6
	v_rcp_f32_e32 v4, v1
	v_fma_f32 v8, -v1, v4, 1.0
	v_fmac_f32_e32 v4, v8, v4
	v_div_scale_f32 v8, vcc, v6, v5, v6
	v_mul_f32_e32 v9, v8, v4
	v_fma_f32 v10, -v1, v9, v8
	v_fmac_f32_e32 v9, v10, v4
	v_fma_f32 v1, -v1, v9, v8
	v_div_fmas_f32 v1, v1, v4, v9
	v_div_fixup_f32 v6, v1, v5, v6
	v_mov_b32_e32 v1, 0
	global_store_dwordx2 v[2:3], v[6:7], off
.LBB30_593:                             ;   in Loop: Header=BB30_16 Depth=1
	s_or_b64 exec, exec, s[30:31]
	s_movk_i32 s30, 0x47
	v_cmp_gt_i32_e32 vcc, s30, v1
	s_mov_b64 s[30:31], -1
	s_and_saveexec_b64 s[42:43], vcc
; %bb.594:                              ;   in Loop: Header=BB30_16 Depth=1
	v_cmp_eq_u32_e32 vcc, 0, v1
	s_orn2_b64 s[30:31], vcc, exec
; %bb.595:                              ;   in Loop: Header=BB30_16 Depth=1
	s_or_b64 exec, exec, s[42:43]
	s_and_b64 exec, exec, s[30:31]
	s_cbranch_execz .LBB30_14
; %bb.596:                              ;   in Loop: Header=BB30_16 Depth=1
	buffer_load_dword v1, off, s[0:3], 0 offset:376 ; 4-byte Folded Reload
	s_waitcnt vmcnt(0)
	v_add_u32_e32 v2, s80, v1
	v_cmp_gt_i32_e32 vcc, s84, v2
	v_mov_b32_e32 v1, 0x47
	s_and_saveexec_b64 s[30:31], vcc
	s_cbranch_execz .LBB30_598
; %bb.597:                              ;   in Loop: Header=BB30_16 Depth=1
	buffer_load_dword v1, off, s[0:3], 0 offset:380 ; 4-byte Folded Reload
	buffer_load_dword v3, off, s[0:3], 0 offset:384 ; 4-byte Folded Reload
	v_readlane_b32 s42, v255, 3
	s_waitcnt vmcnt(1)
	v_add_u32_e32 v1, 0, v1
	ds_read2_b32 v[4:5], v1 offset0:64 offset1:65
	s_waitcnt vmcnt(0)
	ds_read2st64_b32 v[6:7], v3 offset1:17
	ds_read_b32 v8, v1 offset:4608
	buffer_load_dword v10, off, s[0:3], 0 offset:104 ; 4-byte Folded Reload
	buffer_load_dword v11, off, s[0:3], 0 offset:108 ; 4-byte Folded Reload
	v_mov_b32_e32 v1, s67
	s_waitcnt lgkmcnt(1)
	v_cvt_f32_f16_sdwa v13, v7 dst_sel:DWORD dst_unused:UNUSED_PAD src0_sel:WORD_1
	v_cvt_f32_f16_e32 v12, v7
	s_waitcnt vmcnt(0)
	v_mad_u64_u32 v[2:3], s[42:43], v2, s42, v[10:11]
	v_cvt_f32_f16_sdwa v11, v6 dst_sel:DWORD dst_unused:UNUSED_PAD src0_sel:WORD_1
	v_cvt_f32_f16_e32 v10, v6
	v_ashrrev_i32_e32 v3, 31, v2
	v_lshlrev_b64 v[2:3], 3, v[2:3]
	v_add_co_u32_e32 v2, vcc, s66, v2
	v_pk_fma_f32 v[10:11], v[4:5], v[10:11], 0 op_sel_hi:[0,1,0]
	s_waitcnt lgkmcnt(0)
	v_pk_fma_f32 v[6:7], v[8:9], v[12:13], v[10:11] op_sel_hi:[0,1,1]
	v_addc_co_u32_e32 v3, vcc, v1, v3, vcc
	v_div_scale_f32 v1, s[42:43], v5, v5, v7
	v_rcp_f32_e32 v4, v1
	v_fma_f32 v8, -v1, v4, 1.0
	v_fmac_f32_e32 v4, v8, v4
	v_div_scale_f32 v8, vcc, v7, v5, v7
	v_mul_f32_e32 v9, v8, v4
	v_fma_f32 v10, -v1, v9, v8
	v_fmac_f32_e32 v9, v10, v4
	v_fma_f32 v1, -v1, v9, v8
	v_div_fmas_f32 v1, v1, v4, v9
	v_div_fixup_f32 v7, v1, v5, v7
	v_div_scale_f32 v1, s[42:43], v5, v5, v6
	v_rcp_f32_e32 v4, v1
	v_fma_f32 v8, -v1, v4, 1.0
	v_fmac_f32_e32 v4, v8, v4
	v_div_scale_f32 v8, vcc, v6, v5, v6
	v_mul_f32_e32 v9, v8, v4
	v_fma_f32 v10, -v1, v9, v8
	v_fmac_f32_e32 v9, v10, v4
	v_fma_f32 v1, -v1, v9, v8
	v_div_fmas_f32 v1, v1, v4, v9
	v_div_fixup_f32 v6, v1, v5, v6
	v_mov_b32_e32 v1, 0
	global_store_dwordx2 v[2:3], v[6:7], off
.LBB30_598:                             ;   in Loop: Header=BB30_16 Depth=1
	s_or_b64 exec, exec, s[30:31]
	s_movk_i32 s30, 0x47
	v_cmp_gt_i32_e32 vcc, s30, v1
	s_mov_b64 s[30:31], -1
	s_and_saveexec_b64 s[42:43], vcc
; %bb.599:                              ;   in Loop: Header=BB30_16 Depth=1
	v_cmp_eq_u32_e32 vcc, 0, v1
	s_orn2_b64 s[30:31], vcc, exec
; %bb.600:                              ;   in Loop: Header=BB30_16 Depth=1
	s_or_b64 exec, exec, s[42:43]
	s_and_b64 exec, exec, s[30:31]
	s_cbranch_execz .LBB30_14
; %bb.601:                              ;   in Loop: Header=BB30_16 Depth=1
	buffer_load_dword v1, off, s[0:3], 0 offset:388 ; 4-byte Folded Reload
	s_waitcnt vmcnt(0)
	v_add_u32_e32 v2, s80, v1
	v_cmp_gt_i32_e32 vcc, s84, v2
	v_mov_b32_e32 v1, 0x47
	s_and_saveexec_b64 s[30:31], vcc
	s_cbranch_execz .LBB30_603
; %bb.602:                              ;   in Loop: Header=BB30_16 Depth=1
	buffer_load_dword v1, off, s[0:3], 0 offset:392 ; 4-byte Folded Reload
	buffer_load_dword v3, off, s[0:3], 0 offset:396 ; 4-byte Folded Reload
	v_readlane_b32 s42, v255, 3
	s_waitcnt vmcnt(1)
	v_add_u32_e32 v1, 0, v1
	ds_read2_b32 v[4:5], v1 offset0:64 offset1:65
	s_waitcnt vmcnt(0)
	ds_read2st64_b32 v[6:7], v3 offset1:17
	ds_read_b32 v8, v1 offset:4608
	buffer_load_dword v10, off, s[0:3], 0 offset:104 ; 4-byte Folded Reload
	buffer_load_dword v11, off, s[0:3], 0 offset:108 ; 4-byte Folded Reload
	v_mov_b32_e32 v1, s67
	s_waitcnt lgkmcnt(1)
	v_cvt_f32_f16_sdwa v13, v7 dst_sel:DWORD dst_unused:UNUSED_PAD src0_sel:WORD_1
	v_cvt_f32_f16_e32 v12, v7
	s_waitcnt vmcnt(0)
	v_mad_u64_u32 v[2:3], s[42:43], v2, s42, v[10:11]
	v_cvt_f32_f16_sdwa v11, v6 dst_sel:DWORD dst_unused:UNUSED_PAD src0_sel:WORD_1
	v_cvt_f32_f16_e32 v10, v6
	v_ashrrev_i32_e32 v3, 31, v2
	v_lshlrev_b64 v[2:3], 3, v[2:3]
	v_add_co_u32_e32 v2, vcc, s66, v2
	v_pk_fma_f32 v[10:11], v[4:5], v[10:11], 0 op_sel_hi:[0,1,0]
	s_waitcnt lgkmcnt(0)
	v_pk_fma_f32 v[6:7], v[8:9], v[12:13], v[10:11] op_sel_hi:[0,1,1]
	v_addc_co_u32_e32 v3, vcc, v1, v3, vcc
	v_div_scale_f32 v1, s[42:43], v5, v5, v7
	v_rcp_f32_e32 v4, v1
	v_fma_f32 v8, -v1, v4, 1.0
	v_fmac_f32_e32 v4, v8, v4
	v_div_scale_f32 v8, vcc, v7, v5, v7
	v_mul_f32_e32 v9, v8, v4
	v_fma_f32 v10, -v1, v9, v8
	v_fmac_f32_e32 v9, v10, v4
	v_fma_f32 v1, -v1, v9, v8
	v_div_fmas_f32 v1, v1, v4, v9
	v_div_fixup_f32 v7, v1, v5, v7
	v_div_scale_f32 v1, s[42:43], v5, v5, v6
	v_rcp_f32_e32 v4, v1
	v_fma_f32 v8, -v1, v4, 1.0
	v_fmac_f32_e32 v4, v8, v4
	v_div_scale_f32 v8, vcc, v6, v5, v6
	v_mul_f32_e32 v9, v8, v4
	v_fma_f32 v10, -v1, v9, v8
	v_fmac_f32_e32 v9, v10, v4
	v_fma_f32 v1, -v1, v9, v8
	v_div_fmas_f32 v1, v1, v4, v9
	v_div_fixup_f32 v6, v1, v5, v6
	v_mov_b32_e32 v1, 0
	global_store_dwordx2 v[2:3], v[6:7], off
.LBB30_603:                             ;   in Loop: Header=BB30_16 Depth=1
	s_or_b64 exec, exec, s[30:31]
	s_movk_i32 s30, 0x47
	v_cmp_gt_i32_e32 vcc, s30, v1
	s_mov_b64 s[30:31], -1
	s_and_saveexec_b64 s[42:43], vcc
; %bb.604:                              ;   in Loop: Header=BB30_16 Depth=1
	v_cmp_eq_u32_e32 vcc, 0, v1
	s_orn2_b64 s[30:31], vcc, exec
; %bb.605:                              ;   in Loop: Header=BB30_16 Depth=1
	s_or_b64 exec, exec, s[42:43]
	s_and_b64 exec, exec, s[30:31]
	s_cbranch_execz .LBB30_14
; %bb.606:                              ;   in Loop: Header=BB30_16 Depth=1
	buffer_load_dword v1, off, s[0:3], 0 offset:400 ; 4-byte Folded Reload
	s_waitcnt vmcnt(0)
	v_add_u32_e32 v1, s80, v1
	v_cmp_gt_i32_e32 vcc, s84, v1
	s_and_b64 exec, exec, vcc
	s_cbranch_execz .LBB30_14
; %bb.607:                              ;   in Loop: Header=BB30_16 Depth=1
	buffer_load_dword v2, off, s[0:3], 0 offset:404 ; 4-byte Folded Reload
	buffer_load_dword v4, off, s[0:3], 0 offset:408 ; 4-byte Folded Reload
	v_readlane_b32 s30, v255, 3
	s_waitcnt vmcnt(1)
	v_add_u32_e32 v6, 0, v2
	ds_read2_b32 v[2:3], v6 offset0:64 offset1:65
	s_waitcnt vmcnt(0)
	ds_read2st64_b32 v[4:5], v4 offset1:17
	ds_read_b32 v6, v6 offset:4608
	buffer_load_dword v8, off, s[0:3], 0 offset:104 ; 4-byte Folded Reload
	buffer_load_dword v9, off, s[0:3], 0 offset:108 ; 4-byte Folded Reload
	s_waitcnt lgkmcnt(1)
	v_cvt_f32_f16_sdwa v11, v4 dst_sel:DWORD dst_unused:UNUSED_PAD src0_sel:WORD_1
	v_cvt_f32_f16_e32 v10, v4
	v_cvt_f32_f16_sdwa v13, v5 dst_sel:DWORD dst_unused:UNUSED_PAD src0_sel:WORD_1
	v_cvt_f32_f16_e32 v12, v5
	v_pk_fma_f32 v[10:11], v[2:3], v[10:11], 0 op_sel_hi:[0,1,0]
	s_waitcnt lgkmcnt(0)
	v_pk_fma_f32 v[4:5], v[6:7], v[12:13], v[10:11] op_sel_hi:[0,1,1]
	s_waitcnt vmcnt(0)
	v_mad_u64_u32 v[8:9], s[30:31], v1, s30, v[8:9]
	v_ashrrev_i32_e32 v9, 31, v8
	v_lshlrev_b64 v[8:9], 3, v[8:9]
	v_add_co_u32_e32 v8, vcc, s66, v8
	v_mov_b32_e32 v1, s67
	v_addc_co_u32_e32 v9, vcc, v1, v9, vcc
	v_div_scale_f32 v1, s[30:31], v3, v3, v5
	v_rcp_f32_e32 v2, v1
	v_fma_f32 v6, -v1, v2, 1.0
	v_fmac_f32_e32 v2, v6, v2
	v_div_scale_f32 v6, vcc, v5, v3, v5
	v_mul_f32_e32 v7, v6, v2
	v_fma_f32 v10, -v1, v7, v6
	v_fmac_f32_e32 v7, v10, v2
	v_fma_f32 v1, -v1, v7, v6
	v_div_fmas_f32 v1, v1, v2, v7
	v_div_fixup_f32 v5, v1, v3, v5
	v_div_scale_f32 v1, s[30:31], v3, v3, v4
	v_rcp_f32_e32 v2, v1
	v_fma_f32 v6, -v1, v2, 1.0
	v_fmac_f32_e32 v2, v6, v2
	v_div_scale_f32 v6, vcc, v4, v3, v4
	v_mul_f32_e32 v7, v6, v2
	v_fma_f32 v10, -v1, v7, v6
	v_fmac_f32_e32 v7, v10, v2
	v_fma_f32 v1, -v1, v7, v6
	v_div_fmas_f32 v1, v1, v2, v7
	v_div_fixup_f32 v4, v1, v3, v4
	global_store_dwordx2 v[8:9], v[4:5], off
	s_branch .LBB30_14
.LBB30_608:                             ;   in Loop: Header=BB30_16 Depth=1
                                        ; implicit-def: $vgpr6_vgpr7_vgpr8_vgpr9
                                        ; implicit-def: $vgpr2_vgpr3_vgpr4_vgpr5
	s_branch .LBB30_148
.LBB30_609:                             ;   in Loop: Header=BB30_16 Depth=1
                                        ; implicit-def: $vgpr6_vgpr7_vgpr8_vgpr9
                                        ; implicit-def: $vgpr2_vgpr3_vgpr4_vgpr5
	s_branch .LBB30_441
.LBB30_610:
	buffer_load_dword v250, off, s[0:3], 0 offset:272 ; 4-byte Folded Reload
	buffer_load_dword v251, off, s[0:3], 0 offset:276 ; 4-byte Folded Reload
	;; [unrolled: 1-line block ×3, first 2 shown]
	v_readlane_b32 s80, v254, 42
	v_readlane_b32 s40, v254, 50
	;; [unrolled: 1-line block ×12, first 2 shown]
	s_andn2_b64 vcc, exec, s[30:31]
	s_cbranch_vccnz .LBB30_12
.LBB30_611:
	v_readlane_b32 s10, v254, 7
	s_abs_i32 s4, s10
	v_cvt_f32_u32_e32 v0, s4
	s_sub_i32 s7, 0, s4
	s_abs_i32 s6, s98
	s_xor_b32 s5, s98, s10
	v_rcp_iflag_f32_e32 v0, v0
	s_ashr_i32 s5, s5, 31
	v_readlane_b32 s12, v254, 6
	v_readlane_b32 s13, v254, 3
	v_mul_f32_e32 v0, 0x4f7ffffe, v0
	v_cvt_u32_f32_e32 v0, v0
	v_readlane_b32 s16, v254, 26
	v_readlane_b32 s22, v254, 32
	;; [unrolled: 1-line block ×3, first 2 shown]
	v_readfirstlane_b32 s8, v0
	s_mul_i32 s7, s7, s8
	s_mul_hi_u32 s7, s8, s7
	s_add_i32 s8, s8, s7
	s_mul_hi_u32 s7, s6, s8
	s_mul_i32 s8, s7, s4
	s_sub_i32 s6, s6, s8
	s_add_i32 s9, s7, 1
	s_sub_i32 s8, s6, s4
	s_cmp_ge_u32 s6, s4
	s_cselect_b32 s7, s9, s7
	s_cselect_b32 s6, s8, s6
	s_add_i32 s8, s7, 1
	s_cmp_ge_u32 s6, s4
	s_cselect_b32 s4, s8, s7
	s_abs_i32 s6, s12
	v_cvt_f32_u32_e32 v0, s6
	s_xor_b32 s4, s4, s5
	s_sub_i32 s8, s4, s5
	s_sub_i32 s7, 0, s6
	v_rcp_iflag_f32_e32 v0, v0
	s_mul_i32 s4, s8, s10
	s_sub_i32 s4, s98, s4
	s_abs_i32 s9, s4
	v_mul_f32_e32 v0, 0x4f7ffffe, v0
	v_cvt_u32_f32_e32 v0, v0
	s_xor_b32 s5, s4, s12
	s_ashr_i32 s5, s5, 31
	s_mov_b64 s[34:35], 0
	v_readfirstlane_b32 s10, v0
	s_mul_i32 s7, s7, s10
	s_mul_hi_u32 s7, s10, s7
	s_add_i32 s10, s10, s7
	s_mul_hi_u32 s7, s9, s10
	s_mul_i32 s10, s7, s6
	s_sub_i32 s9, s9, s10
	s_add_i32 s11, s7, 1
	s_sub_i32 s10, s9, s6
	s_cmp_ge_u32 s9, s6
	s_cselect_b32 s7, s11, s7
	s_cselect_b32 s9, s10, s9
	s_add_i32 s10, s7, 1
	s_cmp_ge_u32 s9, s6
	s_cselect_b32 s6, s10, s7
	s_abs_i32 s7, s13
	v_cvt_f32_u32_e32 v0, s7
	s_xor_b32 s6, s6, s5
	s_sub_i32 s10, 0, s7
	s_sub_i32 s9, s6, s5
	v_rcp_iflag_f32_e32 v0, v0
	s_mul_i32 s5, s9, s12
	s_sub_i32 s5, s4, s5
	s_abs_i32 s6, s5
	v_mul_f32_e32 v0, 0x4f7ffffe, v0
	v_cvt_u32_f32_e32 v0, v0
	s_xor_b32 s4, s5, s13
	s_ashr_i32 s4, s4, 31
	v_readlane_b32 s17, v254, 27
	v_readfirstlane_b32 s11, v0
	s_mul_i32 s10, s10, s11
	s_mul_hi_u32 s10, s11, s10
	s_add_i32 s11, s11, s10
	s_mul_hi_u32 s10, s6, s11
	s_mul_i32 s11, s10, s7
	s_sub_i32 s6, s6, s11
	s_add_i32 s12, s10, 1
	s_sub_i32 s11, s6, s7
	s_cmp_ge_u32 s6, s7
	s_cselect_b32 s10, s12, s10
	s_cselect_b32 s6, s11, s6
	s_add_i32 s11, s10, 1
	s_cmp_ge_u32 s6, s7
	s_cselect_b32 s6, s11, s10
	s_xor_b32 s6, s6, s4
	s_sub_i32 s4, s6, s4
	s_mul_i32 s6, s4, s13
	s_sub_i32 s5, s5, s6
	s_abs_i32 s14, s5
	s_ashr_i32 s12, s8, 31
	s_mul_hi_u32 s13, s14, s51
	s_cmp_eq_u64 s[22:23], 0
	v_readlane_b32 s18, v254, 28
	v_readlane_b32 s19, v254, 29
	;; [unrolled: 1-line block ×12, first 2 shown]
	s_cbranch_scc1 .LBB30_613
; %bb.612:
	s_abs_i32 s6, s44
	v_cvt_f32_u32_e32 v0, s6
	s_sub_i32 s10, 0, s6
	s_abs_i32 s7, s8
	v_readlane_b32 s16, v254, 16
	v_rcp_iflag_f32_e32 v0, v0
	v_readlane_b32 s17, v254, 17
	v_mul_f32_e32 v0, 0x4f7ffffe, v0
	v_cvt_u32_f32_e32 v0, v0
	v_readfirstlane_b32 s11, v0
	s_mul_i32 s10, s10, s11
	s_mul_hi_u32 s10, s11, s10
	s_add_i32 s11, s11, s10
	s_mul_hi_u32 s10, s7, s11
	s_mul_i32 s10, s10, s6
	s_sub_i32 s7, s7, s10
	s_sub_i32 s10, s7, s6
	s_cmp_ge_u32 s7, s6
	s_cselect_b32 s7, s10, s7
	s_sub_i32 s10, s7, s6
	s_cmp_ge_u32 s7, s6
	s_cselect_b32 s6, s10, s7
	s_xor_b32 s6, s6, s12
	s_sub_i32 s6, s6, s12
	s_ashr_i32 s7, s6, 31
	s_mul_i32 s10, s6, s17
	s_mul_hi_u32 s11, s6, s16
	s_add_i32 s10, s11, s10
	s_mul_i32 s7, s7, s16
	s_add_i32 s10, s10, s7
	s_mul_i32 s6, s6, s16
	s_add_u32 s34, s22, s6
	s_addc_u32 s35, s23, s10
.LBB30_613:
	s_ashr_i32 s16, s5, 31
	v_readlane_b32 s5, v254, 2
	s_mul_i32 s15, s9, s5
	s_add_i32 s15, s15, s4
	v_cmp_le_f32_e64 s[4:5], s41, 0
	s_and_b64 vcc, exec, s[4:5]
	v_mov_b32_e32 v48, 1.0
	s_cbranch_vccnz .LBB30_615
; %bb.614:
	s_sub_i32 s4, s15, s96
	s_lshl_b32 s4, s4, 1
	s_add_i32 s6, s15, 1
	s_or_b32 s7, s4, 1
	s_cmp_lt_u32 s15, s96
	s_cselect_b64 vcc, -1, 0
	s_and_b64 s[4:5], vcc, exec
	v_mov_b32_e32 v0, s43
	v_mov_b32_e32 v1, s42
	s_cselect_b32 s4, s6, s7
	v_cndmask_b32_e32 v16, v0, v1, vcc
	v_cvt_f32_i32_e32 v0, s4
	v_cmp_neq_f32_e32 vcc, 1.0, v16
	s_mov_b32 s4, 0x3f2aaaab
	s_movk_i32 s6, 0x204
	v_cndmask_b32_e32 v17, 1.0, v0, vcc
	v_cmp_eq_f32_e32 vcc, 0, v17
	v_cndmask_b32_e64 v18, |v16|, 1.0, vcc
	v_frexp_mant_f32_e32 v0, v18
	v_cmp_gt_f32_e64 s[4:5], s4, v0
	v_cndmask_b32_e64 v1, 1.0, 2.0, s[4:5]
	v_mul_f32_e32 v0, v0, v1
	v_add_f32_e32 v3, 1.0, v0
	v_rcp_f32_e32 v8, v3
	v_add_f32_e32 v1, -1.0, v3
	v_sub_f32_e32 v5, v0, v1
	v_add_f32_e32 v1, -1.0, v0
	v_mul_f32_e32 v9, v1, v8
	v_mul_f32_e32 v2, v3, v9
	v_fma_f32 v4, v9, v3, -v2
	v_fmac_f32_e32 v4, v9, v5
	v_add_f32_e32 v0, v2, v4
	v_sub_f32_e32 v3, v1, v0
	v_pk_add_f32 v[6:7], v[0:1], v[2:3] neg_lo:[0,1] neg_hi:[0,1]
	v_mov_b32_e32 v5, v0
	v_pk_add_f32 v[0:1], v[6:7], v[4:5] neg_lo:[0,1] neg_hi:[0,1]
	v_add_f32_e32 v0, v0, v1
	v_add_f32_e32 v0, v3, v0
	v_mul_f32_e32 v1, v8, v0
	v_add_f32_e32 v0, v9, v1
	v_sub_f32_e32 v2, v0, v9
	v_sub_f32_e32 v10, v1, v2
	v_mul_f32_e32 v1, v0, v0
	v_fma_f32 v3, v0, v0, -v1
	v_add_f32_e32 v2, v10, v10
	v_fmac_f32_e32 v3, v0, v2
	v_add_f32_e32 v2, v1, v3
	v_mov_b32_e32 v4, 0x3e91f4c4
	v_fmac_f32_e32 v4, 0x3e76c4e1, v2
	v_mov_b32_e32 v5, 0x3ecccdef
	v_fmac_f32_e32 v5, v2, v4
	v_sub_f32_e32 v1, v2, v1
	v_sub_f32_e32 v11, v3, v1
	v_mul_f32_e32 v1, v2, v5
	v_fma_f32 v3, v2, v5, -v1
	v_fmac_f32_e32 v3, v11, v5
	v_add_f32_e32 v4, v1, v3
	v_add_f32_e32 v5, 0x3f2aaaaa, v4
	v_sub_f32_e32 v1, v4, v1
	v_sub_f32_e32 v1, v3, v1
	v_add_f32_e32 v3, 0xbf2aaaaa, v5
	v_add_f32_e32 v1, 0x31739010, v1
	v_sub_f32_e32 v3, v4, v3
	v_pk_mul_f32 v[6:7], v[0:1], v[2:3]
	v_fma_f32 v4, v2, v0, -v6
	v_pk_add_f32 v[8:9], v[0:1], v[2:3]
	v_fmac_f32_e32 v4, v2, v10
	v_mov_b32_e32 v7, v9
	v_fmac_f32_e32 v4, v11, v0
	v_pk_add_f32 v[2:3], v[6:7], v[4:5]
	v_sub_f32_e32 v1, v2, v6
	v_sub_f32_e32 v1, v4, v1
	;; [unrolled: 1-line block ×3, first 2 shown]
	v_add_f32_e32 v7, v9, v4
	v_mov_b32_e32 v4, v3
	v_pk_mul_f32 v[4:5], v[2:3], v[4:5]
	v_cvt_f64_f32_e32 v[8:9], v18
	v_frexp_exp_i32_f64_e32 v5, v[8:9]
	v_subbrev_co_u32_e64 v5, s[4:5], 0, v5, s[4:5]
	v_cvt_f32_i32_e32 v5, v5
	v_fma_f32 v6, v2, v3, -v4
	v_fmac_f32_e32 v6, v2, v7
	s_mov_b32 s4, 0x3f317218
	v_mul_f32_e32 v2, 0x3f317218, v5
	v_fmac_f32_e32 v6, v1, v3
	v_fma_f32 v8, v5, s4, -v2
	v_fmac_f32_e32 v8, 0xb102e308, v5
	v_ldexp_f32 v9, v0, 1
	v_add_f32_e32 v3, v4, v6
	v_pk_add_f32 v[0:1], v[2:3], v[8:9]
	v_ldexp_f32 v12, v10, 1
	v_mov_b32_e32 v10, v3
	v_mov_b32_e32 v11, v1
	;; [unrolled: 1-line block ×3, first 2 shown]
	v_pk_add_f32 v[4:5], v[10:11], v[4:5] neg_lo:[0,1] neg_hi:[0,1]
	v_mov_b32_e32 v7, v3
	v_pk_add_f32 v[4:5], v[6:7], v[4:5] neg_lo:[0,1] neg_hi:[0,1]
	v_add_f32_e32 v3, v12, v4
	v_add_f32_e32 v3, v3, v5
	v_pk_add_f32 v[4:5], v[0:1], v[2:3] neg_lo:[0,1] neg_hi:[0,1]
	v_pk_add_f32 v[6:7], v[0:1], v[2:3]
	v_mov_b32_e32 v10, v4
	v_mov_b32_e32 v11, v7
	;; [unrolled: 1-line block ×3, first 2 shown]
	v_pk_add_f32 v[10:11], v[8:9], v[10:11]
	v_mov_b32_e32 v2, v11
	v_pk_add_f32 v[12:13], v[2:3], v[0:1] neg_lo:[0,1] neg_hi:[0,1]
	v_mov_b32_e32 v13, v12
	v_mov_b32_e32 v10, v7
	;; [unrolled: 1-line block ×4, first 2 shown]
	v_pk_add_f32 v[4:5], v[8:9], v[4:5] neg_lo:[0,1] neg_hi:[0,1]
	v_pk_add_f32 v[14:15], v[6:7], v[12:13] neg_lo:[0,1] neg_hi:[0,1]
	;; [unrolled: 1-line block ×3, first 2 shown]
	v_mov_b32_e32 v8, v3
	v_pk_add_f32 v[0:1], v[8:9], v[0:1] neg_lo:[0,1] neg_hi:[0,1]
	v_mov_b32_e32 v14, v4
	v_pk_add_f32 v[6:7], v[14:15], v[0:1]
	v_mov_b32_e32 v8, v7
	v_pk_add_f32 v[8:9], v[6:7], v[8:9]
	v_pk_add_f32 v[2:3], v[2:3], v[8:9]
	v_mov_b32_e32 v5, v11
	v_mov_b32_e32 v7, v2
	v_pk_add_f32 v[10:11], v[6:7], v[4:5] neg_lo:[0,1] neg_hi:[0,1]
	v_mov_b32_e32 v1, v8
	v_sub_f32_e32 v3, v6, v10
	v_pk_add_f32 v[0:1], v[0:1], v[10:11] neg_lo:[0,1] neg_hi:[0,1]
	v_sub_f32_e32 v3, v4, v3
	v_add_f32_e32 v0, v0, v3
	v_add_f32_e32 v0, v0, v1
	;; [unrolled: 1-line block ×3, first 2 shown]
	v_sub_f32_e32 v2, v1, v2
	v_sub_f32_e32 v0, v0, v2
	v_mul_f32_e32 v2, v17, v1
	v_fma_f32 v1, v17, v1, -v2
	v_fmac_f32_e32 v1, v17, v0
	v_add_f32_e32 v0, v2, v1
	v_cmp_class_f32_e64 s[4:5], v2, s6
	v_sub_f32_e32 v3, v0, v2
	v_cndmask_b32_e64 v0, v0, v2, s[4:5]
	s_mov_b32 s10, 0x42b17218
	v_mov_b32_e32 v2, 0x37000000
	v_cmp_eq_f32_e64 s[4:5], s10, v0
	v_cndmask_b32_e64 v2, 0, v2, s[4:5]
	v_sub_f32_e32 v1, v1, v3
	v_sub_f32_e32 v3, v0, v2
	s_mov_b32 s4, 0x3fb8aa3b
	v_mul_f32_e32 v4, 0x3fb8aa3b, v3
	v_fma_f32 v5, v3, s4, -v4
	v_rndne_f32_e32 v6, v4
	v_fmac_f32_e32 v5, 0x32a5705f, v3
	v_sub_f32_e32 v4, v4, v6
	v_add_f32_e32 v4, v4, v5
	v_exp_f32_e32 v4, v4
	v_cvt_i32_f32_e32 v5, v6
	s_mov_b32 s7, 0x7f800000
	v_cmp_neq_f32_e64 s[4:5], |v0|, s7
	v_cndmask_b32_e64 v0, 0, v1, s[4:5]
	s_mov_b32 s4, 0xc2ce8ed0
	v_ldexp_f32 v1, v4, v5
	v_cmp_ngt_f32_e64 s[4:5], s4, v3
	v_add_f32_e32 v0, v2, v0
	v_cndmask_b32_e64 v1, 0, v1, s[4:5]
	v_mov_b32_e32 v2, 0x7f800000
	v_cmp_nlt_f32_e64 s[4:5], s10, v3
	v_cndmask_b32_e64 v1, v2, v1, s[4:5]
	v_fma_f32 v0, v1, v0, v1
	v_cmp_class_f32_e64 s[4:5], v1, s6
	v_trunc_f32_e32 v3, v17
	v_cndmask_b32_e64 v0, v0, v1, s[4:5]
	v_cndmask_b32_e64 v1, v16, 1.0, vcc
	v_cmp_eq_f32_e32 vcc, v3, v17
	v_mul_f32_e32 v3, 0.5, v17
	v_trunc_f32_e32 v5, v3
	v_cmp_neq_f32_e64 s[4:5], v5, v3
	s_and_b64 s[4:5], vcc, s[4:5]
	v_cndmask_b32_e64 v3, 1.0, v1, s[4:5]
	s_brev_b32 s17, -2
	v_mov_b32_e32 v4, 0x7fc00000
	v_bfi_b32 v0, s17, v0, v3
	v_cndmask_b32_e32 v3, v4, v0, vcc
	v_cmp_gt_f32_e32 vcc, 0, v1
	v_cndmask_b32_e32 v0, v0, v3, vcc
	v_cmp_eq_f32_e32 vcc, s7, v18
	v_cmp_eq_f32_e64 s[6:7], 0, v1
	v_cmp_gt_f32_e64 s[10:11], 0, v17
	s_xor_b64 s[10:11], s[10:11], s[6:7]
	v_cndmask_b32_e64 v2, v2, 0, s[10:11]
	v_cndmask_b32_e64 v3, 0, v1, s[4:5]
	v_bfi_b32 v2, s17, v2, v3
	s_or_b64 vcc, vcc, s[6:7]
	v_cndmask_b32_e32 v0, v0, v2, vcc
	v_cmp_o_f32_e32 vcc, v1, v1
	v_cndmask_b32_e32 v48, v4, v0, vcc
.LBB30_615:
	s_mul_i32 s5, s13, s33
	v_readlane_b32 s4, v254, 25
	s_sub_i32 s5, s14, s5
	s_xor_b32 s4, s16, s4
	s_add_i32 s6, s13, 1
	s_sub_i32 s7, s5, s33
	s_cmp_ge_u32 s5, s33
	s_cselect_b32 s6, s6, s13
	s_cselect_b32 s5, s7, s5
	s_add_i32 s7, s6, 1
	s_cmp_ge_u32 s5, s33
	s_cselect_b32 s5, s7, s6
	s_xor_b32 s5, s5, s4
	v_readlane_b32 s16, v254, 26
	s_sub_i32 s4, s5, s4
	v_readlane_b32 s26, v254, 36
	v_readlane_b32 s27, v254, 37
	;; [unrolled: 1-line block ×7, first 2 shown]
	s_cmp_eq_u64 s[26:27], 0
	v_mov_b32_e32 v32, s79
	v_readlane_b32 s22, v254, 32
	v_readlane_b32 s23, v254, 33
	;; [unrolled: 1-line block ×8, first 2 shown]
	s_cbranch_scc1 .LBB30_617
; %bb.616:
	v_readlane_b32 s5, v254, 0
	s_mul_i32 s5, s8, s5
	s_add_i32 s6, s4, s5
	s_ashr_i32 s7, s6, 31
	s_lshl_b64 s[6:7], s[6:7], 2
	s_add_u32 s6, s26, s6
	s_addc_u32 s7, s27, s7
	v_mov_b32_e32 v0, 0
	global_load_dword v0, v0, s[6:7]
	s_waitcnt vmcnt(0)
	v_ashrrev_i32_e32 v1, 31, v0
	v_lshrrev_b32_e32 v1, 26, v1
	v_add_u32_e32 v0, v0, v1
	v_ashrrev_i32_e32 v0, 6, v0
	v_min_i32_e32 v32, s79, v0
.LBB30_617:
	v_readlane_b32 s10, v254, 8
	v_readlane_b32 s11, v254, 9
	s_mul_i32 s5, s8, s11
	s_ashr_i32 s6, s5, 31
	s_add_u32 s5, s16, s5
	s_mul_i32 s15, s15, s10
	s_addc_u32 s7, s17, s6
	s_ashr_i32 s10, s15, 31
	s_add_u32 s6, s5, s15
	s_addc_u32 s7, s7, s10
	s_lshl_b32 s10, s4, 6
	v_add_u32_e32 v94, s10, v241
	v_and_b32_e32 v66, 0x3ff, v245
	v_cmp_le_i32_e32 vcc, s84, v94
	s_and_saveexec_b64 s[4:5], vcc
	s_xor_b64 s[4:5], exec, s[4:5]
	s_cbranch_execz .LBB30_619
; %bb.618:
	s_movk_i32 s11, 0x84
	v_mad_u32_u24 v0, v241, s11, v66
	v_lshl_add_u32 v0, v0, 2, 0
	v_mov_b32_e32 v1, 0
	ds_write2st64_b32 v0, v1, v1 offset1:1
.LBB30_619:
	s_andn2_saveexec_b64 s[4:5], s[4:5]
	s_cbranch_execz .LBB30_621
; %bb.620:
	v_readlane_b32 s11, v254, 18
	v_mad_u64_u32 v[0:1], s[14:15], v94, s11, v[66:67]
	v_ashrrev_i32_e32 v1, 31, v0
	v_lshlrev_b64 v[0:1], 3, v[0:1]
	v_mov_b32_e32 v2, s7
	v_add_co_u32_e32 v0, vcc, s6, v0
	v_addc_co_u32_e32 v1, vcc, v2, v1, vcc
	global_load_dwordx2 v[2:3], v[0:1], off
	global_load_dwordx2 v[4:5], v[0:1], off offset:512
	s_movk_i32 s11, 0x84
	s_waitcnt vmcnt(1)
	v_cvt_f16_f32_e32 v0, v2
	v_cvt_f16_f32_e32 v1, v3
	s_waitcnt vmcnt(0)
	v_cvt_f16_f32_e32 v2, v4
	v_cvt_f16_f32_e32 v3, v5
	v_mad_u32_u24 v4, v241, s11, v66
	v_pack_b32_f16 v0, v0, v1
	v_lshl_add_u32 v4, v4, 2, 0
	v_pack_b32_f16 v1, v2, v3
	v_pk_mul_f16 v0, v119, v0
	v_pk_mul_f16 v1, v119, v1
	ds_write2st64_b32 v4, v0, v1 offset1:1
.LBB30_621:
	s_or_b64 exec, exec, s[4:5]
	s_waitcnt vmcnt(4)
	v_add_u32_e32 v95, s10, v246
	v_cmp_le_i32_e32 vcc, s84, v95
	s_and_saveexec_b64 s[4:5], vcc
	s_xor_b64 s[4:5], exec, s[4:5]
	s_cbranch_execz .LBB30_623
; %bb.622:
	s_movk_i32 s11, 0x84
	v_mad_u32_u24 v0, v246, s11, v66
	v_lshl_add_u32 v0, v0, 2, 0
	v_mov_b32_e32 v1, 0
	ds_write2st64_b32 v0, v1, v1 offset1:1
                                        ; implicit-def: $vgpr246
.LBB30_623:
	s_andn2_saveexec_b64 s[4:5], s[4:5]
	s_cbranch_execz .LBB30_625
; %bb.624:
	v_readlane_b32 s11, v254, 18
	v_mad_u64_u32 v[0:1], s[14:15], v95, s11, v[66:67]
	v_ashrrev_i32_e32 v1, 31, v0
	v_lshlrev_b64 v[0:1], 3, v[0:1]
	v_mov_b32_e32 v2, s7
	v_add_co_u32_e32 v0, vcc, s6, v0
	v_addc_co_u32_e32 v1, vcc, v2, v1, vcc
	global_load_dwordx2 v[2:3], v[0:1], off
	global_load_dwordx2 v[4:5], v[0:1], off offset:512
	s_movk_i32 s11, 0x84
	s_waitcnt vmcnt(1)
	v_cvt_f16_f32_e32 v0, v2
	v_cvt_f16_f32_e32 v1, v3
	s_waitcnt vmcnt(0)
	v_cvt_f16_f32_e32 v2, v4
	v_cvt_f16_f32_e32 v3, v5
	v_mad_u32_u24 v4, v246, s11, v66
	v_pack_b32_f16 v0, v0, v1
	v_lshl_add_u32 v4, v4, 2, 0
	v_pack_b32_f16 v1, v2, v3
	v_pk_mul_f16 v0, v119, v0
	v_pk_mul_f16 v1, v119, v1
	ds_write2st64_b32 v4, v0, v1 offset1:1
.LBB30_625:
	s_or_b64 exec, exec, s[4:5]
	v_add_u32_e32 v96, s10, v244
	v_cmp_le_i32_e32 vcc, s84, v96
	s_and_saveexec_b64 s[4:5], vcc
	s_xor_b64 s[4:5], exec, s[4:5]
	s_cbranch_execz .LBB30_627
; %bb.626:
	s_movk_i32 s11, 0x84
	v_mad_u32_u24 v0, v244, s11, v66
	v_lshl_add_u32 v0, v0, 2, 0
	v_mov_b32_e32 v1, 0
	ds_write2st64_b32 v0, v1, v1 offset1:1
                                        ; implicit-def: $vgpr244
.LBB30_627:
	s_andn2_saveexec_b64 s[4:5], s[4:5]
	s_cbranch_execz .LBB30_629
; %bb.628:
	v_readlane_b32 s11, v254, 18
	v_mad_u64_u32 v[0:1], s[14:15], v96, s11, v[66:67]
	v_ashrrev_i32_e32 v1, 31, v0
	v_lshlrev_b64 v[0:1], 3, v[0:1]
	v_mov_b32_e32 v2, s7
	v_add_co_u32_e32 v0, vcc, s6, v0
	v_addc_co_u32_e32 v1, vcc, v2, v1, vcc
	global_load_dwordx2 v[2:3], v[0:1], off
	global_load_dwordx2 v[4:5], v[0:1], off offset:512
	s_movk_i32 s11, 0x84
	s_waitcnt vmcnt(1)
	v_cvt_f16_f32_e32 v0, v2
	v_cvt_f16_f32_e32 v1, v3
	s_waitcnt vmcnt(0)
	v_cvt_f16_f32_e32 v2, v4
	v_cvt_f16_f32_e32 v3, v5
	v_mad_u32_u24 v4, v244, s11, v66
	v_pack_b32_f16 v0, v0, v1
	v_lshl_add_u32 v4, v4, 2, 0
	v_pack_b32_f16 v1, v2, v3
	v_pk_mul_f16 v0, v119, v0
	v_pk_mul_f16 v1, v119, v1
	ds_write2st64_b32 v4, v0, v1 offset1:1
.LBB30_629:
	s_or_b64 exec, exec, s[4:5]
	v_add_u32_e32 v97, s10, v243
	v_cmp_le_i32_e32 vcc, s84, v97
	s_and_saveexec_b64 s[4:5], vcc
	s_xor_b64 s[4:5], exec, s[4:5]
	s_cbranch_execz .LBB30_631
; %bb.630:
	s_movk_i32 s11, 0x84
	v_mad_u32_u24 v0, v243, s11, v66
	v_lshl_add_u32 v0, v0, 2, 0
	v_mov_b32_e32 v1, 0
	ds_write2st64_b32 v0, v1, v1 offset1:1
                                        ; implicit-def: $vgpr243
.LBB30_631:
	s_andn2_saveexec_b64 s[4:5], s[4:5]
	s_cbranch_execz .LBB30_633
; %bb.632:
	v_readlane_b32 s11, v254, 18
	v_mad_u64_u32 v[0:1], s[14:15], v97, s11, v[66:67]
	v_ashrrev_i32_e32 v1, 31, v0
	v_lshlrev_b64 v[0:1], 3, v[0:1]
	v_mov_b32_e32 v2, s7
	v_add_co_u32_e32 v0, vcc, s6, v0
	v_addc_co_u32_e32 v1, vcc, v2, v1, vcc
	global_load_dwordx2 v[2:3], v[0:1], off
	global_load_dwordx2 v[4:5], v[0:1], off offset:512
	s_movk_i32 s11, 0x84
	s_waitcnt vmcnt(1)
	v_cvt_f16_f32_e32 v0, v2
	v_cvt_f16_f32_e32 v1, v3
	s_waitcnt vmcnt(0)
	v_cvt_f16_f32_e32 v2, v4
	v_cvt_f16_f32_e32 v3, v5
	v_mad_u32_u24 v4, v243, s11, v66
	v_pack_b32_f16 v0, v0, v1
	v_lshl_add_u32 v4, v4, 2, 0
	v_pack_b32_f16 v1, v2, v3
	v_pk_mul_f16 v0, v119, v0
	v_pk_mul_f16 v1, v119, v1
	ds_write2st64_b32 v4, v0, v1 offset1:1
.LBB30_633:
	s_or_b64 exec, exec, s[4:5]
	v_add_u32_e32 v98, s10, v242
	v_cmp_le_i32_e32 vcc, s84, v98
	s_and_saveexec_b64 s[4:5], vcc
	s_xor_b64 s[4:5], exec, s[4:5]
	s_cbranch_execz .LBB30_635
; %bb.634:
	s_movk_i32 s11, 0x84
	v_mad_u32_u24 v0, v242, s11, v66
	v_lshl_add_u32 v0, v0, 2, 0
	v_mov_b32_e32 v1, 0
	ds_write2st64_b32 v0, v1, v1 offset1:1
                                        ; implicit-def: $vgpr242
.LBB30_635:
	s_andn2_saveexec_b64 s[4:5], s[4:5]
	s_cbranch_execz .LBB30_637
; %bb.636:
	v_readlane_b32 s11, v254, 18
	v_mad_u64_u32 v[0:1], s[14:15], v98, s11, v[66:67]
	v_ashrrev_i32_e32 v1, 31, v0
	v_lshlrev_b64 v[0:1], 3, v[0:1]
	v_mov_b32_e32 v2, s7
	v_add_co_u32_e32 v0, vcc, s6, v0
	v_addc_co_u32_e32 v1, vcc, v2, v1, vcc
	global_load_dwordx2 v[2:3], v[0:1], off
	global_load_dwordx2 v[4:5], v[0:1], off offset:512
	s_movk_i32 s11, 0x84
	s_waitcnt vmcnt(1)
	v_cvt_f16_f32_e32 v0, v2
	v_cvt_f16_f32_e32 v1, v3
	s_waitcnt vmcnt(0)
	v_cvt_f16_f32_e32 v2, v4
	v_cvt_f16_f32_e32 v3, v5
	v_mad_u32_u24 v4, v242, s11, v66
	v_pack_b32_f16 v0, v0, v1
	v_lshl_add_u32 v4, v4, 2, 0
	v_pack_b32_f16 v1, v2, v3
	v_pk_mul_f16 v0, v119, v0
	v_pk_mul_f16 v1, v119, v1
	ds_write2st64_b32 v4, v0, v1 offset1:1
.LBB30_637:
	s_or_b64 exec, exec, s[4:5]
	v_add_u32_e32 v99, s10, v240
	v_cmp_le_i32_e32 vcc, s84, v99
	s_and_saveexec_b64 s[4:5], vcc
	s_xor_b64 s[4:5], exec, s[4:5]
	s_cbranch_execz .LBB30_639
; %bb.638:
	s_movk_i32 s11, 0x84
	v_mad_u32_u24 v0, v240, s11, v66
	v_lshl_add_u32 v0, v0, 2, 0
	v_mov_b32_e32 v1, 0
	ds_write2st64_b32 v0, v1, v1 offset1:1
                                        ; implicit-def: $vgpr240
.LBB30_639:
	s_andn2_saveexec_b64 s[4:5], s[4:5]
	s_cbranch_execz .LBB30_641
; %bb.640:
	v_readlane_b32 s11, v254, 18
	v_mad_u64_u32 v[0:1], s[14:15], v99, s11, v[66:67]
	v_ashrrev_i32_e32 v1, 31, v0
	v_lshlrev_b64 v[0:1], 3, v[0:1]
	v_mov_b32_e32 v2, s7
	v_add_co_u32_e32 v0, vcc, s6, v0
	v_addc_co_u32_e32 v1, vcc, v2, v1, vcc
	global_load_dwordx2 v[2:3], v[0:1], off
	global_load_dwordx2 v[4:5], v[0:1], off offset:512
	s_movk_i32 s11, 0x84
	s_waitcnt vmcnt(1)
	v_cvt_f16_f32_e32 v0, v2
	v_cvt_f16_f32_e32 v1, v3
	s_waitcnt vmcnt(0)
	v_cvt_f16_f32_e32 v2, v4
	v_cvt_f16_f32_e32 v3, v5
	v_mad_u32_u24 v4, v240, s11, v66
	v_pack_b32_f16 v0, v0, v1
	v_lshl_add_u32 v4, v4, 2, 0
	v_pack_b32_f16 v1, v2, v3
	v_pk_mul_f16 v0, v119, v0
	v_pk_mul_f16 v1, v119, v1
	ds_write2st64_b32 v4, v0, v1 offset1:1
.LBB30_641:
	s_or_b64 exec, exec, s[4:5]
	v_add_u32_e32 v100, s10, v239
	v_cmp_le_i32_e32 vcc, s84, v100
	s_and_saveexec_b64 s[4:5], vcc
	s_xor_b64 s[4:5], exec, s[4:5]
	s_cbranch_execz .LBB30_643
; %bb.642:
	s_movk_i32 s11, 0x84
	v_mad_u32_u24 v0, v239, s11, v66
	v_lshl_add_u32 v0, v0, 2, 0
	v_mov_b32_e32 v1, 0
	ds_write2st64_b32 v0, v1, v1 offset1:1
                                        ; implicit-def: $vgpr239
.LBB30_643:
	s_andn2_saveexec_b64 s[4:5], s[4:5]
	s_cbranch_execz .LBB30_645
; %bb.644:
	v_readlane_b32 s11, v254, 18
	v_mad_u64_u32 v[0:1], s[14:15], v100, s11, v[66:67]
	v_ashrrev_i32_e32 v1, 31, v0
	v_lshlrev_b64 v[0:1], 3, v[0:1]
	v_mov_b32_e32 v2, s7
	v_add_co_u32_e32 v0, vcc, s6, v0
	v_addc_co_u32_e32 v1, vcc, v2, v1, vcc
	global_load_dwordx2 v[2:3], v[0:1], off
	global_load_dwordx2 v[4:5], v[0:1], off offset:512
	s_movk_i32 s11, 0x84
	s_waitcnt vmcnt(1)
	v_cvt_f16_f32_e32 v0, v2
	v_cvt_f16_f32_e32 v1, v3
	s_waitcnt vmcnt(0)
	v_cvt_f16_f32_e32 v2, v4
	v_cvt_f16_f32_e32 v3, v5
	v_mad_u32_u24 v4, v239, s11, v66
	v_pack_b32_f16 v0, v0, v1
	v_lshl_add_u32 v4, v4, 2, 0
	v_pack_b32_f16 v1, v2, v3
	v_pk_mul_f16 v0, v119, v0
	v_pk_mul_f16 v1, v119, v1
	ds_write2st64_b32 v4, v0, v1 offset1:1
.LBB30_645:
	s_or_b64 exec, exec, s[4:5]
	v_add_u32_e32 v103, s10, v238
	v_cmp_le_i32_e32 vcc, s84, v103
	s_and_saveexec_b64 s[4:5], vcc
	s_xor_b64 s[4:5], exec, s[4:5]
	s_cbranch_execz .LBB30_647
; %bb.646:
	s_movk_i32 s10, 0x84
	v_mad_u32_u24 v0, v238, s10, v66
	v_lshl_add_u32 v0, v0, 2, 0
	v_mov_b32_e32 v1, 0
	ds_write2st64_b32 v0, v1, v1 offset1:1
                                        ; implicit-def: $vgpr119
                                        ; implicit-def: $vgpr238
.LBB30_647:
	s_andn2_saveexec_b64 s[4:5], s[4:5]
	s_cbranch_execz .LBB30_649
; %bb.648:
	v_readlane_b32 s10, v254, 18
	v_mad_u64_u32 v[0:1], s[10:11], v103, s10, v[66:67]
	v_ashrrev_i32_e32 v1, 31, v0
	v_lshlrev_b64 v[0:1], 3, v[0:1]
	v_mov_b32_e32 v2, s7
	v_add_co_u32_e32 v0, vcc, s6, v0
	v_addc_co_u32_e32 v1, vcc, v2, v1, vcc
	global_load_dwordx2 v[2:3], v[0:1], off
	global_load_dwordx2 v[4:5], v[0:1], off offset:512
	s_movk_i32 s6, 0x84
	s_waitcnt vmcnt(1)
	v_cvt_f16_f32_e32 v0, v2
	v_cvt_f16_f32_e32 v1, v3
	s_waitcnt vmcnt(0)
	v_cvt_f16_f32_e32 v2, v4
	v_cvt_f16_f32_e32 v3, v5
	v_mad_u32_u24 v4, v238, s6, v66
	v_pack_b32_f16 v0, v0, v1
	v_lshl_add_u32 v4, v4, 2, 0
	v_pack_b32_f16 v1, v2, v3
	v_pk_mul_f16 v0, v119, v0
	v_pk_mul_f16 v1, v119, v1
	ds_write2st64_b32 v4, v0, v1 offset1:1
.LBB30_649:
	s_or_b64 exec, exec, s[4:5]
	v_readlane_b32 s6, v254, 14
	v_readlane_b32 s7, v254, 15
	s_mul_i32 s4, s8, s7
	s_mul_hi_u32 s5, s8, s6
	s_add_i32 s4, s5, s4
	s_mul_i32 s5, s12, s6
	s_add_i32 s4, s4, s5
	s_mul_i32 s5, s8, s6
	s_add_u32 s5, s20, s5
	s_addc_u32 s4, s21, s4
	v_readlane_b32 s20, v254, 21
	v_readlane_b32 s23, v254, 24
	s_mul_i32 s6, s9, s23
	s_ashr_i32 s7, s6, 31
	v_readlane_b32 s21, v254, 22
	s_add_u32 s33, s5, s6
	s_addc_u32 s39, s4, s7
	s_mul_i32 s4, s8, s21
	s_mul_hi_u32 s5, s8, s20
	s_add_i32 s4, s5, s4
	s_mul_i32 s12, s12, s20
	v_readlane_b32 s6, v254, 19
	s_add_i32 s4, s4, s12
	s_mul_i32 s8, s8, s20
	v_readlane_b32 s7, v254, 20
	s_add_u32 s5, s18, s8
	s_mul_i32 s9, s9, s7
	s_addc_u32 s4, s19, s4
	s_ashr_i32 s6, s9, 31
	s_add_u32 s8, s5, s9
	v_lshrrev_b32_e32 v1, 3, v66
	s_addc_u32 s9, s4, s6
	s_waitcnt vmcnt(1)
	v_and_b32_e32 v33, 0x1ff0, v251
	s_movk_i32 s4, 0x210
	v_and_b32_e32 v86, 15, v66
	v_and_b32_e32 v87, 0x7e, v1
	v_mad_u32_u24 v0, v33, s4, 0
	v_mul_u32_u24_e32 v101, 0x210, v86
	v_lshlrev_b32_e32 v102, 2, v87
	v_add3_u32 v0, v0, v101, v102
	s_waitcnt lgkmcnt(0)
	s_barrier
	ds_read2_b64 v[28:31], v0 offset1:4
	ds_read2_b64 v[24:27], v0 offset0:8 offset1:12
	ds_read2_b64 v[20:23], v0 offset0:16 offset1:20
	;; [unrolled: 1-line block ×7, first 2 shown]
	v_add_u32_e32 v111, -1, v32
	v_cmp_ge_i32_e32 vcc, s46, v111
	s_mov_b32 s47, 0
	s_and_b64 vcc, exec, vcc
	v_mov_b32_e32 v117, 0
	v_or_b32_e32 v93, v33, v86
	v_lshlrev_b32_e32 v106, 1, v66
	v_mbcnt_lo_u32_b32 v91, -1, 0
	v_lshrrev_b32_e32 v104, 5, v66
	v_lshlrev_b32_e32 v67, 2, v66
	v_lshrrev_b32_e32 v92, 2, v66
	v_and_b32_e32 v89, 8, v251
	v_lshlrev_b32_e32 v88, 1, v86
	v_readlane_b32 s22, v254, 23
	s_waitcnt lgkmcnt(0)
	s_barrier
	s_cbranch_vccnz .LBB30_694
; %bb.650:
	v_mbcnt_hi_u32_b32 v50, -1, v91
	v_mov_b32_e32 v32, s35
	v_add_co_u32_e32 v113, vcc, s34, v106
	v_and_b32_e32 v51, 64, v50
	v_addc_co_u32_e32 v116, vcc, 0, v32, vcc
	v_add_u32_e32 v51, 64, v51
	v_xor_b32_e32 v52, 32, v50
	v_cmp_lt_i32_e32 vcc, v52, v51
	v_cndmask_b32_e32 v52, v50, v52, vcc
	v_lshlrev_b32_e32 v121, 2, v52
	v_xor_b32_e32 v52, 16, v50
	v_cmp_lt_i32_e32 vcc, v52, v51
	v_cndmask_b32_e32 v50, v50, v52, vcc
	s_cmp_lg_u64 s[34:35], 0
	v_lshlrev_b32_e32 v122, 2, v50
	v_lshl_add_u32 v50, v241, 1, v104
	s_cselect_b64 s[36:37], -1, 0
	v_mul_lo_u32 v70, s38, v50
	s_lshl_b32 s15, s38, 4
	v_add_u32_e32 v74, s15, v70
	v_add_u32_e32 v76, s15, v74
	v_add_u32_e32 v78, s15, v76
	s_add_i32 s15, 0, 0x60
	v_mov_b32_e32 v58, s15
	s_add_i32 s15, 0, 0x80
	v_mov_b32_e32 v60, s15
	;; [unrolled: 2-line block ×6, first 2 shown]
	s_add_i32 s15, 0, 0x120
	v_readlane_b32 s10, v254, 10
	v_and_b32_e32 v72, 0x7c, v67
	v_mov_b32_e32 v142, s15
	s_add_i32 s15, 0, 0x140
	v_mul_hi_u32 v32, s10, v94
	v_mul_hi_u32 v34, s10, v95
	v_mul_hi_u32 v36, s10, v96
	v_mul_hi_u32 v38, s10, v97
	v_mul_hi_u32 v40, s10, v98
	v_mul_hi_u32 v42, s10, v99
	v_mul_hi_u32 v44, s10, v100
	v_mul_hi_u32 v46, s10, v103
	v_mul_u32_u24_e32 v51, 0x210, v50
	v_lshlrev_b32_e32 v52, 2, v72
	v_mov_b32_e32 v143, s15
	s_add_i32 s15, 0, 0x160
	v_readlane_b32 s11, v254, 11
	v_add_u32_e32 v32, v94, v32
	s_movk_i32 s14, 0x90
	v_add_u32_e32 v34, v95, v34
	v_add_u32_e32 v36, v96, v36
	;; [unrolled: 1-line block ×7, first 2 shown]
	v_add3_u32 v123, 0, v51, v52
	v_lshrrev_b32_e32 v52, 2, v66
	v_mov_b32_e32 v144, s15
	s_add_i32 s15, 0, 0x180
	v_lshrrev_b32_e32 v32, s11, v32
	v_lshrrev_b32_e32 v34, s11, v34
	;; [unrolled: 1-line block ×8, first 2 shown]
	v_and_b32_e32 v51, 16, v250
	v_and_b32_e32 v53, 0xfc, v52
	v_mad_u32_u24 v55, v93, s14, 0
	v_mul_lo_u32 v80, s86, v50
	s_lshl_b32 s14, s86, 4
	v_mov_b32_e32 v145, s15
	s_add_i32 s15, 0, 0x1a0
	v_mul_lo_u32 v32, v32, s84
	v_mul_lo_u32 v34, v34, s84
	v_mul_lo_u32 v36, v36, s84
	v_mul_lo_u32 v38, v38, s84
	v_mul_lo_u32 v40, v40, s84
	v_mul_lo_u32 v42, v42, s84
	v_mul_lo_u32 v44, v44, s84
	v_mul_lo_u32 v46, v46, s84
	v_mul_u32_u24_e32 v107, 0x210, v51
	v_add_u32_e32 v54, v51, v53
	v_add_u16_e32 v51, v51, v53
	v_add_u32_e32 v82, s14, v80
	v_mov_b32_e32 v146, s15
	s_add_i32 s15, 0, 0x1c0
	v_sub_u32_e32 v32, v94, v32
	v_sub_u32_e32 v34, v95, v34
	;; [unrolled: 1-line block ×8, first 2 shown]
	v_lshrrev_b16_e32 v51, 1, v51
	v_add_u32_e32 v84, s14, v82
	v_mov_b32_e32 v147, s15
	s_add_i32 s15, 0, 0x1e0
	v_mad_i64_i32 v[32:33], s[6:7], v32, s82, 0
	v_mad_i64_i32 v[34:35], s[6:7], v34, s82, 0
	;; [unrolled: 1-line block ×8, first 2 shown]
	v_lshl_add_u32 v110, v51, 2, v55
	v_lshl_add_u32 v51, v54, 1, v55
	v_add_u32_e32 v108, s14, v84
	s_movk_i32 s14, 0x420
	v_mov_b32_e32 v148, s15
	v_cmp_gt_u32_e64 s[6:7], 64, v50
	v_cmp_gt_u32_e64 s[30:31], 48, v50
	;; [unrolled: 1-line block ×4, first 2 shown]
	v_add_u32_e32 v127, 64, v51
	v_add_u32_e32 v128, 0x44, v51
	v_mul_u32_u24_e32 v50, 0x420, v89
	v_mad_u32_u24 v51, v89, s14, 0
	v_mad_u32_u24 v58, v89, s14, v58
	;; [unrolled: 1-line block ×14, first 2 shown]
	v_cmp_gt_u32_e64 s[14:15], 64, v54
	v_cmp_gt_u32_e64 s[16:17], 63, v54
	;; [unrolled: 1-line block ×8, first 2 shown]
	v_mul_u32_u24_e32 v54, 0x108, v53
	v_add3_u32 v55, 0, 32, v50
	v_add3_u32 v50, 0, 64, v50
	v_or_b32_e32 v150, v54, v86
	v_or_b32_e32 v52, 3, v52
	v_add_u32_e32 v129, v51, v88
	v_add_u32_e32 v56, 0x4200, v55
	;; [unrolled: 1-line block ×16, first 2 shown]
	v_mul_u32_u24_e32 v149, 0x210, v52
	v_lshlrev_b32_e32 v52, 1, v150
	v_add_u32_e32 v49, 0, v106
	v_mul_u32_u24_e32 v90, 0x90, v241
	s_mov_b64 s[40:41], src_private_base
	v_ashrrev_i32_e32 v71, 31, v70
	v_ashrrev_i32_e32 v75, 31, v74
	;; [unrolled: 1-line block ×4, first 2 shown]
	v_add3_u32 v105, 0, v101, v102
	v_ashrrev_i32_e32 v81, 31, v80
	v_ashrrev_i32_e32 v83, 31, v82
	;; [unrolled: 1-line block ×4, first 2 shown]
	v_add_u32_e32 v130, 0x4200, v129
	v_add_u32_e32 v131, 32, v129
	;; [unrolled: 1-line block ×31, first 2 shown]
	v_mul_u32_u24_e32 v148, 0x210, v53
	v_add_u32_e32 v150, v51, v52
	v_lshlrev_b32_e32 v51, 1, v54
	v_cmp_lt_u32_e64 s[4:5], 63, v66
	v_mov_b32_e32 v112, 0
	s_mov_b32 s40, 0
	v_add_u32_e32 v124, 0x2100, v123
	v_add_u32_e32 v125, 0x4200, v123
	;; [unrolled: 1-line block ×50, first 2 shown]
	v_mov_b32_e32 v50, v48
	v_mov_b32_e32 v51, v48
	s_lshl_b32 s42, s46, 6
	v_mov_b32_e32 v115, 0xfeffffff
	v_lshlrev_b64 v[52:53], 1, v[32:33]
	v_lshlrev_b64 v[54:55], 1, v[34:35]
	;; [unrolled: 1-line block ×9, first 2 shown]
	v_lshlrev_b32_e32 v200, 2, v72
	v_lshlrev_b64 v[72:73], 2, v[74:75]
	v_lshlrev_b64 v[74:75], 2, v[76:77]
	;; [unrolled: 1-line block ×3, first 2 shown]
	v_add_u32_e32 v201, v105, v107
	s_mov_b32 s48, 0x3f200000
	s_mov_b32 s49, 0x3fb8aa3b
	;; [unrolled: 1-line block ×4, first 2 shown]
	v_mov_b32_e32 v202, 0xbd5c1c4e
	v_mov_b32_e32 v203, 0x3e088382
	v_mov_b32_e32 v204, 0xbeaaaa99
	s_brev_b32 s52, -2
	v_add_u32_e32 v205, 0x8400, v110
	s_mov_b32 s53, 0xc1a00000
	v_lshlrev_b64 v[78:79], 2, v[80:81]
	v_lshlrev_b64 v[80:81], 2, v[82:83]
	;; [unrolled: 1-line block ×4, first 2 shown]
	s_mov_b32 s54, 0x5040100
	v_add_u32_e32 v206, v114, v148
	v_add_u32_e32 v207, v117, v148
	;; [unrolled: 1-line block ×16, first 2 shown]
	v_mov_b32_e32 v228, 0x7f800000
	v_mov_b32_e32 v241, 0
	;; [unrolled: 1-line block ×34, first 2 shown]
	s_andn2_b64 vcc, exec, s[36:37]
	s_ashr_i32 s43, s42, 31
	s_cbranch_vccnz .LBB30_656
.LBB30_651:
                                        ; implicit-def: $sgpr55
	s_and_saveexec_b64 s[44:45], s[4:5]
	s_xor_b64 s[44:45], exec, s[44:45]
	s_cbranch_execz .LBB30_653
; %bb.652:
	ds_write_b16 v226, v112 offset:33792
	ds_write_b16 v226, v112 offset:34944
	;; [unrolled: 1-line block ×4, first 2 shown]
	s_mov_b32 s55, 0
.LBB30_653:
	s_or_saveexec_b64 s[44:45], s[44:45]
	v_mov_b32_e32 v32, s55
	v_mov_b32_e32 v33, s55
	;; [unrolled: 1-line block ×4, first 2 shown]
	s_xor_b64 exec, exec, s[44:45]
	s_cbranch_execz .LBB30_655
; %bb.654:
	s_lshl_b64 s[56:57], s[42:43], 1
	v_mov_b32_e32 v32, s57
	v_add_co_u32_e32 v40, vcc, s56, v113
	v_addc_co_u32_e32 v41, vcc, v116, v32, vcc
	v_add_co_u32_e32 v32, vcc, v40, v52
	v_addc_co_u32_e32 v33, vcc, v41, v53, vcc
	;; [unrolled: 2-line block ×5, first 2 shown]
	flat_load_ushort v42, v[32:33]
	flat_load_ushort v43, v[34:35]
	;; [unrolled: 1-line block ×4, first 2 shown]
	v_add_co_u32_e32 v32, vcc, v40, v60
	v_addc_co_u32_e32 v33, vcc, v41, v61, vcc
	v_add_co_u32_e32 v34, vcc, v40, v62
	v_addc_co_u32_e32 v35, vcc, v41, v63, vcc
	v_add_co_u32_e32 v36, vcc, v40, v64
	v_addc_co_u32_e32 v37, vcc, v41, v65, vcc
	v_add_co_u32_e32 v38, vcc, v40, v68
	v_addc_co_u32_e32 v39, vcc, v41, v69, vcc
	s_waitcnt vmcnt(0) lgkmcnt(0)
	ds_write_b16 v226, v42 offset:33792
	ds_write_b16 v226, v43 offset:34944
	;; [unrolled: 1-line block ×4, first 2 shown]
	flat_load_ushort v32, v[32:33]
	s_nop 0
	flat_load_ushort v33, v[34:35]
	s_nop 0
	flat_load_ushort v34, v[36:37]
	flat_load_ushort v35, v[38:39]
.LBB30_655:
	s_or_b64 exec, exec, s[44:45]
	s_waitcnt vmcnt(0) lgkmcnt(0)
	ds_write_b16 v226, v32 offset:38400
	ds_write_b16 v226, v33 offset:39552
	;; [unrolled: 1-line block ×4, first 2 shown]
.LBB30_656:                             ; =>This Inner Loop Header: Depth=1
	s_mul_hi_i32 s45, s42, s38
	s_mul_i32 s44, s42, s38
	s_lshl_b64 s[44:45], s[44:45], 2
	s_add_u32 s43, s8, s44
	s_addc_u32 s44, s9, s45
	v_mov_b32_e32 v32, s44
	v_add_co_u32_e32 v33, vcc, s43, v70
	v_addc_co_u32_e32 v32, vcc, v32, v71, vcc
	v_add_co_u32_e32 v34, vcc, v33, v200
	v_addc_co_u32_e32 v32, vcc, 0, v32, vcc
	v_mov_b32_e32 v38, s41
	v_mov_b32_e32 v39, s40
	buffer_store_dword v112, off, s[0:3], 0
	buffer_store_dword v112, off, s[0:3], 0 offset:4
	buffer_store_dword v112, off, s[0:3], 0 offset:8
	;; [unrolled: 1-line block ×3, first 2 shown]
	v_cndmask_b32_e64 v33, v38, v32, s[6:7]
	v_cndmask_b32_e64 v32, v39, v34, s[6:7]
	flat_load_dwordx4 v[32:35], v[32:33]
	v_mov_b32_e32 v36, s44
	v_add_co_u32_e32 v37, vcc, s43, v72
	v_addc_co_u32_e32 v36, vcc, v36, v73, vcc
	v_add_co_u32_e32 v37, vcc, v37, v200
	v_addc_co_u32_e32 v40, vcc, 0, v36, vcc
	v_cndmask_b32_e64 v36, v39, v37, s[30:31]
	v_cndmask_b32_e64 v37, v38, v40, s[30:31]
	v_add_u32_e32 v49, 0x4000, v201
	s_waitcnt vmcnt(0) lgkmcnt(0)
	ds_write_b128 v123, v[32:35]
	flat_load_dwordx4 v[32:35], v[36:37]
	v_mov_b32_e32 v36, s44
	v_add_co_u32_e32 v37, vcc, s43, v74
	v_addc_co_u32_e32 v36, vcc, v36, v75, vcc
	v_add_co_u32_e32 v37, vcc, v37, v200
	v_addc_co_u32_e32 v40, vcc, 0, v36, vcc
	v_cndmask_b32_e64 v36, v39, v37, s[10:11]
	v_cndmask_b32_e64 v37, v38, v40, s[10:11]
	s_waitcnt vmcnt(0) lgkmcnt(0)
	ds_write_b128 v124, v[32:35]
	flat_load_dwordx4 v[32:35], v[36:37]
	v_mov_b32_e32 v36, s44
	v_add_co_u32_e32 v37, vcc, s43, v76
	v_addc_co_u32_e32 v36, vcc, v36, v77, vcc
	v_add_co_u32_e32 v37, vcc, v37, v200
	v_addc_co_u32_e32 v40, vcc, 0, v36, vcc
	v_cndmask_b32_e64 v36, v39, v37, s[12:13]
	v_cndmask_b32_e64 v37, v38, v40, s[12:13]
	s_waitcnt vmcnt(0) lgkmcnt(0)
	ds_write_b128 v125, v[32:35]
	flat_load_dwordx4 v[32:35], v[36:37]
	s_waitcnt vmcnt(0) lgkmcnt(0)
	ds_write_b128 v126, v[32:35]
	s_waitcnt lgkmcnt(0)
	s_barrier
	ds_read2_b64 v[32:35], v201 offset1:4
	ds_read2_b64 v[40:43], v49 offset0:64 offset1:68
	s_waitcnt lgkmcnt(1)
	v_mfma_f32_16x16x16f16 v[36:39], v[32:33], v[28:29], 0
	s_waitcnt lgkmcnt(0)
	v_mfma_f32_16x16x16f16 v[44:47], v[40:41], v[28:29], 0
	v_mfma_f32_16x16x16f16 v[32:35], v[34:35], v[30:31], v[36:39]
	;; [unrolled: 1-line block ×3, first 2 shown]
	ds_read2_b64 v[40:43], v201 offset0:8 offset1:12
	s_nop 7
	ds_read2_b64 v[44:47], v49 offset0:72 offset1:76
	s_waitcnt lgkmcnt(1)
	v_mfma_f32_16x16x16f16 v[32:35], v[40:41], v[24:25], v[32:35]
	s_waitcnt lgkmcnt(0)
	v_mfma_f32_16x16x16f16 v[36:39], v[44:45], v[24:25], v[36:39]
	v_mfma_f32_16x16x16f16 v[32:35], v[42:43], v[26:27], v[32:35]
	ds_read2_b64 v[40:43], v201 offset0:16 offset1:20
	v_mfma_f32_16x16x16f16 v[36:39], v[46:47], v[26:27], v[36:39]
	ds_read2_b64 v[44:47], v49 offset0:80 offset1:84
	s_waitcnt lgkmcnt(1)
	v_mfma_f32_16x16x16f16 v[32:35], v[40:41], v[20:21], v[32:35]
	s_waitcnt lgkmcnt(0)
	v_mfma_f32_16x16x16f16 v[36:39], v[44:45], v[20:21], v[36:39]
	v_mfma_f32_16x16x16f16 v[32:35], v[42:43], v[22:23], v[32:35]
	ds_read2_b64 v[40:43], v201 offset0:24 offset1:28
	v_mfma_f32_16x16x16f16 v[36:39], v[46:47], v[22:23], v[36:39]
	;; [unrolled: 8-line block ×6, first 2 shown]
	ds_read2_b64 v[44:47], v49 offset0:120 offset1:124
	s_waitcnt lgkmcnt(0)
	s_barrier
	v_mfma_f32_16x16x16f16 v[32:35], v[40:41], v[0:1], v[32:35]
	v_mfma_f32_16x16x16f16 v[242:245], v[44:45], v[0:1], v[36:39]
	;; [unrolled: 1-line block ×3, first 2 shown]
                                        ; implicit-def: $vgpr43
	v_mfma_f32_16x16x16f16 v[32:35], v[46:47], v[2:3], v[242:245]
	s_nop 7
	s_nop 1
	v_cmp_nlt_f32_e64 s[44:45], |v36|, s48
	s_and_saveexec_b64 s[56:57], s[44:45]
	s_xor_b64 s[44:45], exec, s[56:57]
	s_cbranch_execz .LBB30_658
; %bb.657:                              ;   in Loop: Header=BB30_656 Depth=1
	v_add_f32_e64 v40, |v36|, |v36|
	v_mul_f32_e32 v41, 0x3fb8aa3b, v40
	v_rndne_f32_e32 v42, v41
	v_sub_f32_e32 v43, v41, v42
	v_fma_f32 v41, v40, s49, -v41
	v_fmac_f32_e32 v41, 0x32a5705f, v40
	v_add_f32_e32 v41, v43, v41
	v_cvt_i32_f32_e32 v42, v42
	v_exp_f32_e32 v41, v41
	v_cmp_ngt_f32_e32 vcc, s50, v40
	v_ldexp_f32 v41, v41, v42
	v_cndmask_b32_e32 v41, 0, v41, vcc
	v_cmp_nlt_f32_e32 vcc, s51, v40
	v_cndmask_b32_e32 v40, v228, v41, vcc
	v_add_f32_e32 v40, 1.0, v40
	v_rcp_f32_e32 v40, v40
	v_fma_f32 v43, v40, -2.0, 1.0
.LBB30_658:                             ;   in Loop: Header=BB30_656 Depth=1
	s_andn2_saveexec_b64 s[44:45], s[44:45]
; %bb.659:                              ;   in Loop: Header=BB30_656 Depth=1
	v_mul_f32_e32 v40, v36, v36
	v_mov_b32_e32 v41, 0x3ca908c9
	v_fmac_f32_e32 v41, 0xbbbac73d, v40
	v_fma_f32 v41, v40, v41, v202
	v_fma_f32 v41, v40, v41, v203
	;; [unrolled: 1-line block ×3, first 2 shown]
	v_mul_f32_e64 v41, |v36|, v41
	v_fma_f32 v43, v40, v41, |v36|
; %bb.660:                              ;   in Loop: Header=BB30_656 Depth=1
	s_or_b64 exec, exec, s[44:45]
	v_cmp_nlt_f32_e64 s[44:45], |v37|, s48
                                        ; implicit-def: $vgpr45
	s_and_saveexec_b64 s[56:57], s[44:45]
	s_xor_b64 s[44:45], exec, s[56:57]
	s_cbranch_execz .LBB30_662
; %bb.661:                              ;   in Loop: Header=BB30_656 Depth=1
	v_add_f32_e64 v40, |v37|, |v37|
	v_mul_f32_e32 v41, 0x3fb8aa3b, v40
	v_rndne_f32_e32 v42, v41
	v_sub_f32_e32 v44, v41, v42
	v_fma_f32 v41, v40, s49, -v41
	v_fmac_f32_e32 v41, 0x32a5705f, v40
	v_add_f32_e32 v41, v44, v41
	v_cvt_i32_f32_e32 v42, v42
	v_exp_f32_e32 v41, v41
	v_cmp_ngt_f32_e32 vcc, s50, v40
	v_ldexp_f32 v41, v41, v42
	v_cndmask_b32_e32 v41, 0, v41, vcc
	v_cmp_nlt_f32_e32 vcc, s51, v40
	v_cndmask_b32_e32 v40, v228, v41, vcc
	v_add_f32_e32 v40, 1.0, v40
	v_rcp_f32_e32 v40, v40
	v_fma_f32 v45, v40, -2.0, 1.0
.LBB30_662:                             ;   in Loop: Header=BB30_656 Depth=1
	s_andn2_saveexec_b64 s[44:45], s[44:45]
; %bb.663:                              ;   in Loop: Header=BB30_656 Depth=1
	v_mul_f32_e32 v40, v37, v37
	v_mov_b32_e32 v41, 0x3ca908c9
	v_fmac_f32_e32 v41, 0xbbbac73d, v40
	v_fma_f32 v41, v40, v41, v202
	v_fma_f32 v41, v40, v41, v203
	;; [unrolled: 1-line block ×3, first 2 shown]
	v_mul_f32_e64 v41, |v37|, v41
	v_fma_f32 v45, v40, v41, |v37|
; %bb.664:                              ;   in Loop: Header=BB30_656 Depth=1
	s_or_b64 exec, exec, s[44:45]
	v_cmp_nlt_f32_e64 s[44:45], |v38|, s48
                                        ; implicit-def: $vgpr46
	s_and_saveexec_b64 s[56:57], s[44:45]
	s_xor_b64 s[44:45], exec, s[56:57]
	s_cbranch_execz .LBB30_666
; %bb.665:                              ;   in Loop: Header=BB30_656 Depth=1
	v_add_f32_e64 v40, |v38|, |v38|
	v_mul_f32_e32 v41, 0x3fb8aa3b, v40
	v_rndne_f32_e32 v42, v41
	v_sub_f32_e32 v44, v41, v42
	v_fma_f32 v41, v40, s49, -v41
	v_fmac_f32_e32 v41, 0x32a5705f, v40
	v_add_f32_e32 v41, v44, v41
	v_cvt_i32_f32_e32 v42, v42
	v_exp_f32_e32 v41, v41
	v_cmp_ngt_f32_e32 vcc, s50, v40
	v_ldexp_f32 v41, v41, v42
	v_cndmask_b32_e32 v41, 0, v41, vcc
	v_cmp_nlt_f32_e32 vcc, s51, v40
	v_cndmask_b32_e32 v40, v228, v41, vcc
	v_add_f32_e32 v40, 1.0, v40
	v_rcp_f32_e32 v40, v40
	v_fma_f32 v46, v40, -2.0, 1.0
.LBB30_666:                             ;   in Loop: Header=BB30_656 Depth=1
	s_andn2_saveexec_b64 s[44:45], s[44:45]
; %bb.667:                              ;   in Loop: Header=BB30_656 Depth=1
	v_mul_f32_e32 v40, v38, v38
	v_mov_b32_e32 v41, 0x3ca908c9
	v_fmac_f32_e32 v41, 0xbbbac73d, v40
	v_fma_f32 v41, v40, v41, v202
	v_fma_f32 v41, v40, v41, v203
	;; [unrolled: 1-line block ×3, first 2 shown]
	v_mul_f32_e64 v41, |v38|, v41
	v_fma_f32 v46, v40, v41, |v38|
; %bb.668:                              ;   in Loop: Header=BB30_656 Depth=1
	s_or_b64 exec, exec, s[44:45]
	v_cmp_nlt_f32_e64 s[44:45], |v39|, s48
                                        ; implicit-def: $vgpr47
	s_and_saveexec_b64 s[56:57], s[44:45]
	s_xor_b64 s[44:45], exec, s[56:57]
	s_cbranch_execz .LBB30_670
; %bb.669:                              ;   in Loop: Header=BB30_656 Depth=1
	v_add_f32_e64 v40, |v39|, |v39|
	v_mul_f32_e32 v41, 0x3fb8aa3b, v40
	v_rndne_f32_e32 v42, v41
	v_sub_f32_e32 v44, v41, v42
	v_fma_f32 v41, v40, s49, -v41
	v_fmac_f32_e32 v41, 0x32a5705f, v40
	v_add_f32_e32 v41, v44, v41
	v_cvt_i32_f32_e32 v42, v42
	v_exp_f32_e32 v41, v41
	v_cmp_ngt_f32_e32 vcc, s50, v40
	v_ldexp_f32 v41, v41, v42
	v_cndmask_b32_e32 v41, 0, v41, vcc
	v_cmp_nlt_f32_e32 vcc, s51, v40
	v_cndmask_b32_e32 v40, v228, v41, vcc
	v_add_f32_e32 v40, 1.0, v40
	v_rcp_f32_e32 v40, v40
	v_fma_f32 v47, v40, -2.0, 1.0
.LBB30_670:                             ;   in Loop: Header=BB30_656 Depth=1
	s_andn2_saveexec_b64 s[44:45], s[44:45]
; %bb.671:                              ;   in Loop: Header=BB30_656 Depth=1
	v_mul_f32_e32 v40, v39, v39
	v_mov_b32_e32 v41, 0x3ca908c9
	v_fmac_f32_e32 v41, 0xbbbac73d, v40
	v_fma_f32 v41, v40, v41, v202
	v_fma_f32 v41, v40, v41, v203
	;; [unrolled: 1-line block ×3, first 2 shown]
	v_mul_f32_e64 v41, |v39|, v41
	v_fma_f32 v47, v40, v41, |v39|
; %bb.672:                              ;   in Loop: Header=BB30_656 Depth=1
	s_or_b64 exec, exec, s[44:45]
	v_cmp_nlt_f32_e64 s[44:45], |v32|, s48
                                        ; implicit-def: $vgpr40
	s_and_saveexec_b64 s[56:57], s[44:45]
	s_xor_b64 s[44:45], exec, s[56:57]
	s_cbranch_execz .LBB30_674
; %bb.673:                              ;   in Loop: Header=BB30_656 Depth=1
	v_add_f32_e64 v40, |v32|, |v32|
	v_mul_f32_e32 v41, 0x3fb8aa3b, v40
	v_rndne_f32_e32 v42, v41
	v_sub_f32_e32 v44, v41, v42
	v_fma_f32 v41, v40, s49, -v41
	v_fmac_f32_e32 v41, 0x32a5705f, v40
	v_add_f32_e32 v41, v44, v41
	v_cvt_i32_f32_e32 v42, v42
	v_exp_f32_e32 v41, v41
	v_cmp_ngt_f32_e32 vcc, s50, v40
	v_ldexp_f32 v41, v41, v42
	v_cndmask_b32_e32 v41, 0, v41, vcc
	v_cmp_nlt_f32_e32 vcc, s51, v40
	v_cndmask_b32_e32 v40, v228, v41, vcc
	v_add_f32_e32 v40, 1.0, v40
	v_rcp_f32_e32 v40, v40
	v_fma_f32 v40, v40, -2.0, 1.0
.LBB30_674:                             ;   in Loop: Header=BB30_656 Depth=1
	s_andn2_saveexec_b64 s[44:45], s[44:45]
; %bb.675:                              ;   in Loop: Header=BB30_656 Depth=1
	v_mul_f32_e32 v40, v32, v32
	v_mov_b32_e32 v41, 0x3ca908c9
	v_fmac_f32_e32 v41, 0xbbbac73d, v40
	v_fma_f32 v41, v40, v41, v202
	v_fma_f32 v41, v40, v41, v203
	;; [unrolled: 1-line block ×3, first 2 shown]
	v_mul_f32_e64 v41, |v32|, v41
	v_fma_f32 v40, v40, v41, |v32|
; %bb.676:                              ;   in Loop: Header=BB30_656 Depth=1
	s_or_b64 exec, exec, s[44:45]
	v_cmp_nlt_f32_e64 s[44:45], |v33|, s48
                                        ; implicit-def: $vgpr41
	s_and_saveexec_b64 s[56:57], s[44:45]
	s_xor_b64 s[44:45], exec, s[56:57]
	s_cbranch_execz .LBB30_678
; %bb.677:                              ;   in Loop: Header=BB30_656 Depth=1
	v_add_f32_e64 v41, |v33|, |v33|
	v_mul_f32_e32 v42, 0x3fb8aa3b, v41
	v_rndne_f32_e32 v44, v42
	v_sub_f32_e32 v49, v42, v44
	v_fma_f32 v42, v41, s49, -v42
	v_fmac_f32_e32 v42, 0x32a5705f, v41
	v_add_f32_e32 v42, v49, v42
	v_cvt_i32_f32_e32 v44, v44
	v_exp_f32_e32 v42, v42
	v_cmp_ngt_f32_e32 vcc, s50, v41
	v_ldexp_f32 v42, v42, v44
	v_cndmask_b32_e32 v42, 0, v42, vcc
	v_cmp_nlt_f32_e32 vcc, s51, v41
	v_cndmask_b32_e32 v41, v228, v42, vcc
	v_add_f32_e32 v41, 1.0, v41
	v_rcp_f32_e32 v41, v41
	v_fma_f32 v41, v41, -2.0, 1.0
.LBB30_678:                             ;   in Loop: Header=BB30_656 Depth=1
	s_andn2_saveexec_b64 s[44:45], s[44:45]
; %bb.679:                              ;   in Loop: Header=BB30_656 Depth=1
	v_mul_f32_e32 v41, v33, v33
	v_mov_b32_e32 v42, 0x3ca908c9
	v_fmac_f32_e32 v42, 0xbbbac73d, v41
	v_fma_f32 v42, v41, v42, v202
	v_fma_f32 v42, v41, v42, v203
	;; [unrolled: 1-line block ×3, first 2 shown]
	v_mul_f32_e64 v42, |v33|, v42
	v_fma_f32 v41, v41, v42, |v33|
; %bb.680:                              ;   in Loop: Header=BB30_656 Depth=1
	s_or_b64 exec, exec, s[44:45]
	v_cmp_nlt_f32_e64 s[44:45], |v34|, s48
                                        ; implicit-def: $vgpr42
	s_and_saveexec_b64 s[56:57], s[44:45]
	s_xor_b64 s[44:45], exec, s[56:57]
	s_cbranch_execz .LBB30_682
; %bb.681:                              ;   in Loop: Header=BB30_656 Depth=1
	v_add_f32_e64 v42, |v34|, |v34|
	v_mul_f32_e32 v44, 0x3fb8aa3b, v42
	v_rndne_f32_e32 v49, v44
	v_sub_f32_e32 v90, v44, v49
	v_fma_f32 v44, v42, s49, -v44
	v_fmac_f32_e32 v44, 0x32a5705f, v42
	v_add_f32_e32 v44, v90, v44
	v_cvt_i32_f32_e32 v49, v49
	v_exp_f32_e32 v44, v44
	v_cmp_ngt_f32_e32 vcc, s50, v42
	v_ldexp_f32 v44, v44, v49
	v_cndmask_b32_e32 v44, 0, v44, vcc
	v_cmp_nlt_f32_e32 vcc, s51, v42
	v_cndmask_b32_e32 v42, v228, v44, vcc
	v_add_f32_e32 v42, 1.0, v42
	v_rcp_f32_e32 v42, v42
	v_fma_f32 v42, v42, -2.0, 1.0
.LBB30_682:                             ;   in Loop: Header=BB30_656 Depth=1
	s_andn2_saveexec_b64 s[44:45], s[44:45]
; %bb.683:                              ;   in Loop: Header=BB30_656 Depth=1
	v_mul_f32_e32 v42, v34, v34
	v_mov_b32_e32 v44, 0x3ca908c9
	v_fmac_f32_e32 v44, 0xbbbac73d, v42
	v_fma_f32 v44, v42, v44, v202
	v_fma_f32 v44, v42, v44, v203
	;; [unrolled: 1-line block ×3, first 2 shown]
	v_mul_f32_e64 v44, |v34|, v44
	v_fma_f32 v42, v42, v44, |v34|
; %bb.684:                              ;   in Loop: Header=BB30_656 Depth=1
	s_or_b64 exec, exec, s[44:45]
	v_cmp_nlt_f32_e64 s[44:45], |v35|, s48
                                        ; implicit-def: $vgpr49
	s_and_saveexec_b64 s[56:57], s[44:45]
	s_xor_b64 s[44:45], exec, s[56:57]
	s_cbranch_execz .LBB30_686
; %bb.685:                              ;   in Loop: Header=BB30_656 Depth=1
	v_add_f32_e64 v44, |v35|, |v35|
	v_mul_f32_e32 v49, 0x3fb8aa3b, v44
	v_rndne_f32_e32 v90, v49
	v_sub_f32_e32 v242, v49, v90
	v_fma_f32 v49, v44, s49, -v49
	v_fmac_f32_e32 v49, 0x32a5705f, v44
	v_add_f32_e32 v49, v242, v49
	v_cvt_i32_f32_e32 v90, v90
	v_exp_f32_e32 v49, v49
	v_cmp_ngt_f32_e32 vcc, s50, v44
	v_ldexp_f32 v49, v49, v90
	v_cndmask_b32_e32 v49, 0, v49, vcc
	v_cmp_nlt_f32_e32 vcc, s51, v44
	v_cndmask_b32_e32 v44, v228, v49, vcc
	v_add_f32_e32 v44, 1.0, v44
	v_rcp_f32_e32 v44, v44
	v_fma_f32 v49, v44, -2.0, 1.0
.LBB30_686:                             ;   in Loop: Header=BB30_656 Depth=1
	s_andn2_saveexec_b64 s[44:45], s[44:45]
; %bb.687:                              ;   in Loop: Header=BB30_656 Depth=1
	v_mul_f32_e32 v44, v35, v35
	v_mov_b32_e32 v49, 0x3ca908c9
	v_fmac_f32_e32 v49, 0xbbbac73d, v44
	v_fma_f32 v49, v44, v49, v202
	v_fma_f32 v49, v44, v49, v203
	;; [unrolled: 1-line block ×3, first 2 shown]
	v_mul_f32_e64 v49, |v35|, v49
	v_fma_f32 v49, v44, v49, |v35|
; %bb.688:                              ;   in Loop: Header=BB30_656 Depth=1
	s_or_b64 exec, exec, s[44:45]
	v_bfi_b32 v32, s52, v40, v32
	v_mul_f32_e32 v40, s97, v32
	v_bfi_b32 v32, s52, v41, v33
	v_mul_f32_e32 v41, s97, v32
	;; [unrolled: 2-line block ×8, first 2 shown]
	s_and_b64 vcc, exec, s[36:37]
	s_cbranch_vccz .LBB30_693
; %bb.689:                              ;   in Loop: Header=BB30_656 Depth=1
	ds_read2_b32 v[32:33], v205 offset1:1
	ds_read_b32 v36, v127 offset:33792
	ds_read_b32 v37, v128 offset:33792
	v_mov_b32_e32 v49, v48
	s_waitcnt lgkmcnt(2)
	v_cvt_f32_f16_e32 v34, v32
	v_cvt_f32_f16_sdwa v35, v32 dst_sel:DWORD dst_unused:UNUSED_PAD src0_sel:WORD_1
	v_cvt_f32_f16_e32 v32, v33
	v_cvt_f32_f16_sdwa v33, v33 dst_sel:DWORD dst_unused:UNUSED_PAD src0_sel:WORD_1
	s_waitcnt lgkmcnt(1)
	v_cvt_f32_f16_sdwa v243, v36 dst_sel:DWORD dst_unused:UNUSED_PAD src0_sel:WORD_1
	s_waitcnt lgkmcnt(0)
	v_cvt_f32_f16_sdwa v245, v37 dst_sel:DWORD dst_unused:UNUSED_PAD src0_sel:WORD_1
	v_cvt_f32_f16_e32 v244, v37
	v_cvt_f32_f16_e32 v242, v36
	v_pk_fma_f32 v[38:39], v[48:49], v[32:33], v[46:47]
	v_pk_fma_f32 v[36:37], v[50:51], v[34:35], v[44:45]
	;; [unrolled: 1-line block ×4, first 2 shown]
	s_cbranch_execnz .LBB30_691
.LBB30_690:                             ;   in Loop: Header=BB30_656 Depth=1
	v_pk_mov_b32 v[32:33], v[40:41], v[40:41] op_sel:[0,1]
	v_pk_mov_b32 v[36:37], v[44:45], v[44:45] op_sel:[0,1]
	;; [unrolled: 1-line block ×4, first 2 shown]
.LBB30_691:                             ;   in Loop: Header=BB30_656 Depth=1
	v_add_f32_e32 v40, 0x40051340, v36
	v_max_f32_e32 v41, v115, v115
	v_max_f32_e32 v40, v41, v40
	v_cndmask_b32_e64 v40, v115, v40, s[14:15]
	v_add_f32_e32 v41, 0x40051340, v37
	v_max_f32_e32 v42, v40, v40
	v_max_f32_e32 v41, v42, v41
	v_cndmask_b32_e64 v40, v40, v41, s[16:17]
	;; [unrolled: 4-line block ×8, first 2 shown]
	ds_bpermute_b32 v41, v121, v40
	v_max_f32_e32 v40, v40, v40
	v_cndmask_b32_e64 v38, v38, v38, s[16:17]
	v_cndmask_b32_e64 v39, v39, v39, s[16:17]
	;; [unrolled: 1-line block ×3, first 2 shown]
	s_waitcnt lgkmcnt(0)
	v_max_f32_e32 v41, v41, v41
	v_max_f32_e32 v40, v40, v41
	ds_bpermute_b32 v41, v122, v40
	v_cndmask_b32_e64 v34, v34, v34, s[22:23]
	v_cndmask_b32_e64 v35, v35, v35, s[22:23]
	s_mul_hi_i32 s45, s42, s86
	s_mul_i32 s44, s42, s86
	s_waitcnt lgkmcnt(0)
	v_max_f32_e32 v41, v41, v41
	v_max_f32_e32 v40, v40, v41
	v_sub_f32_e32 v36, v36, v40
	v_mul_f32_e32 v41, 0x3fb8aa3b, v36
	v_fma_f32 v42, v36, s49, -v41
	v_rndne_f32_e32 v43, v41
	v_fmac_f32_e32 v42, 0x32a5705f, v36
	v_sub_f32_e32 v41, v41, v43
	v_add_f32_e32 v41, v41, v42
	v_exp_f32_e32 v41, v41
	v_cvt_i32_f32_e32 v42, v43
	v_cmp_ngt_f32_e32 vcc, s50, v36
	v_sub_f32_e32 v32, v32, v40
	v_sub_f32_e32 v33, v33, v40
	v_ldexp_f32 v41, v41, v42
	v_cndmask_b32_e32 v41, 0, v41, vcc
	v_cmp_nlt_f32_e32 vcc, s51, v36
	v_cndmask_b32_e32 v36, v228, v41, vcc
	v_cndmask_b32_e64 v242, 0, v36, s[14:15]
	v_sub_f32_e32 v36, v37, v40
	v_mul_f32_e32 v37, 0x3fb8aa3b, v36
	v_fma_f32 v41, v36, s49, -v37
	v_rndne_f32_e32 v42, v37
	v_fmac_f32_e32 v41, 0x32a5705f, v36
	v_sub_f32_e32 v37, v37, v42
	v_add_f32_e32 v37, v37, v41
	v_exp_f32_e32 v37, v37
	v_cvt_i32_f32_e32 v41, v42
	v_cmp_ngt_f32_e32 vcc, s50, v36
	s_lshl_b64 s[44:45], s[44:45], 2
	s_add_u32 s43, s33, s44
	v_ldexp_f32 v37, v37, v41
	v_cndmask_b32_e32 v37, 0, v37, vcc
	v_cmp_nlt_f32_e32 vcc, s51, v36
	v_cndmask_b32_e32 v36, v228, v37, vcc
	v_mov_b32_e32 v37, s47
	v_add_f32_e32 v41, v36, v242
	v_cndmask_b32_e64 v243, v37, v36, s[16:17]
	v_sub_f32_e32 v36, v38, v40
	v_mul_f32_e32 v38, 0x3fb8aa3b, v36
	v_cndmask_b32_e64 v37, v242, v41, s[16:17]
	v_fma_f32 v41, v36, s49, -v38
	v_rndne_f32_e32 v42, v38
	v_fmac_f32_e32 v41, 0x32a5705f, v36
	v_sub_f32_e32 v38, v38, v42
	v_add_f32_e32 v38, v38, v41
	v_exp_f32_e32 v38, v38
	v_cvt_i32_f32_e32 v41, v42
	v_cmp_ngt_f32_e32 vcc, s50, v36
	s_addc_u32 s44, s39, s45
	buffer_store_dword v112, off, s[0:3], 0
	buffer_store_dword v112, off, s[0:3], 0 offset:4
	buffer_store_dword v112, off, s[0:3], 0 offset:8
	;; [unrolled: 1-line block ×3, first 2 shown]
	v_ldexp_f32 v38, v38, v41
	v_cndmask_b32_e32 v38, 0, v38, vcc
	v_cmp_nlt_f32_e32 vcc, s51, v36
	v_cndmask_b32_e32 v38, v228, v38, vcc
	v_add_f32_e32 v41, v37, v38
	v_mov_b32_e32 v36, s47
	v_cndmask_b32_e64 v244, v36, v38, s[18:19]
	v_cndmask_b32_e64 v36, v37, v41, s[18:19]
	v_sub_f32_e32 v37, v39, v40
	v_mul_f32_e32 v38, 0x3fb8aa3b, v37
	v_fma_f32 v39, v37, s49, -v38
	v_rndne_f32_e32 v41, v38
	v_fmac_f32_e32 v39, 0x32a5705f, v37
	v_sub_f32_e32 v38, v38, v41
	v_add_f32_e32 v38, v38, v39
	v_exp_f32_e32 v38, v38
	v_cvt_i32_f32_e32 v39, v41
	v_cmp_ngt_f32_e32 vcc, s50, v37
	s_add_i32 s46, s46, 1
	s_add_i32 s42, s42, 64
	v_ldexp_f32 v38, v38, v39
	v_cndmask_b32_e32 v38, 0, v38, vcc
	v_cmp_nlt_f32_e32 vcc, s51, v37
	v_cndmask_b32_e32 v38, v228, v38, vcc
	v_mov_b32_e32 v37, s47
	v_add_f32_e32 v39, v36, v38
	v_cndmask_b32_e64 v245, v37, v38, s[20:21]
	v_mul_f32_e32 v37, 0x3fb8aa3b, v32
	v_cndmask_b32_e64 v36, v36, v39, s[20:21]
	v_fma_f32 v38, v32, s49, -v37
	v_rndne_f32_e32 v39, v37
	v_fmac_f32_e32 v38, 0x32a5705f, v32
	v_sub_f32_e32 v37, v37, v39
	v_add_f32_e32 v37, v37, v38
	v_exp_f32_e32 v37, v37
	v_cvt_i32_f32_e32 v38, v39
	v_cmp_ngt_f32_e32 vcc, s50, v32
	v_ldexp_f32 v37, v37, v38
	v_cndmask_b32_e32 v37, 0, v37, vcc
	v_cmp_nlt_f32_e32 vcc, s51, v32
	v_cndmask_b32_e32 v37, v228, v37, vcc
	v_add_f32_e32 v38, v37, v36
	v_mov_b32_e32 v32, s47
	v_cndmask_b32_e64 v246, v32, v37, s[22:23]
	v_cndmask_b32_e64 v32, v36, v38, s[22:23]
	v_mul_f32_e32 v36, 0x3fb8aa3b, v33
	v_fma_f32 v37, v33, s49, -v36
	v_rndne_f32_e32 v38, v36
	v_fmac_f32_e32 v37, 0x32a5705f, v33
	v_sub_f32_e32 v36, v36, v38
	v_add_f32_e32 v36, v36, v37
	v_exp_f32_e32 v36, v36
	v_cvt_i32_f32_e32 v37, v38
	v_cmp_ngt_f32_e32 vcc, s50, v33
	v_ldexp_f32 v36, v36, v37
	v_cndmask_b32_e32 v36, 0, v36, vcc
	v_cmp_nlt_f32_e32 vcc, s51, v33
	v_cndmask_b32_e32 v36, v228, v36, vcc
	v_add_f32_e32 v37, v36, v32
	v_mov_b32_e32 v33, s47
	v_cndmask_b32_e64 v247, v33, v36, s[24:25]
	v_cndmask_b32_e64 v33, v32, v37, s[24:25]
	v_sub_f32_e32 v32, v34, v40
	v_mul_f32_e32 v34, 0x3fb8aa3b, v32
	v_fma_f32 v36, v32, s49, -v34
	v_rndne_f32_e32 v37, v34
	v_fmac_f32_e32 v36, 0x32a5705f, v32
	v_sub_f32_e32 v34, v34, v37
	v_add_f32_e32 v34, v34, v36
	v_exp_f32_e32 v34, v34
	v_cvt_i32_f32_e32 v36, v37
	v_cmp_ngt_f32_e32 vcc, s50, v32
	v_ldexp_f32 v34, v34, v36
	v_cndmask_b32_e32 v34, 0, v34, vcc
	v_cmp_nlt_f32_e32 vcc, s51, v32
	v_cndmask_b32_e32 v34, v228, v34, vcc
	v_add_f32_e32 v36, v34, v33
	v_mov_b32_e32 v32, s47
	v_cndmask_b32_e64 v248, v32, v34, s[26:27]
	v_cndmask_b32_e64 v32, v33, v36, s[26:27]
	v_sub_f32_e32 v33, v35, v40
	v_mul_f32_e32 v34, 0x3fb8aa3b, v33
	v_fma_f32 v35, v33, s49, -v34
	v_rndne_f32_e32 v36, v34
	v_fmac_f32_e32 v35, 0x32a5705f, v33
	v_sub_f32_e32 v34, v34, v36
	v_add_f32_e32 v34, v34, v35
	v_exp_f32_e32 v34, v34
	v_cvt_i32_f32_e32 v35, v36
	v_cmp_ngt_f32_e32 vcc, s50, v33
	v_ldexp_f32 v34, v34, v35
	v_cndmask_b32_e32 v34, 0, v34, vcc
	v_cmp_nlt_f32_e32 vcc, s51, v33
	v_cndmask_b32_e32 v34, v228, v34, vcc
	v_add_f32_e32 v35, v34, v32
	v_mov_b32_e32 v33, s47
	v_cndmask_b32_e64 v90, v32, v35, s[28:29]
	v_sub_f32_e32 v32, v115, v40
	v_cndmask_b32_e64 v33, v33, v34, s[28:29]
	v_mul_f32_e32 v34, 0x3fb8aa3b, v32
	v_fma_f32 v35, v32, s49, -v34
	v_rndne_f32_e32 v36, v34
	v_fmac_f32_e32 v35, 0x32a5705f, v32
	v_sub_f32_e32 v34, v34, v36
	v_add_f32_e32 v34, v34, v35
	v_exp_f32_e32 v34, v34
	v_cvt_i32_f32_e32 v35, v36
	v_cmp_ngt_f32_e32 vcc, s50, v32
	v_cvt_f16_f32_e32 v33, v33
	v_ldexp_f32 v34, v34, v35
	v_cndmask_b32_e32 v34, 0, v34, vcc
	v_cmp_nlt_f32_e32 vcc, s51, v32
	v_cndmask_b32_e32 v34, v228, v34, vcc
	v_cmp_le_f32_e32 vcc, s53, v32
	v_cndmask_b32_e32 v32, 0, v34, vcc
	v_fmac_f32_e32 v90, v241, v32
	v_cvt_f16_f32_e32 v32, v32
	v_cvt_f16_f32_e32 v34, v243
	;; [unrolled: 1-line block ×3, first 2 shown]
	v_pk_mul_f16 v118, v32, v118 op_sel_hi:[0,1]
	v_pk_mul_f16 v117, v32, v117 op_sel_hi:[0,1]
	v_pk_mul_f16 v239, v32, v239 op_sel_hi:[0,1]
	v_pk_mul_f16 v105, v32, v105 op_sel_hi:[0,1]
	v_pk_mul_f16 v108, v32, v108 op_sel_hi:[0,1]
	v_pk_mul_f16 v107, v32, v107 op_sel_hi:[0,1]
	v_pk_mul_f16 v110, v32, v110 op_sel_hi:[0,1]
	v_pk_mul_f16 v109, v32, v109 op_sel_hi:[0,1]
	v_pk_mul_f16 v120, v32, v120 op_sel_hi:[0,1]
	v_pk_mul_f16 v119, v32, v119 op_sel_hi:[0,1]
	v_pk_mul_f16 v136, v32, v136 op_sel_hi:[0,1]
	v_pk_mul_f16 v135, v32, v135 op_sel_hi:[0,1]
	v_pk_mul_f16 v168, v32, v168 op_sel_hi:[0,1]
	v_pk_mul_f16 v166, v32, v166 op_sel_hi:[0,1]
	v_pk_mul_f16 v238, v32, v238 op_sel_hi:[0,1]
	v_pk_mul_f16 v237, v32, v237 op_sel_hi:[0,1]
	v_pk_mul_f16 v236, v32, v236 op_sel_hi:[0,1]
	v_pk_mul_f16 v235, v32, v235 op_sel_hi:[0,1]
	v_pk_mul_f16 v219, v32, v219 op_sel_hi:[0,1]
	v_pk_mul_f16 v115, v32, v217 op_sel_hi:[0,1]
	v_pk_mul_f16 v49, v32, v232 op_sel_hi:[0,1]
	v_pk_mul_f16 v47, v32, v231 op_sel_hi:[0,1]
	v_pk_mul_f16 v46, v32, v227 op_sel_hi:[0,1]
	v_pk_mul_f16 v45, v32, v225 op_sel_hi:[0,1]
	v_pk_mul_f16 v44, v32, v234 op_sel_hi:[0,1]
	v_pk_mul_f16 v43, v32, v233 op_sel_hi:[0,1]
	v_pk_mul_f16 v42, v32, v223 op_sel_hi:[0,1]
	v_pk_mul_f16 v41, v32, v221 op_sel_hi:[0,1]
	v_pk_mul_f16 v39, v32, v230 op_sel_hi:[0,1]
	v_pk_mul_f16 v38, v32, v229 op_sel_hi:[0,1]
	v_pk_mul_f16 v37, v32, v240 op_sel_hi:[0,1]
	v_pk_mul_f16 v36, v32, v114 op_sel_hi:[0,1]
	v_cvt_f16_f32_e32 v32, v242
	v_cvt_f16_f32_e32 v114, v247
	v_mov_b32_e32 v217, s44
	v_mov_b32_e32 v221, s41
	v_pack_b32_f16 v34, v32, v34
	v_cvt_f16_f32_e32 v32, v244
	v_mov_b32_e32 v223, s44
	v_add_u32_e32 v229, v130, v148
	v_pack_b32_f16 v35, v32, v35
	v_cvt_f16_f32_e32 v32, v246
	v_pack_b32_f16 v32, v32, v114
	v_cvt_f16_f32_e32 v114, v248
	v_pack_b32_f16 v33, v114, v33
	v_add_co_u32_e32 v114, vcc, s43, v78
	v_addc_co_u32_e32 v217, vcc, v217, v79, vcc
	v_add_co_u32_e32 v114, vcc, v114, v200
	v_addc_co_u32_e32 v217, vcc, 0, v217, vcc
	v_cndmask_b32_e64 v231, v221, v217, s[6:7]
	v_mov_b32_e32 v217, s40
	v_cndmask_b32_e64 v230, v217, v114, s[6:7]
	flat_load_dwordx4 v[230:233], v[230:231]
	v_add_co_u32_e32 v114, vcc, s43, v80
	v_addc_co_u32_e32 v223, vcc, v223, v81, vcc
	v_add_co_u32_e32 v114, vcc, v114, v200
	v_addc_co_u32_e32 v223, vcc, 0, v223, vcc
	v_cndmask_b32_e64 v241, v221, v223, s[30:31]
	v_cndmask_b32_e64 v240, v217, v114, s[30:31]
	v_add_co_u32_e32 v114, vcc, s43, v82
	v_mov_b32_e32 v223, s44
	v_addc_co_u32_e32 v223, vcc, v223, v83, vcc
	v_add_co_u32_e32 v114, vcc, v114, v200
	v_addc_co_u32_e32 v223, vcc, 0, v223, vcc
	v_cndmask_b32_e64 v243, v221, v223, s[10:11]
	v_cndmask_b32_e64 v242, v217, v114, s[10:11]
	v_add_co_u32_e32 v114, vcc, s43, v84
	v_mov_b32_e32 v223, s44
	v_addc_co_u32_e32 v223, vcc, v223, v85, vcc
	v_add_co_u32_e32 v114, vcc, v114, v200
	v_addc_co_u32_e32 v223, vcc, 0, v223, vcc
	v_cndmask_b32_e64 v245, v221, v223, s[12:13]
	v_cndmask_b32_e64 v244, v217, v114, s[12:13]
	v_add_u32_e32 v114, v129, v148
	v_cmp_lt_i32_e32 vcc, s46, v111
	s_and_b64 vcc, exec, vcc
	s_waitcnt vmcnt(0) lgkmcnt(0)
	ds_write_b128 v123, v[230:233]
	flat_load_dwordx4 v[230:233], v[240:241]
	s_waitcnt vmcnt(0) lgkmcnt(0)
	ds_write_b128 v124, v[230:233]
	flat_load_dwordx4 v[230:233], v[242:243]
	v_cvt_f32_f16_e32 v242, v45
	v_cvt_f32_f16_sdwa v243, v45 dst_sel:DWORD dst_unused:UNUSED_PAD src0_sel:WORD_1
	s_waitcnt vmcnt(0) lgkmcnt(0)
	ds_write_b128 v125, v[230:233]
	flat_load_dwordx4 v[230:233], v[244:245]
	s_waitcnt vmcnt(0) lgkmcnt(0)
	ds_write_b128 v126, v[230:233]
	s_waitcnt lgkmcnt(0)
	s_barrier
	ds_read_u16 v223, v114 offset:528
	ds_read_u16 v221, v151 offset:1056
	v_add_u32_e32 v114, v129, v149
	v_cvt_f32_f16_e32 v232, v117
	v_cvt_f32_f16_sdwa v233, v117 dst_sel:DWORD dst_unused:UNUSED_PAD src0_sel:WORD_1
	ds_read_u16 v117, v114
	ds_read_u16 v217, v114 offset:32
	v_cvt_f32_f16_e32 v230, v118
	v_cvt_f32_f16_sdwa v231, v118 dst_sel:DWORD dst_unused:UNUSED_PAD src0_sel:WORD_1
	s_waitcnt lgkmcnt(1)
	v_perm_b32 v241, v117, v221, s54
	ds_read_u16 v117, v150
	ds_read_u16 v221, v150 offset:32
	ds_read_u16 v227, v150 offset:16896
	s_waitcnt lgkmcnt(2)
	v_perm_b32 v240, v223, v117, s54
	s_nop 1
	v_mfma_f32_16x16x16f16 v[230:233], v[240:241], v[34:35], v[230:233]
	ds_read_u16 v229, v229 offset:528
	ds_read_u16 v234, v152 offset:1056
	;; [unrolled: 1-line block ×3, first 2 shown]
	s_waitcnt lgkmcnt(0)
	v_perm_b32 v241, v240, v234, s54
	v_perm_b32 v240, v229, v227, s54
	s_nop 4
	v_cvt_f16_f32_e32 v117, v230
	v_cvt_f16_f32_e32 v118, v231
	;; [unrolled: 1-line block ×4, first 2 shown]
	v_cvt_f32_f16_e32 v230, v117
	v_cvt_f32_f16_e32 v231, v118
	;; [unrolled: 1-line block ×4, first 2 shown]
	s_nop 1
	v_mfma_f32_16x16x16f16 v[230:233], v[240:241], v[32:33], v[230:233]
	s_nop 7
	s_nop 2
	v_cvt_f16_f32_e32 v117, v230
	v_cvt_f16_f32_e32 v118, v231
	;; [unrolled: 1-line block ×4, first 2 shown]
	v_cvt_f32_f16_e32 v230, v239
	v_pack_b32_f16 v118, v117, v118
	v_cvt_f32_f16_sdwa v231, v239 dst_sel:DWORD dst_unused:UNUSED_PAD src0_sel:WORD_1
	v_pack_b32_f16 v117, v223, v225
	v_add_u32_e32 v223, v131, v148
	ds_read_u16 v223, v223 offset:528
	ds_read_u16 v225, v153 offset:1056
	v_cvt_f32_f16_e32 v232, v105
	v_cvt_f32_f16_sdwa v233, v105 dst_sel:DWORD dst_unused:UNUSED_PAD src0_sel:WORD_1
	s_waitcnt lgkmcnt(1)
	v_perm_b32 v240, v223, v221, s54
	s_waitcnt lgkmcnt(0)
	v_perm_b32 v241, v217, v225, s54
	ds_read_u16 v225, v154 offset:16896
	ds_read_u16 v227, v206 offset:528
	ds_read_u16 v229, v155 offset:1056
	v_mfma_f32_16x16x16f16 v[230:233], v[240:241], v[34:35], v[230:233]
	s_waitcnt lgkmcnt(1)
	v_perm_b32 v240, v227, v225, s54
	s_nop 7
	s_nop 0
	v_cvt_f16_f32_e32 v105, v230
	v_add_u32_e32 v230, v131, v149
	ds_read_u16 v234, v230 offset:16896
	v_cvt_f16_f32_e32 v217, v231
	v_cvt_f16_f32_e32 v221, v232
	;; [unrolled: 1-line block ×3, first 2 shown]
	v_cvt_f32_f16_e32 v230, v105
	s_waitcnt lgkmcnt(0)
	v_perm_b32 v241, v234, v229, s54
	v_cvt_f32_f16_e32 v231, v217
	v_cvt_f32_f16_e32 v232, v221
	;; [unrolled: 1-line block ×3, first 2 shown]
	v_add_u32_e32 v229, v132, v149
	s_nop 0
	v_mfma_f32_16x16x16f16 v[230:233], v[240:241], v[32:33], v[230:233]
	s_nop 7
	s_nop 2
	v_cvt_f16_f32_e32 v105, v230
	v_cvt_f16_f32_e32 v217, v231
	;; [unrolled: 1-line block ×4, first 2 shown]
	v_cvt_f32_f16_e32 v230, v108
	v_pack_b32_f16 v239, v105, v217
	ds_read_u16 v217, v150 offset:64
	v_pack_b32_f16 v105, v221, v223
	v_add_u32_e32 v221, v132, v148
	ds_read_u16 v221, v221 offset:528
	ds_read_u16 v223, v156 offset:1056
	;; [unrolled: 1-line block ×3, first 2 shown]
	v_cvt_f32_f16_sdwa v231, v108 dst_sel:DWORD dst_unused:UNUSED_PAD src0_sel:WORD_1
	v_cvt_f32_f16_e32 v232, v107
	s_waitcnt lgkmcnt(2)
	v_perm_b32 v240, v221, v217, s54
	v_cvt_f32_f16_sdwa v233, v107 dst_sel:DWORD dst_unused:UNUSED_PAD src0_sel:WORD_1
	s_waitcnt lgkmcnt(0)
	v_perm_b32 v241, v225, v223, s54
	ds_read_u16 v223, v157 offset:16896
	ds_read_u16 v225, v207 offset:528
	ds_read_u16 v227, v158 offset:1056
	v_mfma_f32_16x16x16f16 v[230:233], v[240:241], v[34:35], v[230:233]
	ds_read_u16 v229, v229 offset:16896
	s_waitcnt lgkmcnt(2)
	v_perm_b32 v240, v225, v223, s54
	s_waitcnt lgkmcnt(0)
	v_perm_b32 v241, v229, v227, s54
	v_add_u32_e32 v229, v133, v149
	s_nop 4
	v_cvt_f16_f32_e32 v107, v230
	v_cvt_f16_f32_e32 v108, v231
	v_cvt_f16_f32_e32 v217, v232
	v_cvt_f16_f32_e32 v221, v233
	v_cvt_f32_f16_e32 v230, v107
	v_cvt_f32_f16_e32 v231, v108
	v_cvt_f32_f16_e32 v232, v217
	v_cvt_f32_f16_e32 v233, v221
	s_nop 1
	v_mfma_f32_16x16x16f16 v[230:233], v[240:241], v[32:33], v[230:233]
	s_nop 7
	s_nop 2
	v_cvt_f16_f32_e32 v107, v230
	v_cvt_f16_f32_e32 v108, v231
	v_cvt_f16_f32_e32 v217, v232
	v_cvt_f16_f32_e32 v221, v233
	v_cvt_f32_f16_e32 v230, v110
	v_pack_b32_f16 v108, v107, v108
	v_cvt_f32_f16_sdwa v231, v110 dst_sel:DWORD dst_unused:UNUSED_PAD src0_sel:WORD_1
	v_pack_b32_f16 v107, v217, v221
	v_add_u32_e32 v221, v133, v148
	ds_read_u16 v217, v150 offset:96
	ds_read_u16 v221, v221 offset:528
	ds_read_u16 v223, v159 offset:1056
	ds_read_u16 v225, v114 offset:96
	v_cvt_f32_f16_e32 v232, v109
	v_cvt_f32_f16_sdwa v233, v109 dst_sel:DWORD dst_unused:UNUSED_PAD src0_sel:WORD_1
	s_waitcnt lgkmcnt(2)
	v_perm_b32 v240, v221, v217, s54
	s_waitcnt lgkmcnt(0)
	v_perm_b32 v241, v225, v223, s54
	ds_read_u16 v223, v160 offset:16896
	ds_read_u16 v225, v208 offset:528
	ds_read_u16 v227, v161 offset:1056
	v_mfma_f32_16x16x16f16 v[230:233], v[240:241], v[34:35], v[230:233]
	ds_read_u16 v229, v229 offset:16896
	s_waitcnt lgkmcnt(2)
	v_perm_b32 v240, v225, v223, s54
	s_waitcnt lgkmcnt(0)
	v_perm_b32 v241, v229, v227, s54
	v_add_u32_e32 v229, v134, v149
	s_nop 4
	v_cvt_f16_f32_e32 v109, v230
	v_cvt_f16_f32_e32 v110, v231
	v_cvt_f16_f32_e32 v217, v232
	v_cvt_f16_f32_e32 v221, v233
	v_cvt_f32_f16_e32 v230, v109
	v_cvt_f32_f16_e32 v231, v110
	v_cvt_f32_f16_e32 v232, v217
	v_cvt_f32_f16_e32 v233, v221
	s_nop 1
	v_mfma_f32_16x16x16f16 v[230:233], v[240:241], v[32:33], v[230:233]
	s_nop 7
	s_nop 2
	v_cvt_f16_f32_e32 v109, v230
	v_cvt_f16_f32_e32 v110, v231
	v_cvt_f16_f32_e32 v217, v232
	v_cvt_f16_f32_e32 v221, v233
	v_cvt_f32_f16_e32 v230, v120
	v_pack_b32_f16 v110, v109, v110
	v_cvt_f32_f16_sdwa v231, v120 dst_sel:DWORD dst_unused:UNUSED_PAD src0_sel:WORD_1
	v_pack_b32_f16 v109, v217, v221
	v_add_u32_e32 v221, v134, v148
	ds_read_u16 v217, v150 offset:128
	ds_read_u16 v221, v221 offset:528
	ds_read_u16 v223, v162 offset:1056
	ds_read_u16 v225, v114 offset:128
	v_cvt_f32_f16_e32 v232, v119
	v_cvt_f32_f16_sdwa v233, v119 dst_sel:DWORD dst_unused:UNUSED_PAD src0_sel:WORD_1
	s_waitcnt lgkmcnt(2)
	v_perm_b32 v240, v221, v217, s54
	;; [unrolled: 42-line block ×4, first 2 shown]
	s_waitcnt lgkmcnt(0)
	v_perm_b32 v241, v225, v223, s54
	ds_read_u16 v223, v171 offset:16896
	ds_read_u16 v225, v211 offset:528
	;; [unrolled: 1-line block ×3, first 2 shown]
	v_mfma_f32_16x16x16f16 v[230:233], v[240:241], v[34:35], v[230:233]
	ds_read_u16 v229, v229 offset:16896
	s_waitcnt lgkmcnt(2)
	v_perm_b32 v240, v225, v223, s54
	s_waitcnt lgkmcnt(0)
	v_perm_b32 v241, v229, v227, s54
	s_nop 5
	v_cvt_f16_f32_e32 v166, v230
	v_cvt_f16_f32_e32 v168, v231
	;; [unrolled: 1-line block ×4, first 2 shown]
	v_cvt_f32_f16_e32 v230, v166
	v_cvt_f32_f16_e32 v231, v168
	;; [unrolled: 1-line block ×4, first 2 shown]
	s_nop 1
	v_mfma_f32_16x16x16f16 v[230:233], v[240:241], v[32:33], v[230:233]
	s_nop 7
	s_nop 2
	v_cvt_f16_f32_e32 v166, v230
	v_cvt_f16_f32_e32 v168, v231
	;; [unrolled: 1-line block ×4, first 2 shown]
	v_cvt_f32_f16_e32 v230, v238
	v_pack_b32_f16 v168, v166, v168
	v_cvt_f32_f16_sdwa v231, v238 dst_sel:DWORD dst_unused:UNUSED_PAD src0_sel:WORD_1
	v_pack_b32_f16 v166, v217, v221
	v_add_u32_e32 v221, v139, v148
	ds_read_u16 v217, v150 offset:224
	ds_read_u16 v221, v221 offset:528
	;; [unrolled: 1-line block ×4, first 2 shown]
	v_cvt_f32_f16_e32 v232, v237
	v_cvt_f32_f16_sdwa v233, v237 dst_sel:DWORD dst_unused:UNUSED_PAD src0_sel:WORD_1
	ds_read_u16 v227, v174 offset:16896
	ds_read_u16 v229, v212 offset:528
	;; [unrolled: 1-line block ×3, first 2 shown]
	s_waitcnt lgkmcnt(5)
	v_perm_b32 v240, v221, v217, s54
	s_waitcnt lgkmcnt(3)
	v_perm_b32 v241, v225, v223, s54
	s_nop 1
	v_mfma_f32_16x16x16f16 v[230:233], v[240:241], v[34:35], v[230:233]
	s_waitcnt lgkmcnt(1)
	v_perm_b32 v240, v229, v227, s54
	s_nop 7
	s_nop 0
	v_cvt_f16_f32_e32 v217, v230
	v_add_u32_e32 v230, v139, v149
	ds_read_u16 v237, v230 offset:16896
	v_cvt_f16_f32_e32 v221, v231
	v_cvt_f16_f32_e32 v223, v232
	;; [unrolled: 1-line block ×3, first 2 shown]
	v_cvt_f32_f16_e32 v230, v217
	s_waitcnt lgkmcnt(0)
	v_perm_b32 v241, v237, v234, s54
	v_cvt_f32_f16_e32 v231, v221
	v_cvt_f32_f16_e32 v232, v223
	v_cvt_f32_f16_e32 v233, v225
	s_nop 1
	v_mfma_f32_16x16x16f16 v[230:233], v[240:241], v[32:33], v[230:233]
	s_nop 7
	s_nop 2
	v_cvt_f16_f32_e32 v217, v230
	v_cvt_f16_f32_e32 v221, v231
	;; [unrolled: 1-line block ×4, first 2 shown]
	v_cvt_f32_f16_e32 v232, v235
	v_pack_b32_f16 v238, v217, v221
	v_add_u32_e32 v221, v140, v148
	v_pack_b32_f16 v237, v223, v225
	ds_read_u16 v217, v150 offset:256
	ds_read_u16 v221, v221 offset:528
	;; [unrolled: 1-line block ×4, first 2 shown]
	v_cvt_f32_f16_sdwa v233, v235 dst_sel:DWORD dst_unused:UNUSED_PAD src0_sel:WORD_1
	v_cvt_f32_f16_e32 v230, v236
	v_cvt_f32_f16_sdwa v231, v236 dst_sel:DWORD dst_unused:UNUSED_PAD src0_sel:WORD_1
	s_waitcnt lgkmcnt(2)
	v_perm_b32 v234, v221, v217, s54
	s_waitcnt lgkmcnt(0)
	v_perm_b32 v235, v225, v223, s54
	s_nop 1
	v_mfma_f32_16x16x16f16 v[230:233], v[234:235], v[34:35], v[230:233]
	ds_read_u16 v227, v177 offset:16896
	ds_read_u16 v229, v213 offset:528
	;; [unrolled: 1-line block ×3, first 2 shown]
	s_nop 7
	v_cvt_f16_f32_e32 v217, v230
	v_add_u32_e32 v230, v140, v149
	ds_read_u16 v235, v230 offset:16896
	v_cvt_f16_f32_e32 v221, v231
	v_cvt_f16_f32_e32 v223, v232
	;; [unrolled: 1-line block ×3, first 2 shown]
	v_cvt_f32_f16_e32 v230, v217
	s_waitcnt lgkmcnt(0)
	v_perm_b32 v235, v235, v234, s54
	v_perm_b32 v234, v229, v227, s54
	v_cvt_f32_f16_e32 v231, v221
	v_cvt_f32_f16_e32 v232, v223
	;; [unrolled: 1-line block ×3, first 2 shown]
	v_add_u32_e32 v229, v141, v149
	s_nop 0
	v_mfma_f32_16x16x16f16 v[230:233], v[234:235], v[32:33], v[230:233]
	s_nop 7
	s_nop 2
	v_cvt_f16_f32_e32 v217, v230
	v_cvt_f16_f32_e32 v221, v231
	;; [unrolled: 1-line block ×4, first 2 shown]
	v_cvt_f32_f16_e32 v230, v219
	v_pack_b32_f16 v236, v217, v221
	v_add_u32_e32 v221, v141, v148
	v_pack_b32_f16 v235, v223, v225
	ds_read_u16 v217, v150 offset:288
	ds_read_u16 v221, v221 offset:528
	;; [unrolled: 1-line block ×4, first 2 shown]
	v_cvt_f32_f16_sdwa v231, v219 dst_sel:DWORD dst_unused:UNUSED_PAD src0_sel:WORD_1
	v_cvt_f32_f16_e32 v232, v115
	v_cvt_f32_f16_sdwa v233, v115 dst_sel:DWORD dst_unused:UNUSED_PAD src0_sel:WORD_1
	s_waitcnt lgkmcnt(2)
	v_perm_b32 v240, v221, v217, s54
	s_waitcnt lgkmcnt(0)
	v_perm_b32 v241, v225, v223, s54
	ds_read_u16 v223, v180 offset:16896
	ds_read_u16 v225, v214 offset:528
	;; [unrolled: 1-line block ×3, first 2 shown]
	v_mfma_f32_16x16x16f16 v[230:233], v[240:241], v[34:35], v[230:233]
	ds_read_u16 v229, v229 offset:16896
	s_waitcnt lgkmcnt(2)
	v_perm_b32 v240, v225, v223, s54
	s_waitcnt lgkmcnt(0)
	v_perm_b32 v241, v229, v227, s54
	v_add_u32_e32 v229, v142, v149
	s_nop 4
	v_cvt_f16_f32_e32 v115, v230
	v_cvt_f16_f32_e32 v217, v231
	;; [unrolled: 1-line block ×4, first 2 shown]
	v_cvt_f32_f16_e32 v230, v115
	v_cvt_f32_f16_e32 v231, v217
	;; [unrolled: 1-line block ×4, first 2 shown]
	s_nop 1
	v_mfma_f32_16x16x16f16 v[230:233], v[240:241], v[32:33], v[230:233]
	s_nop 7
	s_nop 2
	v_cvt_f16_f32_e32 v115, v230
	v_cvt_f16_f32_e32 v217, v231
	;; [unrolled: 1-line block ×4, first 2 shown]
	v_cvt_f32_f16_e32 v230, v49
	v_pack_b32_f16 v219, v115, v217
	ds_read_u16 v115, v150 offset:320
	v_pack_b32_f16 v217, v221, v223
	v_add_u32_e32 v221, v142, v148
	ds_read_u16 v221, v221 offset:528
	ds_read_u16 v223, v182 offset:1056
	ds_read_u16 v225, v114 offset:320
	v_cvt_f32_f16_sdwa v231, v49 dst_sel:DWORD dst_unused:UNUSED_PAD src0_sel:WORD_1
	v_cvt_f32_f16_e32 v232, v47
	s_waitcnt lgkmcnt(2)
	v_perm_b32 v240, v221, v115, s54
	v_cvt_f32_f16_sdwa v233, v47 dst_sel:DWORD dst_unused:UNUSED_PAD src0_sel:WORD_1
	s_waitcnt lgkmcnt(0)
	v_perm_b32 v241, v225, v223, s54
	ds_read_u16 v223, v183 offset:16896
	ds_read_u16 v225, v215 offset:528
	ds_read_u16 v227, v184 offset:1056
	v_mfma_f32_16x16x16f16 v[230:233], v[240:241], v[34:35], v[230:233]
	ds_read_u16 v229, v229 offset:16896
	s_waitcnt lgkmcnt(2)
	v_perm_b32 v240, v225, v223, s54
	v_add_u32_e32 v225, v143, v149
	s_waitcnt lgkmcnt(0)
	v_perm_b32 v241, v229, v227, s54
	s_nop 4
	v_cvt_f16_f32_e32 v47, v230
	v_cvt_f16_f32_e32 v49, v231
	;; [unrolled: 1-line block ×4, first 2 shown]
	v_cvt_f32_f16_e32 v230, v47
	v_cvt_f32_f16_e32 v231, v49
	;; [unrolled: 1-line block ×4, first 2 shown]
	s_nop 1
	v_mfma_f32_16x16x16f16 v[230:233], v[240:241], v[32:33], v[230:233]
	v_cvt_f32_f16_e32 v240, v46
	v_cvt_f32_f16_sdwa v241, v46 dst_sel:DWORD dst_unused:UNUSED_PAD src0_sel:WORD_1
	s_nop 7
	s_nop 0
	v_cvt_f16_f32_e32 v47, v230
	v_cvt_f16_f32_e32 v49, v231
	v_cvt_f16_f32_e32 v115, v232
	v_cvt_f16_f32_e32 v221, v233
	v_pack_b32_f16 v232, v47, v49
	v_add_u32_e32 v47, v143, v148
	v_pack_b32_f16 v231, v115, v221
	ds_read_u16 v49, v150 offset:352
	ds_read_u16 v115, v47 offset:528
	ds_read_u16 v47, v185 offset:1056
	ds_read_u16 v221, v114 offset:352
	s_waitcnt lgkmcnt(2)
	v_perm_b32 v46, v115, v49, s54
	s_waitcnt lgkmcnt(0)
	v_perm_b32 v47, v221, v47, s54
	ds_read_u16 v115, v186 offset:16896
	ds_read_u16 v221, v216 offset:528
	;; [unrolled: 1-line block ×3, first 2 shown]
	v_mfma_f32_16x16x16f16 v[240:243], v[46:47], v[34:35], v[240:243]
	ds_read_u16 v225, v225 offset:16896
	s_nop 7
	s_nop 1
	v_cvt_f16_f32_e32 v46, v241
	v_cvt_f16_f32_e32 v47, v242
	;; [unrolled: 1-line block ×4, first 2 shown]
	v_cvt_f32_f16_e32 v241, v46
	v_cvt_f32_f16_e32 v242, v47
	s_waitcnt lgkmcnt(0)
	v_perm_b32 v47, v225, v223, s54
	v_perm_b32 v46, v221, v115, s54
	v_cvt_f32_f16_e32 v240, v45
	v_cvt_f32_f16_e32 v243, v49
	s_nop 1
	v_mfma_f32_16x16x16f16 v[240:243], v[46:47], v[32:33], v[240:243]
	s_nop 7
	s_nop 2
	v_cvt_f16_f32_e32 v45, v240
	v_cvt_f16_f32_e32 v46, v241
	;; [unrolled: 1-line block ×4, first 2 shown]
	v_cvt_f32_f16_e32 v240, v44
	v_pack_b32_f16 v227, v45, v46
	v_add_u32_e32 v45, v144, v148
	v_pack_b32_f16 v225, v47, v49
	ds_read_u16 v46, v150 offset:384
	ds_read_u16 v47, v45 offset:528
	;; [unrolled: 1-line block ×4, first 2 shown]
	v_cvt_f32_f16_sdwa v241, v44 dst_sel:DWORD dst_unused:UNUSED_PAD src0_sel:WORD_1
	v_cvt_f32_f16_e32 v242, v43
	v_cvt_f32_f16_sdwa v243, v43 dst_sel:DWORD dst_unused:UNUSED_PAD src0_sel:WORD_1
	s_waitcnt lgkmcnt(2)
	v_perm_b32 v44, v47, v46, s54
	s_waitcnt lgkmcnt(0)
	v_perm_b32 v45, v49, v45, s54
	ds_read_u16 v49, v189 offset:16896
	ds_read_u16 v115, v218 offset:528
	;; [unrolled: 1-line block ×3, first 2 shown]
	v_mfma_f32_16x16x16f16 v[44:47], v[44:45], v[34:35], v[240:243]
	s_waitcnt lgkmcnt(1)
	s_nop 5
	v_perm_b32 v240, v115, v49, s54
	ds_read_u16 v49, v150 offset:416
	s_nop 1
	v_cvt_f16_f32_e32 v43, v44
	v_add_u32_e32 v44, v144, v149
	ds_read_u16 v223, v44 offset:16896
	v_cvt_f16_f32_e32 v45, v45
	v_cvt_f16_f32_e32 v46, v46
	;; [unrolled: 1-line block ×3, first 2 shown]
	v_cvt_f32_f16_e32 v44, v43
	s_waitcnt lgkmcnt(0)
	v_perm_b32 v241, v223, v221, s54
	v_cvt_f32_f16_e32 v45, v45
	v_cvt_f32_f16_e32 v46, v46
	;; [unrolled: 1-line block ×3, first 2 shown]
	s_nop 1
	v_mfma_f32_16x16x16f16 v[44:47], v[240:241], v[32:33], v[44:47]
	s_nop 7
	s_nop 2
	v_cvt_f16_f32_e32 v43, v44
	v_cvt_f16_f32_e32 v44, v45
	;; [unrolled: 1-line block ×4, first 2 shown]
	v_cvt_f32_f16_sdwa v47, v41 dst_sel:DWORD dst_unused:UNUSED_PAD src0_sel:WORD_1
	v_pack_b32_f16 v234, v43, v44
	v_add_u32_e32 v43, v145, v148
	ds_read_u16 v115, v43 offset:528
	ds_read_u16 v43, v191 offset:1056
	;; [unrolled: 1-line block ×3, first 2 shown]
	v_pack_b32_f16 v233, v45, v46
	v_cvt_f32_f16_e32 v44, v42
	v_cvt_f32_f16_sdwa v45, v42 dst_sel:DWORD dst_unused:UNUSED_PAD src0_sel:WORD_1
	s_waitcnt lgkmcnt(2)
	v_perm_b32 v42, v115, v49, s54
	s_waitcnt lgkmcnt(0)
	v_perm_b32 v43, v221, v43, s54
	v_cvt_f32_f16_e32 v46, v41
	s_nop 1
	v_mfma_f32_16x16x16f16 v[42:45], v[42:43], v[34:35], v[44:47]
	s_nop 6
	ds_read_u16 v46, v192 offset:16896
	ds_read_u16 v49, v220 offset:528
	;; [unrolled: 1-line block ×3, first 2 shown]
	s_waitcnt lgkmcnt(1)
	v_perm_b32 v46, v49, v46, s54
	v_cvt_f16_f32_e32 v41, v42
	v_add_u32_e32 v42, v145, v149
	ds_read_u16 v115, v42 offset:16896
	v_cvt_f16_f32_e32 v43, v43
	v_cvt_f16_f32_e32 v44, v44
	v_cvt_f16_f32_e32 v45, v45
	v_cvt_f32_f16_e32 v42, v41
	s_waitcnt lgkmcnt(0)
	v_perm_b32 v47, v115, v47, s54
	v_cvt_f32_f16_e32 v43, v43
	v_cvt_f32_f16_e32 v44, v44
	;; [unrolled: 1-line block ×3, first 2 shown]
	s_nop 1
	v_mfma_f32_16x16x16f16 v[42:45], v[46:47], v[32:33], v[42:45]
	s_nop 7
	s_nop 2
	v_cvt_f16_f32_e32 v41, v42
	v_cvt_f16_f32_e32 v42, v43
	;; [unrolled: 1-line block ×4, first 2 shown]
	v_cvt_f32_f16_sdwa v45, v38 dst_sel:DWORD dst_unused:UNUSED_PAD src0_sel:WORD_1
	v_pack_b32_f16 v223, v41, v42
	v_add_u32_e32 v42, v146, v148
	ds_read_u16 v41, v150 offset:448
	ds_read_u16 v46, v42 offset:528
	;; [unrolled: 1-line block ×4, first 2 shown]
	v_pack_b32_f16 v221, v43, v44
	v_cvt_f32_f16_e32 v42, v39
	v_cvt_f32_f16_sdwa v43, v39 dst_sel:DWORD dst_unused:UNUSED_PAD src0_sel:WORD_1
	v_cvt_f32_f16_e32 v44, v38
	s_waitcnt lgkmcnt(0)
	v_perm_b32 v39, v49, v47, s54
	v_perm_b32 v38, v46, v41, s54
	ds_read_u16 v46, v195 offset:16896
	ds_read_u16 v47, v222 offset:528
	;; [unrolled: 1-line block ×3, first 2 shown]
	v_mfma_f32_16x16x16f16 v[42:45], v[38:39], v[34:35], v[42:45]
	s_nop 7
	s_nop 2
	v_cvt_f16_f32_e32 v38, v42
	v_add_u32_e32 v42, v146, v149
	ds_read_u16 v115, v42 offset:16896
	v_cvt_f16_f32_e32 v39, v43
	v_cvt_f16_f32_e32 v41, v44
	;; [unrolled: 1-line block ×3, first 2 shown]
	v_cvt_f32_f16_e32 v42, v38
	v_cvt_f32_f16_e32 v43, v39
	s_waitcnt lgkmcnt(0)
	v_perm_b32 v39, v115, v49, s54
	v_perm_b32 v38, v47, v46, s54
	v_cvt_f32_f16_e32 v44, v41
	v_cvt_f32_f16_e32 v45, v45
	s_nop 1
	v_mfma_f32_16x16x16f16 v[42:45], v[38:39], v[32:33], v[42:45]
	s_nop 7
	s_nop 2
	v_cvt_f16_f32_e32 v38, v42
	v_cvt_f16_f32_e32 v39, v43
	v_cvt_f16_f32_e32 v41, v44
	v_cvt_f16_f32_e32 v42, v45
	v_cvt_f32_f16_sdwa v43, v37 dst_sel:DWORD dst_unused:UNUSED_PAD src0_sel:WORD_1
	v_pack_b32_f16 v230, v38, v39
	v_add_u32_e32 v39, v147, v148
	v_pack_b32_f16 v229, v41, v42
	ds_read_u16 v38, v150 offset:480
	ds_read_u16 v39, v39 offset:528
	ds_read_u16 v41, v197 offset:1056
	ds_read_u16 v46, v114 offset:480
	v_cvt_f32_f16_e32 v42, v37
	v_cvt_f32_f16_e32 v44, v36
	v_cvt_f32_f16_sdwa v45, v36 dst_sel:DWORD dst_unused:UNUSED_PAD src0_sel:WORD_1
	s_waitcnt lgkmcnt(2)
	v_perm_b32 v36, v39, v38, s54
	s_waitcnt lgkmcnt(0)
	v_perm_b32 v37, v46, v41, s54
	ds_read_u16 v38, v198 offset:16896
	ds_read_u16 v41, v224 offset:528
	;; [unrolled: 1-line block ×3, first 2 shown]
	v_mfma_f32_16x16x16f16 v[34:37], v[36:37], v[34:35], v[42:45]
	s_waitcnt lgkmcnt(1)
	v_perm_b32 v38, v41, v38, s54
	s_nop 4
	v_add_u32_e32 v42, v147, v149
	ds_read_u16 v42, v42 offset:16896
	s_waitcnt lgkmcnt(0)
	s_nop 0
	v_cvt_f16_f32_e32 v34, v34
	v_cvt_f16_f32_e32 v35, v35
	;; [unrolled: 1-line block ×4, first 2 shown]
	v_perm_b32 v39, v42, v39, s54
	v_cvt_f32_f16_e32 v34, v34
	v_cvt_f32_f16_e32 v35, v35
	;; [unrolled: 1-line block ×4, first 2 shown]
	s_barrier
	s_nop 0
	v_mfma_f32_16x16x16f16 v[32:35], v[38:39], v[32:33], v[34:37]
	s_nop 7
	s_nop 2
	v_cvt_f16_f32_e32 v32, v32
	v_cvt_f16_f32_e32 v33, v33
	;; [unrolled: 1-line block ×4, first 2 shown]
	v_pack_b32_f16 v240, v32, v33
	v_pack_b32_f16 v114, v34, v35
	s_cbranch_vccz .LBB30_695
; %bb.692:                              ;   in Loop: Header=BB30_656 Depth=1
	v_mov_b32_e32 v241, v90
	v_mov_b32_e32 v115, v40
	s_andn2_b64 vcc, exec, s[36:37]
	s_ashr_i32 s43, s42, 31
	s_cbranch_vccz .LBB30_651
	s_branch .LBB30_656
.LBB30_693:                             ;   in Loop: Header=BB30_656 Depth=1
                                        ; implicit-def: $vgpr36_vgpr37_vgpr38_vgpr39
                                        ; implicit-def: $vgpr32_vgpr33_vgpr34_vgpr35
	s_branch .LBB30_690
.LBB30_694:
	v_mov_b32_e32 v90, 0
	v_mov_b32_e32 v40, 0xfeffffff
	;; [unrolled: 1-line block ×33, first 2 shown]
	s_branch .LBB30_696
.LBB30_695:
	buffer_load_dword v241, off, s[0:3], 0 offset:256 ; 4-byte Folded Reload
.LBB30_696:
	s_lshl_b32 s12, s46, 6
	v_readlane_b32 s4, v254, 4
	s_sub_i32 s22, s4, s12
	s_cmp_lg_u64 s[34:35], 0
	s_cselect_b64 s[16:17], -1, 0
	s_ashr_i32 s13, s12, 31
	s_cmp_eq_u64 s[34:35], 0
	v_readlane_b32 s5, v254, 5
	s_cbranch_scc1 .LBB30_714
; %bb.697:
	s_lshl_b64 s[4:5], s[12:13], 1
	s_add_u32 s4, s34, s4
	s_addc_u32 s5, s35, s5
	v_mov_b32_e32 v33, s5
	v_add_co_u32_e64 v32, s[4:5], s4, v106
	v_cmp_gt_i32_e32 vcc, s22, v66
	v_mov_b32_e32 v35, 0
	v_addc_co_u32_e64 v33, s[4:5], 0, v33, s[4:5]
	v_mov_b32_e32 v37, 0
	s_and_saveexec_b64 s[6:7], vcc
	s_cbranch_execz .LBB30_699
; %bb.698:
	v_readlane_b32 s4, v254, 10
	v_mul_hi_u32 v34, s4, v94
	v_readlane_b32 s5, v254, 11
	v_add_u32_e32 v34, v94, v34
	v_lshrrev_b32_e32 v34, s5, v34
	v_mul_lo_u32 v34, v34, s84
	v_sub_u32_e32 v34, v94, v34
	v_mad_i64_i32 v[36:37], s[4:5], v34, s82, 0
	v_lshlrev_b64 v[36:37], 1, v[36:37]
	v_add_co_u32_e64 v36, s[4:5], v32, v36
	v_addc_co_u32_e64 v37, s[4:5], v33, v37, s[4:5]
	flat_load_ushort v37, v[36:37]
.LBB30_699:
	s_or_b64 exec, exec, s[6:7]
	v_lshl_add_u32 v34, v66, 1, 0
	s_movk_i32 s4, 0x90
	s_waitcnt vmcnt(0)
	v_mul_u32_u24_e32 v36, 0x90, v241
	v_mad_u32_u24 v38, v241, s4, v34
	s_waitcnt lgkmcnt(0)
	ds_write_b16 v38, v37 offset:33792
	s_and_saveexec_b64 s[6:7], vcc
	s_cbranch_execz .LBB30_701
; %bb.700:
	v_readlane_b32 s4, v254, 10
	v_mul_hi_u32 v35, s4, v95
	v_readlane_b32 s5, v254, 11
	v_add_u32_e32 v35, v95, v35
	v_lshrrev_b32_e32 v35, s5, v35
	v_mul_lo_u32 v35, v35, s84
	v_sub_u32_e32 v35, v95, v35
	v_mad_i64_i32 v[38:39], s[4:5], v35, s82, 0
	v_lshlrev_b64 v[38:39], 1, v[38:39]
	v_add_co_u32_e64 v38, s[4:5], v32, v38
	v_addc_co_u32_e64 v39, s[4:5], v33, v39, s[4:5]
	flat_load_ushort v35, v[38:39]
.LBB30_701:
	s_or_b64 exec, exec, s[6:7]
	v_add_u32_e32 v34, v36, v34
	s_waitcnt vmcnt(0) lgkmcnt(0)
	ds_write_b16 v34, v35 offset:34944
	v_mov_b32_e32 v35, 0
	v_mov_b32_e32 v36, 0
	s_and_saveexec_b64 s[6:7], vcc
	s_cbranch_execz .LBB30_703
; %bb.702:
	v_readlane_b32 s4, v254, 10
	v_mul_hi_u32 v36, s4, v96
	v_readlane_b32 s5, v254, 11
	v_add_u32_e32 v36, v96, v36
	v_lshrrev_b32_e32 v36, s5, v36
	v_mul_lo_u32 v36, v36, s84
	v_sub_u32_e32 v36, v96, v36
	v_mad_i64_i32 v[36:37], s[4:5], v36, s82, 0
	v_lshlrev_b64 v[36:37], 1, v[36:37]
	v_add_co_u32_e64 v36, s[4:5], v32, v36
	v_addc_co_u32_e64 v37, s[4:5], v33, v37, s[4:5]
	flat_load_ushort v36, v[36:37]
.LBB30_703:
	s_or_b64 exec, exec, s[6:7]
	s_waitcnt vmcnt(0) lgkmcnt(0)
	ds_write_b16 v34, v36 offset:36096
	s_and_saveexec_b64 s[6:7], vcc
	s_cbranch_execz .LBB30_705
; %bb.704:
	v_readlane_b32 s4, v254, 10
	v_mul_hi_u32 v35, s4, v97
	v_readlane_b32 s5, v254, 11
	v_add_u32_e32 v35, v97, v35
	v_lshrrev_b32_e32 v35, s5, v35
	v_mul_lo_u32 v35, v35, s84
	v_sub_u32_e32 v35, v97, v35
	v_mad_i64_i32 v[36:37], s[4:5], v35, s82, 0
	v_lshlrev_b64 v[36:37], 1, v[36:37]
	v_add_co_u32_e64 v36, s[4:5], v32, v36
	v_addc_co_u32_e64 v37, s[4:5], v33, v37, s[4:5]
	flat_load_ushort v35, v[36:37]
.LBB30_705:
	s_or_b64 exec, exec, s[6:7]
	s_waitcnt vmcnt(0) lgkmcnt(0)
	ds_write_b16 v34, v35 offset:37248
	v_mov_b32_e32 v35, 0
	v_mov_b32_e32 v36, 0
	s_and_saveexec_b64 s[6:7], vcc
	s_cbranch_execz .LBB30_707
; %bb.706:
	v_readlane_b32 s4, v254, 10
	v_mul_hi_u32 v36, s4, v98
	v_readlane_b32 s5, v254, 11
	v_add_u32_e32 v36, v98, v36
	v_lshrrev_b32_e32 v36, s5, v36
	v_mul_lo_u32 v36, v36, s84
	v_sub_u32_e32 v36, v98, v36
	v_mad_i64_i32 v[36:37], s[4:5], v36, s82, 0
	v_lshlrev_b64 v[36:37], 1, v[36:37]
	v_add_co_u32_e64 v36, s[4:5], v32, v36
	v_addc_co_u32_e64 v37, s[4:5], v33, v37, s[4:5]
	flat_load_ushort v36, v[36:37]
.LBB30_707:
	s_or_b64 exec, exec, s[6:7]
	s_waitcnt vmcnt(0) lgkmcnt(0)
	ds_write_b16 v34, v36 offset:38400
	s_and_saveexec_b64 s[6:7], vcc
	s_cbranch_execz .LBB30_709
; %bb.708:
	v_readlane_b32 s4, v254, 10
	v_mul_hi_u32 v35, s4, v99
	v_readlane_b32 s5, v254, 11
	v_add_u32_e32 v35, v99, v35
	v_lshrrev_b32_e32 v35, s5, v35
	v_mul_lo_u32 v35, v35, s84
	v_sub_u32_e32 v35, v99, v35
	v_mad_i64_i32 v[36:37], s[4:5], v35, s82, 0
	v_lshlrev_b64 v[36:37], 1, v[36:37]
	v_add_co_u32_e64 v36, s[4:5], v32, v36
	v_addc_co_u32_e64 v37, s[4:5], v33, v37, s[4:5]
	flat_load_ushort v35, v[36:37]
.LBB30_709:
	s_or_b64 exec, exec, s[6:7]
	s_waitcnt vmcnt(0) lgkmcnt(0)
	ds_write_b16 v34, v35 offset:39552
	v_mov_b32_e32 v35, 0
	v_mov_b32_e32 v36, 0
	s_and_saveexec_b64 s[6:7], vcc
	s_cbranch_execz .LBB30_711
; %bb.710:
	v_readlane_b32 s4, v254, 10
	v_mul_hi_u32 v36, s4, v100
	v_readlane_b32 s5, v254, 11
	v_add_u32_e32 v36, v100, v36
	v_lshrrev_b32_e32 v36, s5, v36
	v_mul_lo_u32 v36, v36, s84
	v_sub_u32_e32 v36, v100, v36
	v_mad_i64_i32 v[36:37], s[4:5], v36, s82, 0
	v_lshlrev_b64 v[36:37], 1, v[36:37]
	v_add_co_u32_e64 v36, s[4:5], v32, v36
	v_addc_co_u32_e64 v37, s[4:5], v33, v37, s[4:5]
	flat_load_ushort v36, v[36:37]
.LBB30_711:
	s_or_b64 exec, exec, s[6:7]
	s_waitcnt vmcnt(0) lgkmcnt(0)
	ds_write_b16 v34, v36 offset:40704
	s_and_saveexec_b64 s[4:5], vcc
	s_cbranch_execz .LBB30_713
; %bb.712:
	v_readlane_b32 s6, v254, 10
	v_mul_hi_u32 v35, s6, v103
	v_readlane_b32 s7, v254, 11
	v_add_u32_e32 v35, v103, v35
	v_lshrrev_b32_e32 v35, s7, v35
	v_mul_lo_u32 v35, v35, s84
	v_sub_u32_e32 v35, v103, v35
	v_mad_i64_i32 v[36:37], s[6:7], v35, s82, 0
	v_lshlrev_b64 v[36:37], 1, v[36:37]
	v_add_co_u32_e32 v32, vcc, v32, v36
	v_addc_co_u32_e32 v33, vcc, v33, v37, vcc
	flat_load_ushort v35, v[32:33]
.LBB30_713:
	s_or_b64 exec, exec, s[4:5]
	s_waitcnt vmcnt(0) lgkmcnt(0)
	ds_write_b16 v34, v35 offset:41856
.LBB30_714:
	s_mul_hi_i32 s5, s12, s38
	s_mul_i32 s4, s12, s38
	s_waitcnt vmcnt(0)
	v_lshl_add_u32 v34, v241, 1, v104
	s_lshl_b64 s[4:5], s[4:5], 2
	v_mul_lo_u32 v42, s38, v34
	s_add_u32 s8, s8, s4
	v_ashrrev_i32_e32 v43, 31, v42
	s_addc_u32 s9, s9, s5
	v_mov_b32_e32 v32, 0
	v_lshlrev_b64 v[36:37], 2, v[42:43]
	buffer_store_dword v32, off, s[0:3], 0
	buffer_store_dword v32, off, s[0:3], 0 offset:4
	buffer_store_dword v32, off, s[0:3], 0 offset:8
	;; [unrolled: 1-line block ×3, first 2 shown]
	v_and_b32_e32 v32, 0x7c, v67
	v_mov_b32_e32 v33, s9
	v_add_co_u32_e32 v35, vcc, s8, v36
	v_lshlrev_b32_e32 v32, 2, v32
	v_addc_co_u32_e32 v33, vcc, v33, v37, vcc
	s_mov_b64 s[4:5], src_private_base
	v_add_co_u32_e32 v35, vcc, v35, v32
	v_addc_co_u32_e32 v33, vcc, 0, v33, vcc
	v_mov_b32_e32 v41, s5
	v_cmp_gt_i32_e64 s[10:11], s22, v34
	v_mov_b32_e32 v46, 0
	v_cndmask_b32_e64 v37, v41, v33, s[10:11]
	v_cndmask_b32_e64 v36, v46, v35, s[10:11]
	flat_load_dwordx4 v[36:39], v[36:37]
	s_lshl_b32 s13, s38, 4
	v_add_u32_e32 v42, s13, v42
	v_ashrrev_i32_e32 v43, 31, v42
	v_lshlrev_b64 v[44:45], 2, v[42:43]
	v_mov_b32_e32 v47, s9
	v_add_co_u32_e32 v43, vcc, s8, v44
	v_addc_co_u32_e32 v44, vcc, v47, v45, vcc
	v_mul_u32_u24_e32 v33, 0x210, v34
	v_add_u32_e32 v35, 16, v34
	v_add_co_u32_e32 v43, vcc, v43, v32
	v_add3_u32 v33, 0, v33, v32
	v_addc_co_u32_e32 v44, vcc, 0, v44, vcc
	v_cmp_gt_i32_e64 s[6:7], s22, v35
	v_cndmask_b32_e64 v45, v41, v44, s[6:7]
	v_cndmask_b32_e64 v44, v46, v43, s[6:7]
	v_add_u32_e32 v42, s13, v42
	v_ashrrev_i32_e32 v43, 31, v42
	v_add_u32_e32 v35, 32, v34
	v_cmp_gt_i32_e64 s[4:5], s22, v35
	v_add_u32_e32 v35, 48, v34
	v_cmp_gt_i32_e64 s[14:15], s22, v35
	v_and_b32_e32 v35, 16, v250
	s_waitcnt vmcnt(0) lgkmcnt(0)
	ds_write_b128 v33, v[36:39]
	flat_load_dwordx4 v[36:39], v[44:45]
	v_lshlrev_b64 v[44:45], 2, v[42:43]
	v_add_co_u32_e32 v43, vcc, s8, v44
	v_addc_co_u32_e32 v44, vcc, v47, v45, vcc
	v_add_co_u32_e32 v43, vcc, v43, v32
	v_addc_co_u32_e32 v44, vcc, 0, v44, vcc
	v_cndmask_b32_e64 v45, v41, v44, s[4:5]
	v_cndmask_b32_e64 v44, v46, v43, s[4:5]
	v_add_u32_e32 v42, s13, v42
	v_ashrrev_i32_e32 v43, 31, v42
	v_lshlrev_b64 v[42:43], 2, v[42:43]
	v_add_co_u32_e32 v42, vcc, s8, v42
	s_mov_b32 s8, 0x3f200000
	s_waitcnt vmcnt(0) lgkmcnt(0)
	ds_write_b128 v33, v[36:39] offset:8448
	flat_load_dwordx4 v[36:39], v[44:45]
	v_mov_b32_e32 v44, s9
	v_addc_co_u32_e32 v43, vcc, v44, v43, vcc
	v_add_co_u32_e32 v42, vcc, v42, v32
	v_addc_co_u32_e32 v43, vcc, 0, v43, vcc
	v_cndmask_b32_e64 v43, v41, v43, s[14:15]
	v_cndmask_b32_e64 v42, v46, v42, s[14:15]
	v_add_u32_e32 v41, 0, v101
	s_waitcnt vmcnt(0) lgkmcnt(0)
	ds_write_b128 v33, v[36:39] offset:16896
	flat_load_dwordx4 v[36:39], v[42:43]
	v_mul_u32_u24_e32 v42, 0x210, v35
	v_add3_u32 v41, v41, v102, v42
	v_add_u32_e32 v46, 0x4000, v41
	s_waitcnt vmcnt(0) lgkmcnt(0)
	ds_write_b128 v33, v[36:39] offset:25344
	s_waitcnt lgkmcnt(0)
	s_barrier
	ds_read2_b64 v[36:39], v41 offset1:4
	ds_read2_b64 v[50:53], v46 offset0:64 offset1:68
	s_waitcnt lgkmcnt(1)
	v_mfma_f32_16x16x16f16 v[42:45], v[36:37], v[28:29], 0
	s_waitcnt lgkmcnt(0)
	v_mfma_f32_16x16x16f16 v[54:57], v[50:51], v[28:29], 0
	v_mfma_f32_16x16x16f16 v[36:39], v[38:39], v[30:31], v[42:45]
	;; [unrolled: 1-line block ×3, first 2 shown]
	s_nop 6
	ds_read2_b64 v[42:45], v41 offset0:8 offset1:12
	ds_read2_b64 v[50:53], v46 offset0:72 offset1:76
	s_waitcnt lgkmcnt(1)
	v_mfma_f32_16x16x16f16 v[36:39], v[42:43], v[24:25], v[36:39]
	s_waitcnt lgkmcnt(0)
	v_mfma_f32_16x16x16f16 v[28:31], v[50:51], v[24:25], v[28:31]
	v_mfma_f32_16x16x16f16 v[36:39], v[44:45], v[26:27], v[36:39]
	ds_read2_b64 v[42:45], v46 offset0:80 offset1:84
	v_mfma_f32_16x16x16f16 v[24:27], v[52:53], v[26:27], v[28:31]
	s_nop 7
	ds_read2_b64 v[28:31], v41 offset0:16 offset1:20
	s_waitcnt lgkmcnt(0)
	v_mfma_f32_16x16x16f16 v[36:39], v[28:29], v[20:21], v[36:39]
	v_mfma_f32_16x16x16f16 v[24:27], v[42:43], v[20:21], v[24:27]
	v_mfma_f32_16x16x16f16 v[28:31], v[30:31], v[22:23], v[36:39]
	v_mfma_f32_16x16x16f16 v[20:23], v[44:45], v[22:23], v[24:27]
	s_nop 7
	ds_read2_b64 v[36:39], v46 offset0:88 offset1:92
	ds_read2_b64 v[24:27], v41 offset0:24 offset1:28
	s_waitcnt lgkmcnt(0)
	v_mfma_f32_16x16x16f16 v[28:31], v[24:25], v[16:17], v[28:31]
	v_mfma_f32_16x16x16f16 v[20:23], v[36:37], v[16:17], v[20:23]
	v_mfma_f32_16x16x16f16 v[24:27], v[26:27], v[18:19], v[28:31]
	v_mfma_f32_16x16x16f16 v[16:19], v[38:39], v[18:19], v[20:23]
	s_nop 7
	ds_read2_b64 v[28:31], v46 offset0:96 offset1:100
	;; [unrolled: 8-line block ×5, first 2 shown]
	ds_read2_b64 v[8:11], v41 offset0:56 offset1:60
	s_waitcnt lgkmcnt(0)
	v_mfma_f32_16x16x16f16 v[12:15], v[8:9], v[0:1], v[12:15]
	s_barrier
	v_mfma_f32_16x16x16f16 v[20:23], v[16:17], v[0:1], v[4:7]
	v_mfma_f32_16x16x16f16 v[4:7], v[10:11], v[2:3], v[12:15]
                                        ; implicit-def: $vgpr11
	v_mfma_f32_16x16x16f16 v[0:3], v[18:19], v[2:3], v[20:23]
	s_nop 7
	s_nop 1
	v_cmp_nlt_f32_e64 s[8:9], |v4|, s8
	s_and_saveexec_b64 s[18:19], s[8:9]
	s_xor_b64 s[8:9], exec, s[18:19]
	s_cbranch_execz .LBB30_716
; %bb.715:
	v_add_f32_e64 v8, |v4|, |v4|
	v_mul_f32_e32 v9, 0x3fb8aa3b, v8
	s_mov_b32 s13, 0x3fb8aa3b
	v_rndne_f32_e32 v10, v9
	v_sub_f32_e32 v11, v9, v10
	v_fma_f32 v9, v8, s13, -v9
	v_fmac_f32_e32 v9, 0x32a5705f, v8
	v_add_f32_e32 v9, v11, v9
	v_exp_f32_e32 v9, v9
	v_cvt_i32_f32_e32 v10, v10
	s_mov_b32 s13, 0xc2ce8ed0
	v_cmp_ngt_f32_e32 vcc, s13, v8
	s_mov_b32 s13, 0x42b17218
	v_ldexp_f32 v9, v9, v10
	v_cndmask_b32_e32 v9, 0, v9, vcc
	v_mov_b32_e32 v10, 0x7f800000
	v_cmp_nlt_f32_e32 vcc, s13, v8
	v_cndmask_b32_e32 v8, v10, v9, vcc
	v_add_f32_e32 v8, 1.0, v8
	v_rcp_f32_e32 v8, v8
	v_fma_f32 v11, v8, -2.0, 1.0
.LBB30_716:
	s_andn2_saveexec_b64 s[8:9], s[8:9]
; %bb.717:
	v_mul_f32_e32 v8, v4, v4
	v_mov_b32_e32 v9, 0x3ca908c9
	v_fmac_f32_e32 v9, 0xbbbac73d, v8
	v_mov_b32_e32 v10, 0xbd5c1c4e
	v_fmac_f32_e32 v10, v8, v9
	;; [unrolled: 2-line block ×4, first 2 shown]
	v_mul_f32_e64 v9, |v4|, v10
	v_fma_f32 v11, v8, v9, |v4|
; %bb.718:
	s_or_b64 exec, exec, s[8:9]
	s_mov_b32 s8, 0x3f200000
	v_cmp_nlt_f32_e64 s[8:9], |v5|, s8
                                        ; implicit-def: $vgpr13
	s_and_saveexec_b64 s[18:19], s[8:9]
	s_xor_b64 s[8:9], exec, s[18:19]
	s_cbranch_execz .LBB30_720
; %bb.719:
	v_add_f32_e64 v8, |v5|, |v5|
	v_mul_f32_e32 v9, 0x3fb8aa3b, v8
	s_mov_b32 s13, 0x3fb8aa3b
	v_rndne_f32_e32 v10, v9
	v_sub_f32_e32 v12, v9, v10
	v_fma_f32 v9, v8, s13, -v9
	v_fmac_f32_e32 v9, 0x32a5705f, v8
	v_add_f32_e32 v9, v12, v9
	v_exp_f32_e32 v9, v9
	v_cvt_i32_f32_e32 v10, v10
	s_mov_b32 s13, 0xc2ce8ed0
	v_cmp_ngt_f32_e32 vcc, s13, v8
	s_mov_b32 s13, 0x42b17218
	v_ldexp_f32 v9, v9, v10
	v_cndmask_b32_e32 v9, 0, v9, vcc
	v_mov_b32_e32 v10, 0x7f800000
	v_cmp_nlt_f32_e32 vcc, s13, v8
	v_cndmask_b32_e32 v8, v10, v9, vcc
	v_add_f32_e32 v8, 1.0, v8
	v_rcp_f32_e32 v8, v8
	v_fma_f32 v13, v8, -2.0, 1.0
.LBB30_720:
	s_andn2_saveexec_b64 s[8:9], s[8:9]
; %bb.721:
	v_mul_f32_e32 v8, v5, v5
	v_mov_b32_e32 v9, 0x3ca908c9
	v_fmac_f32_e32 v9, 0xbbbac73d, v8
	v_mov_b32_e32 v10, 0xbd5c1c4e
	v_fmac_f32_e32 v10, v8, v9
	;; [unrolled: 2-line block ×4, first 2 shown]
	v_mul_f32_e64 v9, |v5|, v10
	v_fma_f32 v13, v8, v9, |v5|
; %bb.722:
	s_or_b64 exec, exec, s[8:9]
	s_mov_b32 s8, 0x3f200000
	v_cmp_nlt_f32_e64 s[8:9], |v6|, s8
                                        ; implicit-def: $vgpr14
	s_and_saveexec_b64 s[18:19], s[8:9]
	s_xor_b64 s[8:9], exec, s[18:19]
	s_cbranch_execz .LBB30_724
; %bb.723:
	v_add_f32_e64 v8, |v6|, |v6|
	v_mul_f32_e32 v9, 0x3fb8aa3b, v8
	s_mov_b32 s13, 0x3fb8aa3b
	v_rndne_f32_e32 v10, v9
	v_sub_f32_e32 v12, v9, v10
	v_fma_f32 v9, v8, s13, -v9
	v_fmac_f32_e32 v9, 0x32a5705f, v8
	v_add_f32_e32 v9, v12, v9
	v_exp_f32_e32 v9, v9
	v_cvt_i32_f32_e32 v10, v10
	s_mov_b32 s13, 0xc2ce8ed0
	v_cmp_ngt_f32_e32 vcc, s13, v8
	s_mov_b32 s13, 0x42b17218
	v_ldexp_f32 v9, v9, v10
	v_cndmask_b32_e32 v9, 0, v9, vcc
	v_mov_b32_e32 v10, 0x7f800000
	v_cmp_nlt_f32_e32 vcc, s13, v8
	v_cndmask_b32_e32 v8, v10, v9, vcc
	v_add_f32_e32 v8, 1.0, v8
	v_rcp_f32_e32 v8, v8
	v_fma_f32 v14, v8, -2.0, 1.0
.LBB30_724:
	s_andn2_saveexec_b64 s[8:9], s[8:9]
; %bb.725:
	v_mul_f32_e32 v8, v6, v6
	v_mov_b32_e32 v9, 0x3ca908c9
	v_fmac_f32_e32 v9, 0xbbbac73d, v8
	v_mov_b32_e32 v10, 0xbd5c1c4e
	v_fmac_f32_e32 v10, v8, v9
	;; [unrolled: 2-line block ×4, first 2 shown]
	v_mul_f32_e64 v9, |v6|, v10
	v_fma_f32 v14, v8, v9, |v6|
; %bb.726:
	s_or_b64 exec, exec, s[8:9]
	s_mov_b32 s8, 0x3f200000
	v_cmp_nlt_f32_e64 s[8:9], |v7|, s8
                                        ; implicit-def: $vgpr15
	s_and_saveexec_b64 s[18:19], s[8:9]
	s_xor_b64 s[8:9], exec, s[18:19]
	s_cbranch_execz .LBB30_728
; %bb.727:
	v_add_f32_e64 v8, |v7|, |v7|
	v_mul_f32_e32 v9, 0x3fb8aa3b, v8
	s_mov_b32 s13, 0x3fb8aa3b
	v_rndne_f32_e32 v10, v9
	v_sub_f32_e32 v12, v9, v10
	v_fma_f32 v9, v8, s13, -v9
	v_fmac_f32_e32 v9, 0x32a5705f, v8
	v_add_f32_e32 v9, v12, v9
	v_exp_f32_e32 v9, v9
	v_cvt_i32_f32_e32 v10, v10
	s_mov_b32 s13, 0xc2ce8ed0
	v_cmp_ngt_f32_e32 vcc, s13, v8
	s_mov_b32 s13, 0x42b17218
	v_ldexp_f32 v9, v9, v10
	v_cndmask_b32_e32 v9, 0, v9, vcc
	v_mov_b32_e32 v10, 0x7f800000
	v_cmp_nlt_f32_e32 vcc, s13, v8
	v_cndmask_b32_e32 v8, v10, v9, vcc
	v_add_f32_e32 v8, 1.0, v8
	v_rcp_f32_e32 v8, v8
	v_fma_f32 v15, v8, -2.0, 1.0
.LBB30_728:
	s_andn2_saveexec_b64 s[8:9], s[8:9]
; %bb.729:
	v_mul_f32_e32 v8, v7, v7
	v_mov_b32_e32 v9, 0x3ca908c9
	v_fmac_f32_e32 v9, 0xbbbac73d, v8
	v_mov_b32_e32 v10, 0xbd5c1c4e
	v_fmac_f32_e32 v10, v8, v9
	;; [unrolled: 2-line block ×4, first 2 shown]
	v_mul_f32_e64 v9, |v7|, v10
	v_fma_f32 v15, v8, v9, |v7|
; %bb.730:
	s_or_b64 exec, exec, s[8:9]
	s_mov_b32 s8, 0x3f200000
	v_cmp_nlt_f32_e64 s[8:9], |v0|, s8
                                        ; implicit-def: $vgpr8
	s_and_saveexec_b64 s[18:19], s[8:9]
	s_xor_b64 s[8:9], exec, s[18:19]
	s_cbranch_execz .LBB30_732
; %bb.731:
	v_add_f32_e64 v8, |v0|, |v0|
	v_mul_f32_e32 v9, 0x3fb8aa3b, v8
	s_mov_b32 s13, 0x3fb8aa3b
	v_rndne_f32_e32 v10, v9
	v_sub_f32_e32 v12, v9, v10
	v_fma_f32 v9, v8, s13, -v9
	v_fmac_f32_e32 v9, 0x32a5705f, v8
	v_add_f32_e32 v9, v12, v9
	v_exp_f32_e32 v9, v9
	v_cvt_i32_f32_e32 v10, v10
	s_mov_b32 s13, 0xc2ce8ed0
	v_cmp_ngt_f32_e32 vcc, s13, v8
	s_mov_b32 s13, 0x42b17218
	v_ldexp_f32 v9, v9, v10
	v_cndmask_b32_e32 v9, 0, v9, vcc
	v_mov_b32_e32 v10, 0x7f800000
	v_cmp_nlt_f32_e32 vcc, s13, v8
	v_cndmask_b32_e32 v8, v10, v9, vcc
	v_add_f32_e32 v8, 1.0, v8
	v_rcp_f32_e32 v8, v8
	v_fma_f32 v8, v8, -2.0, 1.0
.LBB30_732:
	s_andn2_saveexec_b64 s[8:9], s[8:9]
; %bb.733:
	v_mul_f32_e32 v8, v0, v0
	v_mov_b32_e32 v9, 0x3ca908c9
	v_fmac_f32_e32 v9, 0xbbbac73d, v8
	v_mov_b32_e32 v10, 0xbd5c1c4e
	v_fmac_f32_e32 v10, v8, v9
	;; [unrolled: 2-line block ×4, first 2 shown]
	v_mul_f32_e64 v9, |v0|, v10
	v_fma_f32 v8, v8, v9, |v0|
; %bb.734:
	s_or_b64 exec, exec, s[8:9]
	s_mov_b32 s8, 0x3f200000
	v_cmp_nlt_f32_e64 s[8:9], |v1|, s8
                                        ; implicit-def: $vgpr9
	s_and_saveexec_b64 s[18:19], s[8:9]
	s_xor_b64 s[8:9], exec, s[18:19]
	s_cbranch_execz .LBB30_736
; %bb.735:
	v_add_f32_e64 v9, |v1|, |v1|
	v_mul_f32_e32 v10, 0x3fb8aa3b, v9
	s_mov_b32 s13, 0x3fb8aa3b
	v_rndne_f32_e32 v12, v10
	v_sub_f32_e32 v16, v10, v12
	v_fma_f32 v10, v9, s13, -v10
	v_fmac_f32_e32 v10, 0x32a5705f, v9
	v_add_f32_e32 v10, v16, v10
	v_exp_f32_e32 v10, v10
	v_cvt_i32_f32_e32 v12, v12
	s_mov_b32 s13, 0xc2ce8ed0
	v_cmp_ngt_f32_e32 vcc, s13, v9
	s_mov_b32 s13, 0x42b17218
	v_ldexp_f32 v10, v10, v12
	v_cndmask_b32_e32 v10, 0, v10, vcc
	v_mov_b32_e32 v12, 0x7f800000
	v_cmp_nlt_f32_e32 vcc, s13, v9
	v_cndmask_b32_e32 v9, v12, v10, vcc
	v_add_f32_e32 v9, 1.0, v9
	v_rcp_f32_e32 v9, v9
	v_fma_f32 v9, v9, -2.0, 1.0
.LBB30_736:
	s_andn2_saveexec_b64 s[8:9], s[8:9]
; %bb.737:
	v_mul_f32_e32 v9, v1, v1
	v_mov_b32_e32 v10, 0x3ca908c9
	v_fmac_f32_e32 v10, 0xbbbac73d, v9
	v_mov_b32_e32 v12, 0xbd5c1c4e
	v_fmac_f32_e32 v12, v9, v10
	;; [unrolled: 2-line block ×4, first 2 shown]
	v_mul_f32_e64 v10, |v1|, v12
	v_fma_f32 v9, v9, v10, |v1|
; %bb.738:
	s_or_b64 exec, exec, s[8:9]
	s_mov_b32 s8, 0x3f200000
	v_cmp_nlt_f32_e64 s[8:9], |v2|, s8
                                        ; implicit-def: $vgpr10
	s_and_saveexec_b64 s[18:19], s[8:9]
	s_xor_b64 s[8:9], exec, s[18:19]
	s_cbranch_execz .LBB30_740
; %bb.739:
	v_add_f32_e64 v10, |v2|, |v2|
	v_mul_f32_e32 v12, 0x3fb8aa3b, v10
	s_mov_b32 s13, 0x3fb8aa3b
	v_rndne_f32_e32 v16, v12
	v_sub_f32_e32 v17, v12, v16
	v_fma_f32 v12, v10, s13, -v12
	v_fmac_f32_e32 v12, 0x32a5705f, v10
	v_add_f32_e32 v12, v17, v12
	v_exp_f32_e32 v12, v12
	v_cvt_i32_f32_e32 v16, v16
	s_mov_b32 s13, 0xc2ce8ed0
	v_cmp_ngt_f32_e32 vcc, s13, v10
	s_mov_b32 s13, 0x42b17218
	v_ldexp_f32 v12, v12, v16
	v_cndmask_b32_e32 v12, 0, v12, vcc
	v_mov_b32_e32 v16, 0x7f800000
	v_cmp_nlt_f32_e32 vcc, s13, v10
	v_cndmask_b32_e32 v10, v16, v12, vcc
	v_add_f32_e32 v10, 1.0, v10
	v_rcp_f32_e32 v10, v10
	v_fma_f32 v10, v10, -2.0, 1.0
.LBB30_740:
	s_andn2_saveexec_b64 s[8:9], s[8:9]
; %bb.741:
	v_mul_f32_e32 v10, v2, v2
	v_mov_b32_e32 v12, 0x3ca908c9
	v_fmac_f32_e32 v12, 0xbbbac73d, v10
	v_mov_b32_e32 v16, 0xbd5c1c4e
	v_fmac_f32_e32 v16, v10, v12
	v_mov_b32_e32 v12, 0x3e088382
	v_fmac_f32_e32 v12, v10, v16
	v_mov_b32_e32 v16, 0xbeaaaa99
	v_fmac_f32_e32 v16, v10, v12
	v_mul_f32_e64 v12, |v2|, v16
	v_fma_f32 v10, v10, v12, |v2|
; %bb.742:
	s_or_b64 exec, exec, s[8:9]
	s_mov_b32 s8, 0x3f200000
	v_cmp_nlt_f32_e64 s[8:9], |v3|, s8
                                        ; implicit-def: $vgpr16
	s_and_saveexec_b64 s[18:19], s[8:9]
	s_xor_b64 s[8:9], exec, s[18:19]
	s_cbranch_execz .LBB30_744
; %bb.743:
	v_add_f32_e64 v12, |v3|, |v3|
	v_mul_f32_e32 v16, 0x3fb8aa3b, v12
	s_mov_b32 s13, 0x3fb8aa3b
	v_rndne_f32_e32 v17, v16
	v_sub_f32_e32 v18, v16, v17
	v_fma_f32 v16, v12, s13, -v16
	v_fmac_f32_e32 v16, 0x32a5705f, v12
	v_add_f32_e32 v16, v18, v16
	v_exp_f32_e32 v16, v16
	v_cvt_i32_f32_e32 v17, v17
	s_mov_b32 s13, 0xc2ce8ed0
	v_cmp_ngt_f32_e32 vcc, s13, v12
	s_mov_b32 s13, 0x42b17218
	v_ldexp_f32 v16, v16, v17
	v_cndmask_b32_e32 v16, 0, v16, vcc
	v_mov_b32_e32 v17, 0x7f800000
	v_cmp_nlt_f32_e32 vcc, s13, v12
	v_cndmask_b32_e32 v12, v17, v16, vcc
	v_add_f32_e32 v12, 1.0, v12
	v_rcp_f32_e32 v12, v12
	v_fma_f32 v16, v12, -2.0, 1.0
.LBB30_744:
	s_andn2_saveexec_b64 s[8:9], s[8:9]
; %bb.745:
	v_mul_f32_e32 v12, v3, v3
	v_mov_b32_e32 v16, 0x3ca908c9
	v_fmac_f32_e32 v16, 0xbbbac73d, v12
	v_mov_b32_e32 v17, 0xbd5c1c4e
	v_fmac_f32_e32 v17, v12, v16
	;; [unrolled: 2-line block ×4, first 2 shown]
	v_mul_f32_e64 v16, |v3|, v17
	v_fma_f32 v16, v12, v16, |v3|
; %bb.746:
	s_or_b64 exec, exec, s[8:9]
	s_brev_b32 s8, -2
	v_bfi_b32 v0, s8, v8, v0
	v_mul_f32_e32 v8, s97, v0
	v_bfi_b32 v0, s8, v9, v1
	v_mul_f32_e32 v9, s97, v0
	;; [unrolled: 2-line block ×8, first 2 shown]
	s_and_b64 vcc, exec, s[16:17]
	s_cbranch_vccz .LBB30_748
; %bb.747:
	v_lshrrev_b32_e32 v23, 2, v66
	v_and_b32_e32 v22, 0xfc, v23
	v_add_u16_e32 v0, v35, v22
	v_add_u32_e32 v20, v35, v22
	s_movk_i32 s8, 0x90
	v_lshrrev_b16_e32 v0, 1, v0
	v_mad_u32_u24 v2, v93, s8, 0
	v_lshlrev_b32_e32 v0, 2, v0
	s_mov_b32 s8, 0x8400
	v_add_u32_e32 v18, 32, v20
	v_add_u32_e32 v19, 34, v20
	v_add3_u32 v0, v2, v0, s8
	v_lshl_add_u32 v3, v18, 1, v2
	v_lshl_add_u32 v2, v19, 1, v2
	ds_read2_b32 v[0:1], v0 offset1:1
	ds_read_b32 v3, v3 offset:33792
	ds_read_b32 v2, v2 offset:33792
	s_mov_b64 s[8:9], 0
	s_waitcnt lgkmcnt(2)
	v_cvt_f32_f16_e32 v4, v0
	v_cvt_f32_f16_sdwa v5, v0 dst_sel:DWORD dst_unused:UNUSED_PAD src0_sel:WORD_1
	v_cvt_f32_f16_e32 v0, v1
	v_cvt_f32_f16_sdwa v1, v1 dst_sel:DWORD dst_unused:UNUSED_PAD src0_sel:WORD_1
	s_waitcnt lgkmcnt(1)
	v_cvt_f32_f16_e32 v16, v3
	s_waitcnt lgkmcnt(0)
	v_cvt_f32_f16_e32 v6, v2
	v_cvt_f32_f16_sdwa v7, v2 dst_sel:DWORD dst_unused:UNUSED_PAD src0_sel:WORD_1
	v_cvt_f32_f16_sdwa v17, v3 dst_sel:DWORD dst_unused:UNUSED_PAD src0_sel:WORD_1
	v_pk_fma_f32 v[2:3], v[48:49], v[0:1], v[14:15] op_sel_hi:[0,1,1]
	v_pk_fma_f32 v[0:1], v[48:49], v[4:5], v[12:13] op_sel_hi:[0,1,1]
	;; [unrolled: 1-line block ×4, first 2 shown]
	s_branch .LBB30_749
.LBB30_748:
	s_mov_b64 s[8:9], -1
                                        ; implicit-def: $vgpr0_vgpr1_vgpr2_vgpr3
                                        ; implicit-def: $vgpr4_vgpr5_vgpr6_vgpr7
                                        ; implicit-def: $vgpr23
                                        ; implicit-def: $vgpr22
                                        ; implicit-def: $vgpr20
                                        ; implicit-def: $vgpr18
                                        ; implicit-def: $vgpr19
.LBB30_749:
	v_add_u32_e32 v21, 0x2100, v33
	v_add_u32_e32 v17, 0x4200, v33
	s_andn2_b64 vcc, exec, s[8:9]
	v_add_u32_e32 v16, 0x6300, v33
	s_cbranch_vccnz .LBB30_751
; %bb.750:
	v_and_b32_e32 v22, 0xfc, v92
	v_add_u32_e32 v20, v35, v22
	v_pk_mov_b32 v[4:5], v[8:9], v[8:9] op_sel:[0,1]
	v_pk_mov_b32 v[0:1], v[12:13], v[12:13] op_sel:[0,1]
	v_add_u32_e32 v18, 32, v20
	v_add_u32_e32 v19, 34, v20
	v_mov_b32_e32 v23, v92
	v_pk_mov_b32 v[6:7], v[10:11], v[10:11] op_sel:[0,1]
	v_pk_mov_b32 v[2:3], v[14:15], v[14:15] op_sel:[0,1]
.LBB30_751:
	s_mul_hi_i32 s9, s12, s86
	s_mul_i32 s8, s12, s86
	s_lshl_b64 s[8:9], s[8:9], 2
	v_mul_lo_u32 v14, s86, v34
	s_add_u32 s12, s33, s8
	v_ashrrev_i32_e32 v15, 31, v14
	s_addc_u32 s13, s39, s9
	v_lshlrev_b64 v[8:9], 2, v[14:15]
	v_mov_b32_e32 v10, s13
	v_add_co_u32_e32 v8, vcc, s12, v8
	v_addc_co_u32_e32 v9, vcc, v10, v9, vcc
	s_mov_b64 s[8:9], src_private_base
	v_add_co_u32_e32 v8, vcc, v8, v32
	v_addc_co_u32_e32 v9, vcc, 0, v9, vcc
	v_mov_b32_e32 v30, s9
	v_mov_b32_e32 v31, 0
	;; [unrolled: 1-line block ×3, first 2 shown]
	v_cndmask_b32_e64 v9, v30, v9, s[10:11]
	v_cndmask_b32_e64 v8, v31, v8, s[10:11]
	buffer_store_dword v10, off, s[0:3], 0
	buffer_store_dword v10, off, s[0:3], 0 offset:4
	buffer_store_dword v10, off, s[0:3], 0 offset:8
	;; [unrolled: 1-line block ×3, first 2 shown]
	flat_load_dwordx4 v[8:11], v[8:9]
	s_lshl_b32 s11, s86, 4
	v_mul_u32_u24_e32 v27, 0x108, v22
	v_mul_u32_u24_e32 v26, 0x210, v22
	v_add_u32_e32 v22, s11, v14
	v_or_b32_e32 v53, 3, v23
	v_ashrrev_i32_e32 v23, 31, v22
	v_lshlrev_b64 v[28:29], 2, v[22:23]
	v_mov_b32_e32 v14, s13
	v_add_co_u32_e32 v23, vcc, s12, v28
	v_addc_co_u32_e32 v14, vcc, v14, v29, vcc
	v_add_co_u32_e32 v23, vcc, v23, v32
	v_addc_co_u32_e32 v14, vcc, 0, v14, vcc
	v_cndmask_b32_e64 v29, v30, v14, s[6:7]
	v_cndmask_b32_e64 v28, v31, v23, s[6:7]
	v_add_f32_e32 v12, 0x40051340, v0
	v_max_f32_e32 v13, v40, v40
	v_mbcnt_hi_u32_b32 v51, -1, v91
	v_max_f32_e32 v54, v13, v12
	v_and_b32_e32 v55, 64, v51
	v_cmp_gt_u32_e64 s[18:19], s22, v20
	v_add_u32_e32 v38, 1, v20
	v_add_u32_e32 v41, 2, v20
	;; [unrolled: 1-line block ×5, first 2 shown]
	s_movk_i32 s9, 0x420
	v_xor_b32_e32 v56, 32, v51
	v_cndmask_b32_e64 v20, v40, v54, s[18:19]
	v_add_u32_e32 v23, 64, v55
	v_add_f32_e32 v39, 0x40051340, v1
	v_xor_b32_e32 v57, 16, v51
	v_cmp_lt_i32_e32 vcc, v56, v23
	v_cmp_gt_u32_e64 s[16:17], s22, v38
	v_add_f32_e32 v42, 0x40051340, v2
	v_add_f32_e32 v44, 0x40051340, v3
	s_mov_b32 s10, 0
	v_cndmask_b32_e64 v38, v3, v3, s[16:17]
	v_mov_b32_e32 v13, s10
	v_mov_b32_e32 v12, s10
	;; [unrolled: 1-line block ×5, first 2 shown]
	v_add_f32_e32 v45, 0x40051340, v4
	v_cmp_gt_u32_e64 s[20:21], s22, v18
	v_add_f32_e32 v47, 0x40051340, v5
	v_cmp_gt_u32_e64 s[6:7], s22, v46
	v_add_f32_e32 v48, 0x40051340, v6
	v_add_f32_e32 v50, 0x40051340, v7
	v_cndmask_b32_e64 v5, v5, v5, s[20:21]
	s_mov_b32 s27, 0x3fb8aa3b
	v_cndmask_b32_e64 v6, v6, v6, s[20:21]
	s_mov_b32 s26, 0xc2ce8ed0
	s_mov_b32 s25, 0x42b17218
	v_mov_b32_e32 v52, 0x7f800000
	s_mov_b32 s24, 0xc1a00000
	s_mov_b32 s8, 0x5040100
	s_waitcnt vmcnt(0) lgkmcnt(0)
	ds_write_b128 v33, v[8:11]
	flat_load_dwordx4 v[34:37], v[28:29]
	v_or_b32_e32 v8, v27, v86
	v_mul_i32_i24_e32 v27, 0x210, v53
	v_mad_u32_u24 v11, v89, s9, 0
	v_lshlrev_b32_e32 v28, 1, v8
	v_max_f32_e32 v33, v20, v20
	v_add3_u32 v9, v11, v26, v88
	v_add3_u32 v14, v11, v27, v88
	v_cndmask_b32_e32 v53, v51, v56, vcc
	v_cmp_lt_i32_e32 vcc, v57, v23
	v_add_u32_e32 v8, v11, v28
	v_max_f32_e32 v11, v33, v39
	v_cndmask_b32_e32 v23, v51, v57, vcc
	v_cndmask_b32_e64 v11, v20, v11, s[16:17]
	v_cndmask_b32_e64 v51, v2, v2, s[16:17]
	v_add_u32_e32 v2, s11, v22
	v_max_f32_e32 v20, v11, v11
	v_ashrrev_i32_e32 v3, 31, v2
	v_mov_b32_e32 v10, s10
	v_mov_b32_e32 v29, s10
	v_add_u32_e32 v22, s11, v2
	v_max_f32_e32 v20, v20, v42
	v_lshlrev_b64 v[2:3], 2, v[2:3]
	v_cmp_gt_u32_e64 s[10:11], s22, v41
	v_mov_b32_e32 v33, s13
	v_cndmask_b32_e64 v11, v11, v20, s[10:11]
	v_add_co_u32_e32 v20, vcc, s12, v2
	v_addc_co_u32_e32 v33, vcc, v33, v3, vcc
	v_lshlrev_b32_e32 v69, 2, v23
	v_ashrrev_i32_e32 v23, 31, v22
	v_add_co_u32_e32 v20, vcc, v20, v32
	v_lshlrev_b64 v[2:3], 2, v[22:23]
	v_max_f32_e32 v22, v11, v11
	v_addc_co_u32_e32 v23, vcc, 0, v33, vcc
	v_mov_b32_e32 v39, s13
	v_add_co_u32_e32 v33, vcc, s12, v2
	v_max_f32_e32 v22, v22, v44
	v_cmp_gt_u32_e64 s[12:13], s22, v43
	v_cndmask_b32_e64 v11, v11, v22, s[12:13]
	v_cndmask_b32_e64 v2, v31, v20, s[4:5]
	v_max_f32_e32 v20, v11, v11
	v_max_f32_e32 v20, v20, v45
	v_cndmask_b32_e64 v11, v11, v20, s[20:21]
	v_max_f32_e32 v18, v11, v11
	v_max_f32_e32 v18, v18, v47
	v_cndmask_b32_e64 v11, v11, v18, s[6:7]
	v_max_f32_e32 v18, v11, v11
	v_addc_co_u32_e32 v39, vcc, v39, v3, vcc
	v_cndmask_b32_e64 v3, v30, v23, s[4:5]
	v_max_f32_e32 v18, v18, v48
	v_cmp_gt_u32_e64 s[4:5], s22, v19
	v_cndmask_b32_e64 v11, v11, v18, s[4:5]
	v_max_f32_e32 v18, v11, v11
	v_max_f32_e32 v18, v18, v50
	v_cmp_gt_u32_e32 vcc, s22, v49
	v_lshlrev_b32_e32 v68, 2, v53
	v_cndmask_b32_e32 v11, v11, v18, vcc
	ds_bpermute_b32 v18, v68, v11
	v_add_co_u32_e64 v22, s[22:23], v33, v32
	v_addc_co_u32_e64 v19, s[22:23], 0, v39, s[22:23]
	v_max_f32_e32 v11, v11, v11
	s_waitcnt lgkmcnt(0)
	v_max_f32_e32 v18, v18, v18
	v_cndmask_b32_e64 v23, v30, v19, s[14:15]
	v_max_f32_e32 v11, v11, v18
	v_cndmask_b32_e64 v22, v31, v22, s[14:15]
	s_waitcnt vmcnt(0)
	ds_write_b128 v21, v[34:37]
	flat_load_dwordx4 v[18:21], v[2:3]
	ds_bpermute_b32 v2, v69, v11
	v_cndmask_b32_e64 v3, v7, v7, s[20:21]
	s_waitcnt lgkmcnt(0)
	v_max_f32_e32 v2, v2, v2
	v_max_f32_e32 v70, v11, v2
	v_sub_f32_e32 v0, v0, v70
	v_sub_f32_e32 v1, v1, v70
	v_sub_f32_e32 v2, v51, v70
	v_sub_f32_e32 v7, v38, v70
	v_sub_f32_e32 v4, v4, v70
	v_sub_f32_e32 v5, v5, v70
	v_mul_f32_e32 v11, 0x3fb8aa3b, v0
	v_mul_f32_e32 v31, 0x3fb8aa3b, v1
	;; [unrolled: 1-line block ×6, first 2 shown]
	v_sub_f32_e32 v30, v40, v70
	v_fma_f32 v39, v0, s27, -v11
	v_rndne_f32_e32 v40, v11
	v_fma_f32 v41, v1, s27, -v31
	v_rndne_f32_e32 v42, v31
	;; [unrolled: 2-line block ×6, first 2 shown]
	v_fmac_f32_e32 v39, 0x32a5705f, v0
	v_sub_f32_e32 v11, v11, v40
	v_fmac_f32_e32 v41, 0x32a5705f, v1
	v_sub_f32_e32 v31, v31, v42
	;; [unrolled: 2-line block ×6, first 2 shown]
	v_add_f32_e32 v11, v11, v39
	v_add_f32_e32 v31, v31, v41
	;; [unrolled: 1-line block ×6, first 2 shown]
	v_cvt_i32_f32_e32 v40, v40
	v_exp_f32_e32 v11, v11
	v_sub_f32_e32 v6, v6, v70
	v_cvt_i32_f32_e32 v42, v42
	v_sub_f32_e32 v3, v3, v70
	v_mul_f32_e32 v36, 0x3fb8aa3b, v6
	v_cvt_i32_f32_e32 v44, v44
	v_mul_f32_e32 v37, 0x3fb8aa3b, v3
	v_fma_f32 v51, v6, s27, -v36
	v_rndne_f32_e32 v53, v36
	v_cvt_i32_f32_e32 v46, v46
	v_mul_f32_e32 v38, 0x3fb8aa3b, v30
	v_fma_f32 v54, v3, s27, -v37
	v_rndne_f32_e32 v55, v37
	v_cvt_i32_f32_e32 v48, v48
	v_fmac_f32_e32 v51, 0x32a5705f, v6
	v_sub_f32_e32 v36, v36, v53
	v_ldexp_f32 v11, v11, v40
	v_cmp_ngt_f32_e64 s[14:15], s26, v0
	v_fma_f32 v56, v30, s27, -v38
	v_rndne_f32_e32 v57, v38
	v_cvt_i32_f32_e32 v50, v50
	v_fmac_f32_e32 v54, 0x32a5705f, v3
	v_sub_f32_e32 v37, v37, v55
	v_add_f32_e32 v36, v36, v51
	v_cndmask_b32_e64 v11, 0, v11, s[14:15]
	v_cmp_ngt_f32_e64 s[14:15], s26, v1
	v_cvt_i32_f32_e32 v53, v53
	v_fmac_f32_e32 v56, 0x32a5705f, v30
	s_waitcnt vmcnt(0)
	ds_write_b128 v17, v[18:21]
	flat_load_dwordx4 v[32:35], v[22:23]
	v_exp_f32_e32 v17, v31
	v_exp_f32_e32 v18, v39
	;; [unrolled: 1-line block ×5, first 2 shown]
	v_ldexp_f32 v17, v17, v42
	v_sub_f32_e32 v38, v38, v57
	v_add_f32_e32 v37, v37, v54
	v_exp_f32_e32 v22, v36
	v_ldexp_f32 v18, v18, v44
	v_cndmask_b32_e64 v17, 0, v17, s[14:15]
	v_cmp_ngt_f32_e64 s[14:15], s26, v2
	v_cvt_i32_f32_e32 v55, v55
	v_add_f32_e32 v38, v38, v56
	v_exp_f32_e32 v23, v37
	v_ldexp_f32 v19, v19, v46
	v_cndmask_b32_e64 v36, 0, v18, s[14:15]
	v_cmp_ngt_f32_e64 s[14:15], s26, v7
	v_cvt_i32_f32_e32 v57, v57
	v_exp_f32_e32 v31, v38
	v_ldexp_f32 v20, v20, v48
	v_cndmask_b32_e64 v37, 0, v19, s[14:15]
	v_cmp_ngt_f32_e64 s[14:15], s26, v4
	v_ldexp_f32 v21, v21, v50
	v_cndmask_b32_e64 v20, 0, v20, s[14:15]
	v_cmp_ngt_f32_e64 s[14:15], s26, v5
	;; [unrolled: 3-line block ×5, first 2 shown]
	v_cndmask_b32_e64 v31, 0, v31, s[14:15]
	v_cmp_nlt_f32_e64 s[14:15], s25, v0
	v_cndmask_b32_e64 v0, v52, v11, s[14:15]
	v_cmp_nlt_f32_e64 s[14:15], s25, v1
	;; [unrolled: 2-line block ×9, first 2 shown]
	v_cndmask_b32_e64 v2, v52, v31, s[14:15]
	v_cmp_le_f32_e64 s[14:15], s24, v30
	v_cndmask_b32_e64 v71, 0, v2, s[14:15]
	v_cndmask_b32_e64 v0, 0, v0, s[18:19]
	;; [unrolled: 1-line block ×5, first 2 shown]
	v_cndmask_b32_e32 v12, v29, v1, vcc
	v_cvt_f16_f32_e32 v29, v71
	v_cvt_f16_f32_e32 v2, v0
	;; [unrolled: 1-line block ×5, first 2 shown]
	v_cndmask_b32_e64 v13, v25, v72, s[6:7]
	v_cndmask_b32_e64 v11, v10, v73, s[4:5]
	v_cvt_f16_f32_e32 v10, v13
	v_pk_mul_f16 v13, v29, v118 op_sel_hi:[0,1]
	v_cndmask_b32_e64 v6, v24, v23, s[20:21]
	v_pack_b32_f16 v30, v2, v3
	v_pack_b32_f16 v31, v4, v15
	v_cvt_f32_f16_e32 v2, v13
	v_cvt_f32_f16_sdwa v3, v13 dst_sel:DWORD dst_unused:UNUSED_PAD src0_sel:WORD_1
	v_pk_mul_f16 v5, v29, v117 op_sel_hi:[0,1]
	v_cvt_f32_f16_e32 v4, v5
	v_cvt_f32_f16_sdwa v5, v5 dst_sel:DWORD dst_unused:UNUSED_PAD src0_sel:WORD_1
	v_mul_u32_u24_e32 v45, 0x420, v89
	s_waitcnt vmcnt(0) lgkmcnt(0)
	ds_write_b128 v16, v[32:35]
	s_waitcnt lgkmcnt(0)
	s_barrier
	ds_read_u16 v15, v9 offset:17424
	ds_read_u16 v13, v14 offset:32
	;; [unrolled: 1-line block ×5, first 2 shown]
	ds_read_u16 v33, v14
	ds_read_u16 v32, v9 offset:17952
	ds_read_u16 v34, v9 offset:1056
	;; [unrolled: 1-line block ×9, first 2 shown]
	s_waitcnt lgkmcnt(7)
	v_perm_b32 v35, v33, v34, s8
	ds_read_u16 v39, v9 offset:560
	ds_read_u16 v43, v9 offset:592
	;; [unrolled: 1-line block ×8, first 2 shown]
	ds_read_u16 v34, v8
	ds_read_u16 v40, v8 offset:32
	ds_read_u16 v44, v8 offset:64
	;; [unrolled: 1-line block ×7, first 2 shown]
	s_waitcnt lgkmcnt(7)
	v_perm_b32 v34, v33, v34, s8
	v_add3_u32 v33, 0, 32, v45
	v_cvt_f16_f32_e32 v7, v6
	v_mfma_f32_16x16x16f16 v[2:5], v[34:35], v[30:31], v[2:5]
	v_add_u32_e32 v34, v33, v28
	v_add3_u32 v35, v33, v26, v88
	v_cvt_f16_f32_e32 v11, v11
	v_cvt_f16_f32_e32 v12, v12
	v_add3_u32 v33, v33, v27, v88
	ds_read_u16 v37, v14 offset:16896
	ds_read_u16 v41, v34 offset:16896
	;; [unrolled: 1-line block ×6, first 2 shown]
	s_waitcnt lgkmcnt(5)
	v_perm_b32 v35, v37, v32, s8
	v_cvt_f16_f32_e32 v2, v2
	v_cvt_f16_f32_e32 v3, v3
	;; [unrolled: 1-line block ×4, first 2 shown]
	v_perm_b32 v34, v15, v36, s8
	v_cvt_f32_f16_e32 v2, v2
	v_cvt_f32_f16_e32 v3, v3
	;; [unrolled: 1-line block ×4, first 2 shown]
	v_pk_mul_f16 v6, v29, v239 op_sel_hi:[0,1]
	v_pack_b32_f16 v32, v7, v10
	v_pack_b32_f16 v33, v11, v12
	v_pk_mul_f16 v15, v29, v105 op_sel_hi:[0,1]
	v_perm_b32 v7, v13, v38, s8
	v_mfma_f32_16x16x16f16 v[34:37], v[34:35], v[32:33], v[2:5]
	v_pk_mul_f16 v10, v29, v108 op_sel_hi:[0,1]
	v_pk_mul_f16 v11, v29, v107 op_sel_hi:[0,1]
	s_add_i32 s14, 0, 0x60
	ds_read_u16 v82, v9 offset:1536
	v_add_f32_e32 v18, v18, v0
	s_nop 1
	v_cvt_f32_f16_e32 v2, v6
	v_cvt_f32_f16_sdwa v3, v6 dst_sel:DWORD dst_unused:UNUSED_PAD src0_sel:WORD_1
	v_perm_b32 v6, v39, v40, s8
	v_cvt_f32_f16_e32 v4, v15
	v_cvt_f32_f16_sdwa v5, v15 dst_sel:DWORD dst_unused:UNUSED_PAD src0_sel:WORD_1
	v_cndmask_b32_e64 v0, v0, v18, s[16:17]
	s_nop 0
	v_mfma_f32_16x16x16f16 v[2:5], v[6:7], v[30:31], v[2:5]
	s_waitcnt lgkmcnt(2)
	v_perm_b32 v7, v52, v49, s8
	v_perm_b32 v6, v48, v41, s8
	s_nop 7
	v_cvt_f16_f32_e32 v2, v2
	v_cvt_f16_f32_e32 v3, v3
	;; [unrolled: 1-line block ×4, first 2 shown]
	v_cvt_f32_f16_e32 v2, v2
	v_cvt_f32_f16_e32 v3, v3
	;; [unrolled: 1-line block ×4, first 2 shown]
	s_nop 1
	v_mfma_f32_16x16x16f16 v[38:41], v[6:7], v[32:33], v[2:5]
	v_perm_b32 v7, v16, v42, s8
	v_perm_b32 v6, v43, v44, s8
	s_nop 4
	v_cvt_f32_f16_e32 v2, v10
	v_cvt_f32_f16_sdwa v3, v10 dst_sel:DWORD dst_unused:UNUSED_PAD src0_sel:WORD_1
	v_cvt_f32_f16_e32 v4, v11
	v_cvt_f32_f16_sdwa v5, v11 dst_sel:DWORD dst_unused:UNUSED_PAD src0_sel:WORD_1
	v_mov_b32_e32 v11, s14
	v_mad_u32_u24 v11, v89, s9, v11
	v_mfma_f32_16x16x16f16 v[2:5], v[6:7], v[30:31], v[2:5]
	v_add3_u32 v6, 0, 64, v45
	v_add_u32_e32 v7, v6, v28
	v_add3_u32 v10, v6, v26, v88
	v_add3_u32 v6, v6, v27, v88
	v_add_u32_e32 v12, v11, v28
	v_add3_u32 v13, v11, v26, v88
	v_add3_u32 v11, v11, v27, v88
	s_nop 3
	v_cvt_f16_f32_e32 v2, v2
	v_cvt_f16_f32_e32 v3, v3
	;; [unrolled: 1-line block ×4, first 2 shown]
	ds_read_u16 v15, v7 offset:16896
	ds_read_u16 v16, v10 offset:17424
	;; [unrolled: 1-line block ×8, first 2 shown]
	s_waitcnt lgkmcnt(4)
	v_perm_b32 v7, v6, v7, s8
	v_perm_b32 v6, v16, v15, s8
	v_cvt_f32_f16_e32 v2, v2
	v_cvt_f32_f16_e32 v3, v3
	;; [unrolled: 1-line block ×4, first 2 shown]
	v_pk_mul_f16 v15, v29, v110 op_sel_hi:[0,1]
	v_pk_mul_f16 v16, v29, v109 op_sel_hi:[0,1]
	v_mfma_f32_16x16x16f16 v[42:45], v[6:7], v[32:33], v[2:5]
	v_perm_b32 v7, v17, v25, s8
	v_perm_b32 v6, v46, v47, s8
	s_add_i32 s14, 0, 0x80
	s_nop 3
	v_cvt_f32_f16_e32 v2, v15
	v_cvt_f32_f16_sdwa v3, v15 dst_sel:DWORD dst_unused:UNUSED_PAD src0_sel:WORD_1
	v_cvt_f32_f16_e32 v4, v16
	v_cvt_f32_f16_sdwa v5, v16 dst_sel:DWORD dst_unused:UNUSED_PAD src0_sel:WORD_1
	s_nop 1
	v_mfma_f32_16x16x16f16 v[2:5], v[6:7], v[30:31], v[2:5]
	s_waitcnt lgkmcnt(0)
	v_perm_b32 v7, v11, v13, s8
	v_perm_b32 v6, v12, v10, s8
	v_pk_mul_f16 v10, v29, v120 op_sel_hi:[0,1]
	v_pk_mul_f16 v11, v29, v119 op_sel_hi:[0,1]
	s_nop 5
	v_cvt_f16_f32_e32 v2, v2
	v_cvt_f16_f32_e32 v3, v3
	;; [unrolled: 1-line block ×4, first 2 shown]
	v_cvt_f32_f16_e32 v2, v2
	v_cvt_f32_f16_e32 v3, v3
	v_cvt_f32_f16_e32 v4, v4
	v_cvt_f32_f16_e32 v5, v5
	s_nop 1
	v_mfma_f32_16x16x16f16 v[46:49], v[6:7], v[32:33], v[2:5]
	v_perm_b32 v7, v20, v24, s8
	v_perm_b32 v6, v50, v51, s8
	s_nop 4
	v_cvt_f32_f16_e32 v2, v10
	v_cvt_f32_f16_sdwa v3, v10 dst_sel:DWORD dst_unused:UNUSED_PAD src0_sel:WORD_1
	v_cvt_f32_f16_e32 v4, v11
	v_cvt_f32_f16_sdwa v5, v11 dst_sel:DWORD dst_unused:UNUSED_PAD src0_sel:WORD_1
	s_nop 1
	v_mfma_f32_16x16x16f16 v[2:5], v[6:7], v[30:31], v[2:5]
	v_mov_b32_e32 v6, s14
	s_add_i32 s14, 0, 0xa0
	v_mov_b32_e32 v11, s14
	v_mad_u32_u24 v6, v89, s9, v6
	v_mad_u32_u24 v11, v89, s9, v11
	v_add_u32_e32 v7, v6, v28
	v_add3_u32 v10, v6, v26, v88
	s_nop 3
	v_cvt_f16_f32_e32 v2, v2
	v_cvt_f16_f32_e32 v3, v3
	;; [unrolled: 1-line block ×4, first 2 shown]
	v_add3_u32 v6, v6, v27, v88
	v_add_u32_e32 v12, v11, v28
	v_add3_u32 v13, v11, v26, v88
	v_add3_u32 v11, v11, v27, v88
	ds_read_u16 v15, v7 offset:16896
	ds_read_u16 v16, v10 offset:17424
	;; [unrolled: 1-line block ×8, first 2 shown]
	s_waitcnt lgkmcnt(4)
	v_perm_b32 v7, v6, v7, s8
	v_perm_b32 v6, v16, v15, s8
	v_cvt_f32_f16_e32 v2, v2
	v_cvt_f32_f16_e32 v3, v3
	;; [unrolled: 1-line block ×4, first 2 shown]
	v_pk_mul_f16 v15, v29, v136 op_sel_hi:[0,1]
	v_pk_mul_f16 v16, v29, v135 op_sel_hi:[0,1]
	v_mfma_f32_16x16x16f16 v[50:53], v[6:7], v[32:33], v[2:5]
	v_perm_b32 v6, v54, v55, s8
	s_add_i32 s14, 0, 0xc0
	s_nop 4
	v_cvt_f32_f16_e32 v2, v15
	v_cvt_f32_f16_sdwa v3, v15 dst_sel:DWORD dst_unused:UNUSED_PAD src0_sel:WORD_1
	ds_read_u16 v5, v14 offset:160
	ds_read_u16 v15, v14 offset:192
	;; [unrolled: 1-line block ×8, first 2 shown]
	s_waitcnt lgkmcnt(7)
	v_perm_b32 v7, v5, v21, s8
	v_cvt_f32_f16_e32 v4, v16
	v_cvt_f32_f16_sdwa v5, v16 dst_sel:DWORD dst_unused:UNUSED_PAD src0_sel:WORD_1
	s_nop 1
	v_mfma_f32_16x16x16f16 v[2:5], v[6:7], v[30:31], v[2:5]
	v_perm_b32 v7, v11, v13, s8
	v_perm_b32 v6, v12, v10, s8
	v_pk_mul_f16 v10, v29, v168 op_sel_hi:[0,1]
	v_pk_mul_f16 v11, v29, v166 op_sel_hi:[0,1]
	s_nop 6
	v_cvt_f16_f32_e32 v2, v2
	v_cvt_f16_f32_e32 v3, v3
	;; [unrolled: 1-line block ×4, first 2 shown]
	v_cvt_f32_f16_e32 v2, v2
	v_cvt_f32_f16_e32 v3, v3
	;; [unrolled: 1-line block ×4, first 2 shown]
	s_nop 1
	v_mfma_f32_16x16x16f16 v[54:57], v[6:7], v[32:33], v[2:5]
	s_waitcnt lgkmcnt(6)
	v_perm_b32 v7, v15, v58, s8
	v_perm_b32 v6, v59, v60, s8
	s_nop 3
	v_cvt_f32_f16_e32 v2, v10
	v_cvt_f32_f16_sdwa v3, v10 dst_sel:DWORD dst_unused:UNUSED_PAD src0_sel:WORD_1
	v_cvt_f32_f16_e32 v4, v11
	v_cvt_f32_f16_sdwa v5, v11 dst_sel:DWORD dst_unused:UNUSED_PAD src0_sel:WORD_1
	s_nop 1
	v_mfma_f32_16x16x16f16 v[2:5], v[6:7], v[30:31], v[2:5]
	v_mov_b32_e32 v6, s14
	s_add_i32 s14, 0, 0xe0
	v_mov_b32_e32 v11, s14
	v_mad_u32_u24 v6, v89, s9, v6
	v_mad_u32_u24 v11, v89, s9, v11
	v_add_u32_e32 v7, v6, v28
	v_add3_u32 v10, v6, v26, v88
	s_nop 3
	v_cvt_f16_f32_e32 v2, v2
	v_cvt_f16_f32_e32 v3, v3
	;; [unrolled: 1-line block ×4, first 2 shown]
	v_add3_u32 v6, v6, v27, v88
	v_add_u32_e32 v12, v11, v28
	v_add3_u32 v13, v11, v26, v88
	v_add3_u32 v11, v11, v27, v88
	ds_read_u16 v15, v7 offset:16896
	ds_read_u16 v16, v10 offset:17424
	;; [unrolled: 1-line block ×8, first 2 shown]
	s_waitcnt lgkmcnt(4)
	v_perm_b32 v7, v6, v7, s8
	v_perm_b32 v6, v16, v15, s8
	v_cvt_f32_f16_e32 v2, v2
	v_cvt_f32_f16_e32 v3, v3
	;; [unrolled: 1-line block ×4, first 2 shown]
	v_pk_mul_f16 v15, v29, v238 op_sel_hi:[0,1]
	v_pk_mul_f16 v16, v29, v237 op_sel_hi:[0,1]
	v_mfma_f32_16x16x16f16 v[58:61], v[6:7], v[32:33], v[2:5]
	s_add_i32 s14, 0, 0x100
	s_nop 5
	v_cvt_f32_f16_e32 v2, v15
	v_cvt_f32_f16_sdwa v3, v15 dst_sel:DWORD dst_unused:UNUSED_PAD src0_sel:WORD_1
	ds_read_u16 v5, v9 offset:1280
	ds_read_u16 v15, v9 offset:1312
	;; [unrolled: 1-line block ×8, first 2 shown]
	s_waitcnt lgkmcnt(7)
	v_perm_b32 v7, v17, v5, s8
	ds_read_u16 v5, v9 offset:752
	ds_read_u16 v17, v9 offset:784
	;; [unrolled: 1-line block ×8, first 2 shown]
	s_waitcnt lgkmcnt(7)
	v_perm_b32 v6, v5, v62, s8
	v_cvt_f32_f16_e32 v4, v16
	v_cvt_f32_f16_sdwa v5, v16 dst_sel:DWORD dst_unused:UNUSED_PAD src0_sel:WORD_1
	v_pk_mul_f16 v9, v29, v236 op_sel_hi:[0,1]
	s_nop 0
	v_mfma_f32_16x16x16f16 v[2:5], v[6:7], v[30:31], v[2:5]
	v_perm_b32 v7, v11, v13, s8
	v_perm_b32 v6, v12, v10, s8
	v_pk_mul_f16 v10, v29, v235 op_sel_hi:[0,1]
	s_nop 7
	v_cvt_f16_f32_e32 v2, v2
	v_cvt_f16_f32_e32 v3, v3
	;; [unrolled: 1-line block ×4, first 2 shown]
	v_cvt_f32_f16_e32 v2, v2
	v_cvt_f32_f16_e32 v3, v3
	;; [unrolled: 1-line block ×4, first 2 shown]
	s_nop 1
	v_mfma_f32_16x16x16f16 v[62:65], v[6:7], v[32:33], v[2:5]
	v_perm_b32 v7, v20, v15, s8
	s_nop 5
	v_cvt_f32_f16_e32 v2, v9
	v_cvt_f32_f16_sdwa v3, v9 dst_sel:DWORD dst_unused:UNUSED_PAD src0_sel:WORD_1
	ds_read_u16 v5, v8 offset:256
	ds_read_u16 v9, v8 offset:288
	;; [unrolled: 1-line block ×8, first 2 shown]
	s_waitcnt lgkmcnt(7)
	v_perm_b32 v6, v17, v5, s8
	v_cvt_f32_f16_e32 v4, v10
	v_cvt_f32_f16_sdwa v5, v10 dst_sel:DWORD dst_unused:UNUSED_PAD src0_sel:WORD_1
	s_waitcnt lgkmcnt(3)
	v_perm_b32 v20, v92, v20, s8
	v_mfma_f32_16x16x16f16 v[2:5], v[6:7], v[30:31], v[2:5]
	v_mov_b32_e32 v6, s14
	s_add_i32 s14, 0, 0x120
	v_mov_b32_e32 v10, s14
	v_mad_u32_u24 v6, v89, s9, v6
	v_mad_u32_u24 v10, v89, s9, v10
	v_add_u32_e32 v7, v6, v28
	v_add3_u32 v8, v6, v26, v88
	s_nop 3
	v_cvt_f16_f32_e32 v2, v2
	v_cvt_f16_f32_e32 v3, v3
	;; [unrolled: 1-line block ×4, first 2 shown]
	v_add3_u32 v6, v6, v27, v88
	v_add3_u32 v12, v10, v26, v88
	v_add_u32_e32 v11, v10, v28
	v_add3_u32 v10, v10, v27, v88
	ds_read_u16 v16, v7 offset:16896
	ds_read_u16 v17, v8 offset:17424
	;; [unrolled: 1-line block ×8, first 2 shown]
	s_waitcnt lgkmcnt(4)
	v_perm_b32 v7, v6, v7, s8
	v_perm_b32 v6, v17, v16, s8
	v_cvt_f32_f16_e32 v2, v2
	v_cvt_f32_f16_e32 v3, v3
	;; [unrolled: 1-line block ×4, first 2 shown]
	v_pk_mul_f16 v8, v29, v219 op_sel_hi:[0,1]
	v_pk_mul_f16 v16, v29, v217 op_sel_hi:[0,1]
	v_perm_b32 v11, v24, v21, s8
	v_perm_b32 v10, v77, v9, s8
	v_mfma_f32_16x16x16f16 v[2:5], v[6:7], v[32:33], v[2:5]
	v_cvt_f32_f16_e32 v6, v8
	v_cvt_f32_f16_sdwa v7, v8 dst_sel:DWORD dst_unused:UNUSED_PAD src0_sel:WORD_1
	v_cvt_f32_f16_e32 v8, v16
	v_cvt_f32_f16_sdwa v9, v16 dst_sel:DWORD dst_unused:UNUSED_PAD src0_sel:WORD_1
	v_pk_mul_f16 v21, v29, v231 op_sel_hi:[0,1]
	v_perm_b32 v17, v25, v76, s8
	v_perm_b32 v16, v78, v13, s8
	v_mfma_f32_16x16x16f16 v[6:9], v[10:11], v[30:31], v[6:9]
	s_waitcnt lgkmcnt(0)
	v_perm_b32 v11, v100, v12, s8
	v_perm_b32 v10, v99, v98, s8
	v_pk_mul_f16 v12, v29, v232 op_sel_hi:[0,1]
	v_cvt_f32_f16_sdwa v13, v21 dst_sel:DWORD dst_unused:UNUSED_PAD src0_sel:WORD_1
	s_add_i32 s14, 0, 0x140
	v_pk_mul_f16 v99, v29, v225 op_sel_hi:[0,1]
	s_nop 3
	v_cvt_f16_f32_e32 v6, v6
	v_cvt_f16_f32_e32 v7, v7
	;; [unrolled: 1-line block ×4, first 2 shown]
	v_cvt_f32_f16_e32 v6, v6
	v_cvt_f32_f16_e32 v7, v7
	;; [unrolled: 1-line block ×4, first 2 shown]
	s_nop 1
	v_mfma_f32_16x16x16f16 v[6:9], v[10:11], v[32:33], v[6:9]
	v_cvt_f32_f16_e32 v10, v12
	v_cvt_f32_f16_sdwa v11, v12 dst_sel:DWORD dst_unused:UNUSED_PAD src0_sel:WORD_1
	v_cvt_f32_f16_e32 v12, v21
	s_nop 1
	v_mfma_f32_16x16x16f16 v[10:13], v[16:17], v[30:31], v[10:13]
	v_mov_b32_e32 v16, s14
	s_add_i32 s14, 0, 0x160
	v_mov_b32_e32 v24, s14
	v_mad_u32_u24 v16, v89, s9, v16
	v_mad_u32_u24 v24, v89, s9, v24
	v_add_u32_e32 v17, v16, v28
	v_add3_u32 v21, v16, v26, v88
	s_nop 3
	v_cvt_f16_f32_e32 v10, v10
	v_cvt_f16_f32_e32 v11, v11
	;; [unrolled: 1-line block ×4, first 2 shown]
	v_add3_u32 v16, v16, v27, v88
	v_add_u32_e32 v25, v24, v28
	v_add3_u32 v76, v24, v26, v88
	v_add3_u32 v24, v24, v27, v88
	ds_read_u16 v77, v17 offset:16896
	ds_read_u16 v78, v21 offset:17424
	;; [unrolled: 1-line block ×8, first 2 shown]
	s_waitcnt lgkmcnt(4)
	v_perm_b32 v17, v16, v17, s8
	v_perm_b32 v16, v78, v77, s8
	v_cvt_f32_f16_e32 v10, v10
	v_cvt_f32_f16_e32 v11, v11
	;; [unrolled: 1-line block ×4, first 2 shown]
	v_pk_mul_f16 v77, v29, v227 op_sel_hi:[0,1]
	v_cvt_f32_f16_e32 v76, v77
	v_mfma_f32_16x16x16f16 v[10:13], v[16:17], v[32:33], v[10:13]
	v_perm_b32 v17, v79, v81, s8
	v_perm_b32 v16, v91, v15, s8
	v_cvt_f32_f16_sdwa v77, v77 dst_sel:DWORD dst_unused:UNUSED_PAD src0_sel:WORD_1
	v_cvt_f32_f16_e32 v78, v99
	v_cvt_f32_f16_sdwa v79, v99 dst_sel:DWORD dst_unused:UNUSED_PAD src0_sel:WORD_1
	ds_read_u16 v81, v14 offset:416
	ds_read_u16 v91, v14 offset:448
	s_add_i32 s14, 0, 0x180
	v_mfma_f32_16x16x16f16 v[76:79], v[16:17], v[30:31], v[76:79]
	s_nop 7
	s_nop 2
	v_cvt_f16_f32_e32 v16, v77
	v_cvt_f16_f32_e32 v17, v78
	;; [unrolled: 1-line block ×4, first 2 shown]
	v_cvt_f32_f16_e32 v77, v16
	v_cvt_f32_f16_e32 v78, v17
	s_waitcnt lgkmcnt(2)
	v_perm_b32 v17, v24, v98, s8
	v_perm_b32 v16, v25, v21, s8
	v_cvt_f32_f16_e32 v76, v15
	v_cvt_f32_f16_e32 v79, v79
	v_pk_mul_f16 v21, v29, v234 op_sel_hi:[0,1]
	v_pk_mul_f16 v24, v29, v233 op_sel_hi:[0,1]
	v_mfma_f32_16x16x16f16 v[14:17], v[16:17], v[32:33], v[76:79]
	s_nop 6
	v_cvt_f32_f16_e32 v76, v21
	v_cvt_f32_f16_sdwa v77, v21 dst_sel:DWORD dst_unused:UNUSED_PAD src0_sel:WORD_1
	v_perm_b32 v21, v80, v83, s8
	v_cvt_f32_f16_e32 v78, v24
	v_cvt_f32_f16_sdwa v79, v24 dst_sel:DWORD dst_unused:UNUSED_PAD src0_sel:WORD_1
	v_add_f32_e32 v80, v0, v19
	v_mov_b32_e32 v24, s14
	v_mfma_f32_16x16x16f16 v[18:21], v[20:21], v[30:31], v[76:79]
	s_add_i32 s14, 0, 0x1a0
	v_mad_u32_u24 v24, v89, s9, v24
	v_add_u32_e32 v25, v24, v28
	v_cndmask_b32_e64 v0, v0, v80, s[10:11]
	s_nop 2
	v_mov_b32_e32 v77, s14
	v_add3_u32 v76, v24, v26, v88
	v_add3_u32 v24, v24, v27, v88
	s_nop 0
	v_cvt_f16_f32_e32 v18, v18
	v_cvt_f16_f32_e32 v19, v19
	;; [unrolled: 1-line block ×4, first 2 shown]
	v_mad_u32_u24 v77, v89, s9, v77
	v_add_u32_e32 v78, v77, v28
	v_add3_u32 v79, v77, v26, v88
	v_add3_u32 v77, v77, v27, v88
	ds_read_u16 v83, v25 offset:16896
	ds_read_u16 v92, v76 offset:17424
	;; [unrolled: 1-line block ×8, first 2 shown]
	s_waitcnt lgkmcnt(4)
	v_perm_b32 v25, v24, v25, s8
	v_perm_b32 v24, v92, v83, s8
	v_cvt_f32_f16_e32 v18, v18
	v_cvt_f32_f16_e32 v19, v19
	;; [unrolled: 1-line block ×4, first 2 shown]
	v_pk_mul_f16 v77, v29, v223 op_sel_hi:[0,1]
	v_pk_mul_f16 v79, v29, v221 op_sel_hi:[0,1]
	v_mfma_f32_16x16x16f16 v[18:21], v[24:25], v[32:33], v[18:21]
	v_perm_b32 v25, v81, v84, s8
	v_perm_b32 v24, v93, v95, s8
	v_cvt_f32_f16_e32 v76, v77
	v_cvt_f32_f16_sdwa v77, v77 dst_sel:DWORD dst_unused:UNUSED_PAD src0_sel:WORD_1
	v_cvt_f32_f16_e32 v78, v79
	v_cvt_f32_f16_sdwa v79, v79 dst_sel:DWORD dst_unused:UNUSED_PAD src0_sel:WORD_1
	v_add_f32_e32 v22, v0, v22
	v_cndmask_b32_e64 v0, v0, v22, s[12:13]
	v_add_f32_e32 v80, v23, v0
	v_mfma_f32_16x16x16f16 v[22:25], v[24:25], v[30:31], v[76:79]
	v_cndmask_b32_e64 v0, v0, v80, s[20:21]
	v_perm_b32 v81, v91, v85, s8
	v_perm_b32 v80, v94, v96, s8
	v_add_f32_e32 v72, v72, v0
	v_cndmask_b32_e64 v0, v0, v72, s[6:7]
	s_waitcnt lgkmcnt(0)
	s_nop 0
	v_perm_b32 v77, v101, v100, s8
	v_perm_b32 v76, v99, v98, s8
	s_nop 1
	v_cvt_f16_f32_e32 v22, v22
	v_cvt_f16_f32_e32 v23, v23
	;; [unrolled: 1-line block ×4, first 2 shown]
	v_cvt_f32_f16_e32 v22, v22
	v_cvt_f32_f16_e32 v23, v23
	v_cvt_f32_f16_e32 v24, v24
	v_cvt_f32_f16_e32 v25, v25
	v_pk_mul_f16 v78, v29, v230 op_sel_hi:[0,1]
	v_pk_mul_f16 v79, v29, v229 op_sel_hi:[0,1]
	v_mfma_f32_16x16x16f16 v[22:25], v[76:77], v[32:33], v[22:25]
	v_cvt_f32_f16_e32 v76, v78
	v_cvt_f32_f16_sdwa v77, v78 dst_sel:DWORD dst_unused:UNUSED_PAD src0_sel:WORD_1
	v_cvt_f32_f16_e32 v78, v79
	v_cvt_f32_f16_sdwa v79, v79 dst_sel:DWORD dst_unused:UNUSED_PAD src0_sel:WORD_1
	v_add_f32_e32 v72, v73, v0
	s_add_i32 s6, 0, 0x1c0
	v_cndmask_b32_e64 v0, v0, v72, s[4:5]
	v_mfma_f32_16x16x16f16 v[76:79], v[80:81], v[30:31], v[76:79]
	v_pk_mul_f16 v72, v29, v240 op_sel_hi:[0,1]
	v_add_f32_e32 v1, v1, v0
	v_cmp_gt_u32_e64 s[4:5], 16, v66
	s_nop 7
	v_cvt_f16_f32_e32 v73, v76
	v_mov_b32_e32 v76, s6
	v_mad_u32_u24 v76, v89, s9, v76
	s_add_i32 s6, 0, 0x1e0
	v_cvt_f16_f32_e32 v77, v77
	v_cvt_f16_f32_e32 v78, v78
	;; [unrolled: 1-line block ×3, first 2 shown]
	v_add_u32_e32 v80, v76, v28
	v_add3_u32 v81, v76, v26, v88
	v_add3_u32 v83, v76, v27, v88
	v_cvt_f32_f16_e32 v76, v73
	v_mov_b32_e32 v73, s6
	v_mad_u32_u24 v73, v89, s9, v73
	v_add_u32_e32 v28, v73, v28
	v_add3_u32 v26, v73, v26, v88
	v_add3_u32 v27, v73, v27, v88
	ds_read_u16 v73, v80 offset:16896
	ds_read_u16 v80, v81 offset:17424
	;; [unrolled: 1-line block ×8, first 2 shown]
	s_waitcnt lgkmcnt(4)
	v_perm_b32 v27, v83, v81, s8
	v_perm_b32 v26, v80, v73, s8
	v_cvt_f32_f16_e32 v77, v77
	v_cvt_f32_f16_e32 v78, v78
	;; [unrolled: 1-line block ×3, first 2 shown]
	v_pk_mul_f16 v80, v29, v114 op_sel_hi:[0,1]
	v_perm_b32 v73, v75, v82, s8
	v_mfma_f32_16x16x16f16 v[26:29], v[26:27], v[32:33], v[76:79]
	s_waitcnt lgkmcnt(0)
	s_barrier
	s_nop 4
	v_cvt_f32_f16_e32 v76, v72
	v_cvt_f32_f16_sdwa v77, v72 dst_sel:DWORD dst_unused:UNUSED_PAD src0_sel:WORD_1
	v_perm_b32 v72, v74, v97, s8
	v_cvt_f32_f16_e32 v78, v80
	v_cvt_f32_f16_sdwa v79, v80 dst_sel:DWORD dst_unused:UNUSED_PAD src0_sel:WORD_1
	v_cndmask_b32_e32 v80, v0, v1, vcc
	v_fmac_f32_e32 v80, v90, v71
	v_mfma_f32_16x16x16f16 v[72:75], v[72:73], v[30:31], v[76:79]
	v_perm_b32 v31, v89, v88, s8
	ds_bpermute_b32 v68, v68, v80
	s_nop 7
	s_nop 0
	v_cvt_f16_f32_e32 v30, v74
	v_cvt_f16_f32_e32 v0, v72
	;; [unrolled: 1-line block ×4, first 2 shown]
	v_cvt_f32_f16_e32 v74, v30
	v_perm_b32 v30, v85, v84, s8
	v_cvt_f32_f16_e32 v72, v0
	v_cvt_f32_f16_e32 v73, v1
	;; [unrolled: 1-line block ×3, first 2 shown]
	s_waitcnt lgkmcnt(0)
	v_add_f32_e32 v0, v80, v68
	ds_bpermute_b32 v1, v69, v0
	v_mfma_f32_16x16x16f16 v[30:33], v[30:31], v[32:33], v[72:75]
	s_and_saveexec_b64 s[6:7], s[4:5]
	s_cbranch_execz .LBB30_753
; %bb.752:
	s_waitcnt lgkmcnt(0)
	v_add_f32_e32 v0, v0, v1
	v_or_b32_e32 v1, v250, v66
	s_movk_i32 s8, 0x110
	v_mad_u32_u24 v1, v1, s8, 0
	ds_write2_b32 v1, v70, v0 offset0:64 offset1:65
.LBB30_753:
	s_or_b64 exec, exec, s[6:7]
	v_cmp_eq_u32_e32 vcc, 0, v252
	v_cmp_eq_u32_e64 s[6:7], 1, v252
	s_waitcnt lgkmcnt(0)
	s_barrier
	s_and_saveexec_b64 s[8:9], s[6:7]
	v_readlane_b32 s12, v254, 26
	v_readlane_b32 s18, v254, 32
	;; [unrolled: 1-line block ×5, first 2 shown]
	s_xor_b64 s[6:7], exec, s[8:9]
	s_mov_b64 s[18:19], s[26:27]
	v_readlane_b32 s13, v254, 27
	v_readlane_b32 s14, v254, 28
	;; [unrolled: 1-line block ×11, first 2 shown]
	s_cbranch_execz .LBB30_755
; %bb.754:
	s_barrier
	s_waitcnt lgkmcnt(0)
                                        ; implicit-def: $vgpr251
                                        ; implicit-def: $vgpr69
.LBB30_755:
	s_andn2_saveexec_b64 s[8:9], s[6:7]
	s_cbranch_execz .LBB30_761
; %bb.756:
	v_and_or_b32 v1, v66, 31, v250
	s_movk_i32 s6, 0x110
	v_mad_u32_u24 v0, v1, s6, 0
	ds_read_b64 v[70:71], v0 offset:256
	s_mov_b32 s6, 0x3fb8aa3b
	s_mov_b32 s10, 0x42b17218
	s_waitcnt lgkmcnt(0)
	s_barrier
	ds_bpermute_b32 v0, v69, v70
	v_max_f32_e32 v68, v70, v70
	s_waitcnt lgkmcnt(0)
	v_max_f32_e32 v0, v0, v0
	v_max_f32_e32 v0, v68, v0
	v_sub_f32_e32 v68, v70, v0
	v_mul_f32_e32 v70, 0x3fb8aa3b, v68
	v_fma_f32 v72, v68, s6, -v70
	v_rndne_f32_e32 v73, v70
	v_fmac_f32_e32 v72, 0x32a5705f, v68
	v_sub_f32_e32 v70, v70, v73
	v_add_f32_e32 v70, v70, v72
	v_cvt_i32_f32_e32 v73, v73
	v_exp_f32_e32 v70, v70
	s_mov_b32 s6, 0xc2ce8ed0
	v_cmp_ngt_f32_e64 s[6:7], s6, v68
	v_mov_b32_e32 v72, 0x7f800000
	v_ldexp_f32 v70, v70, v73
	v_cndmask_b32_e64 v70, 0, v70, s[6:7]
	v_cmp_nlt_f32_e64 s[6:7], s10, v68
	v_cndmask_b32_e64 v68, v72, v70, s[6:7]
	v_mul_f32_e32 v70, v71, v68
	ds_bpermute_b32 v69, v69, v70
	v_cmp_gt_u32_e64 s[6:7], 32, v66
	s_waitcnt lgkmcnt(0)
	v_fmac_f32_e32 v69, v71, v68
	s_and_saveexec_b64 s[10:11], s[6:7]
	s_cbranch_execz .LBB30_758
; %bb.757:
	v_mul_u32_u24_e32 v1, 0x110, v1
	v_add_u32_e32 v1, 0, v1
	ds_write_b64 v1, v[68:69] offset:256
.LBB30_758:
	s_or_b64 exec, exec, s[10:11]
	s_and_saveexec_b64 s[6:7], s[4:5]
	s_cbranch_execz .LBB30_760
; %bb.759:
	s_add_i32 s4, s77, s76
	s_lshl_b32 s4, s4, 6
	s_mov_b32 s5, 0
	s_lshl_b64 s[4:5], s[4:5], 3
	s_add_u32 s4, s18, s4
	v_or_b32_e32 v1, v251, v66
	s_addc_u32 s5, s19, s5
	v_lshlrev_b32_e32 v68, 3, v1
	v_mov_b32_e32 v1, v69
	global_store_dwordx2 v68, v[0:1], s[4:5]
.LBB30_760:
	s_or_b64 exec, exec, s[6:7]
.LBB30_761:
	s_or_b64 exec, exec, s[8:9]
	v_cvt_f16_f32_e32 v0, v34
	v_cvt_f16_f32_e32 v1, v35
	;; [unrolled: 1-line block ×8, first 2 shown]
	v_pack_b32_f16 v34, v34, v35
	v_pack_b32_f16 v1, v0, v1
	;; [unrolled: 1-line block ×4, first 2 shown]
	v_cvt_f16_f32_e32 v0, v42
	v_cvt_f16_f32_e32 v37, v43
	;; [unrolled: 1-line block ×8, first 2 shown]
	v_pack_b32_f16 v38, v38, v39
	v_pack_b32_f16 v37, v0, v37
	;; [unrolled: 1-line block ×4, first 2 shown]
	v_cvt_f16_f32_e32 v0, v50
	v_cvt_f16_f32_e32 v41, v51
	;; [unrolled: 1-line block ×8, first 2 shown]
	v_pack_b32_f16 v42, v42, v43
	v_pack_b32_f16 v41, v0, v41
	;; [unrolled: 1-line block ×3, first 2 shown]
	v_cvt_f16_f32_e32 v0, v58
	v_cvt_f16_f32_e32 v45, v59
	v_pack_b32_f16 v44, v44, v47
	v_cvt_f16_f32_e32 v46, v60
	v_cvt_f16_f32_e32 v47, v61
	;; [unrolled: 1-line block ×6, first 2 shown]
	v_pack_b32_f16 v45, v0, v45
	v_or_b32_e32 v0, v250, v86
	s_movk_i32 s4, 0x44
	s_lshl_b32 s6, s76, 13
	s_mov_b32 s7, 0
	v_mad_u32_u24 v0, v0, s4, v87
	s_lshl_b64 s[4:5], s[6:7], 3
	s_add_u32 s8, s18, s4
	s_addc_u32 s9, s19, s5
	v_lshl_add_u32 v0, v0, 2, 0
	v_pack_b32_f16 v46, v46, v47
	v_pack_b32_f16 v47, v49, v50
	;; [unrolled: 1-line block ×3, first 2 shown]
	ds_write2_b32 v0, v1, v34 offset1:1
	ds_write2_b32 v0, v36, v35 offset0:8 offset1:9
	ds_write2_b32 v0, v37, v38 offset0:16 offset1:17
	;; [unrolled: 1-line block ×7, first 2 shown]
	s_waitcnt lgkmcnt(0)
	s_barrier
	s_and_saveexec_b64 s[4:5], vcc
	s_cbranch_execz .LBB30_763
; %bb.762:
	v_bfe_u32 v1, v241, 1, 4
	s_movk_i32 s11, 0x3e0
	s_movk_i32 s10, 0x110
	v_and_or_b32 v34, v241, s11, v1
	v_mad_u32_u24 v36, v34, s10, 0
	v_add_u32_e32 v34, v36, v67
	ds_read2st64_b32 v[34:35], v34 offset1:17
	s_load_dword s6, s[80:81], 0x10
	ds_read2st64_b32 v[36:37], v36 offset0:1 offset1:18
	s_movk_i32 s11, 0x7e0
	v_lshlrev_b32_e32 v40, 6, v241
	s_waitcnt lgkmcnt(0)
	v_cvt_f32_f16_e32 v38, v34
	v_cvt_f32_f16_sdwa v39, v34 dst_sel:DWORD dst_unused:UNUSED_PAD src0_sel:WORD_1
	v_cvt_f32_f16_e32 v34, v35
	v_cvt_f32_f16_sdwa v35, v35 dst_sel:DWORD dst_unused:UNUSED_PAD src0_sel:WORD_1
	s_lshr_b32 s6, s6, 16
	s_cmp_lg_u32 s6, 0
	v_pk_fma_f32 v[38:39], v[36:37], v[38:39], 0 op_sel_hi:[0,1,0]
	v_mov_b32_e32 v36, v37
	s_cselect_b64 s[12:13], -1, 0
	v_pk_fma_f32 v[34:35], v[36:37], v[34:35], v[38:39] op_sel_hi:[0,1,1]
	v_add_u32_e32 v38, 4, v249
	s_cmp_lg_u64 s[12:13], 0
	v_lshlrev_b32_e32 v36, 1, v38
	v_and_b32_e32 v37, 15, v38
	s_addc_u32 s6, s77, 0
	v_and_or_b32 v36, v36, s11, v37
	s_lshl_b32 s6, s6, 7
	v_mad_u32_u24 v39, v36, s10, 0
	s_lshl_b64 s[6:7], s[6:7], 3
	v_add_u32_e32 v36, v39, v67
	s_add_u32 s6, s8, s6
	ds_read2st64_b32 v[36:37], v36 offset1:17
	s_addc_u32 s7, s9, s7
	v_add_lshl_u32 v40, v40, v66, 3
	v_add_u32_e32 v43, 8, v249
	global_store_dwordx2 v40, v[34:35], s[6:7]
	v_lshlrev_b32_e32 v40, 1, v43
	v_and_b32_e32 v41, 15, v43
	v_and_or_b32 v40, v40, s11, v41
	v_lshlrev_b32_e32 v38, 7, v38
	ds_read2st64_b32 v[34:35], v39 offset0:1 offset1:18
	v_mad_u32_u24 v44, v40, s10, 0
	v_add_lshl_u32 v42, v38, v66, 3
	s_waitcnt lgkmcnt(1)
	v_cvt_f32_f16_e32 v38, v36
	v_cvt_f32_f16_sdwa v39, v36 dst_sel:DWORD dst_unused:UNUSED_PAD src0_sel:WORD_1
	v_add_u32_e32 v40, v44, v67
	v_cvt_f32_f16_e32 v36, v37
	v_cvt_f32_f16_sdwa v37, v37 dst_sel:DWORD dst_unused:UNUSED_PAD src0_sel:WORD_1
	ds_read2st64_b32 v[40:41], v40 offset1:17
	s_waitcnt lgkmcnt(1)
	v_pk_fma_f32 v[38:39], v[34:35], v[38:39], 0 op_sel_hi:[0,1,0]
	v_mov_b32_e32 v34, v35
	v_pk_fma_f32 v[34:35], v[34:35], v[36:37], v[38:39] op_sel_hi:[0,1,1]
	ds_read2st64_b32 v[36:37], v44 offset0:1 offset1:18
	s_waitcnt lgkmcnt(1)
	v_cvt_f32_f16_e32 v38, v40
	v_cvt_f32_f16_sdwa v39, v40 dst_sel:DWORD dst_unused:UNUSED_PAD src0_sel:WORD_1
	global_store_dwordx2 v42, v[34:35], s[6:7]
	v_lshlrev_b32_e32 v34, 7, v43
	v_add_lshl_u32 v42, v34, v66, 3
	s_waitcnt lgkmcnt(0)
	v_pk_fma_f32 v[34:35], v[36:37], v[38:39], 0 op_sel_hi:[0,1,0]
	v_mov_b32_e32 v36, v37
	v_add_u32_e32 v37, 12, v249
	v_cvt_f32_f16_e32 v38, v41
	v_cvt_f32_f16_sdwa v39, v41 dst_sel:DWORD dst_unused:UNUSED_PAD src0_sel:WORD_1
	v_lshlrev_b32_e32 v40, 1, v37
	v_and_b32_e32 v41, 15, v37
	v_and_or_b32 v40, v40, s11, v41
	v_mad_u32_u24 v43, v40, s10, 0
	v_add_u32_e32 v40, v43, v67
	ds_read2st64_b32 v[40:41], v40 offset1:17
	v_pk_fma_f32 v[34:35], v[36:37], v[38:39], v[34:35] op_sel_hi:[0,1,1]
	global_store_dwordx2 v42, v[34:35], s[6:7]
	ds_read2st64_b32 v[34:35], v43 offset0:1 offset1:18
	v_lshlrev_b32_e32 v42, 7, v37
	s_waitcnt lgkmcnt(1)
	v_cvt_f32_f16_e32 v36, v40
	v_cvt_f32_f16_sdwa v37, v40 dst_sel:DWORD dst_unused:UNUSED_PAD src0_sel:WORD_1
	v_cvt_f32_f16_e32 v38, v41
	v_cvt_f32_f16_sdwa v39, v41 dst_sel:DWORD dst_unused:UNUSED_PAD src0_sel:WORD_1
	v_add_lshl_u32 v40, v42, v66, 3
	s_waitcnt lgkmcnt(0)
	v_pk_fma_f32 v[36:37], v[34:35], v[36:37], 0 op_sel_hi:[0,1,0]
	v_mov_b32_e32 v34, v35
	v_pk_fma_f32 v[34:35], v[34:35], v[38:39], v[36:37] op_sel_hi:[0,1,1]
	v_add_u32_e32 v38, 16, v249
	v_lshlrev_b32_e32 v36, 1, v38
	v_and_or_b32 v36, v36, s11, v1
	v_mad_u32_u24 v39, v36, s10, 0
	v_add_u32_e32 v36, v39, v67
	ds_read2st64_b32 v[36:37], v36 offset1:17
	v_add_u32_e32 v43, 20, v249
	global_store_dwordx2 v40, v[34:35], s[6:7]
	v_lshlrev_b32_e32 v40, 1, v43
	v_and_b32_e32 v41, 15, v43
	v_and_or_b32 v40, v40, s11, v41
	v_lshlrev_b32_e32 v38, 7, v38
	ds_read2st64_b32 v[34:35], v39 offset0:1 offset1:18
	v_mad_u32_u24 v44, v40, s10, 0
	v_add_lshl_u32 v42, v38, v66, 3
	s_waitcnt lgkmcnt(1)
	v_cvt_f32_f16_e32 v38, v36
	v_cvt_f32_f16_sdwa v39, v36 dst_sel:DWORD dst_unused:UNUSED_PAD src0_sel:WORD_1
	v_add_u32_e32 v40, v44, v67
	v_cvt_f32_f16_e32 v36, v37
	v_cvt_f32_f16_sdwa v37, v37 dst_sel:DWORD dst_unused:UNUSED_PAD src0_sel:WORD_1
	ds_read2st64_b32 v[40:41], v40 offset1:17
	s_waitcnt lgkmcnt(1)
	v_pk_fma_f32 v[38:39], v[34:35], v[38:39], 0 op_sel_hi:[0,1,0]
	v_mov_b32_e32 v34, v35
	v_pk_fma_f32 v[34:35], v[34:35], v[36:37], v[38:39] op_sel_hi:[0,1,1]
	ds_read2st64_b32 v[36:37], v44 offset0:1 offset1:18
	s_waitcnt lgkmcnt(1)
	v_cvt_f32_f16_e32 v38, v40
	v_cvt_f32_f16_sdwa v39, v40 dst_sel:DWORD dst_unused:UNUSED_PAD src0_sel:WORD_1
	global_store_dwordx2 v42, v[34:35], s[6:7]
	v_lshlrev_b32_e32 v34, 7, v43
	v_add_lshl_u32 v42, v34, v66, 3
	s_waitcnt lgkmcnt(0)
	v_pk_fma_f32 v[34:35], v[36:37], v[38:39], 0 op_sel_hi:[0,1,0]
	v_mov_b32_e32 v36, v37
	v_add_u32_e32 v37, 24, v249
	v_cvt_f32_f16_e32 v38, v41
	v_cvt_f32_f16_sdwa v39, v41 dst_sel:DWORD dst_unused:UNUSED_PAD src0_sel:WORD_1
	v_lshlrev_b32_e32 v40, 1, v37
	v_and_b32_e32 v41, 15, v37
	v_and_or_b32 v40, v40, s11, v41
	v_mad_u32_u24 v43, v40, s10, 0
	v_add_u32_e32 v40, v43, v67
	ds_read2st64_b32 v[40:41], v40 offset1:17
	v_pk_fma_f32 v[34:35], v[36:37], v[38:39], v[34:35] op_sel_hi:[0,1,1]
	global_store_dwordx2 v42, v[34:35], s[6:7]
	ds_read2st64_b32 v[34:35], v43 offset0:1 offset1:18
	v_lshlrev_b32_e32 v42, 7, v37
	s_waitcnt lgkmcnt(1)
	v_cvt_f32_f16_e32 v36, v40
	v_cvt_f32_f16_sdwa v37, v40 dst_sel:DWORD dst_unused:UNUSED_PAD src0_sel:WORD_1
	v_cvt_f32_f16_e32 v38, v41
	v_cvt_f32_f16_sdwa v39, v41 dst_sel:DWORD dst_unused:UNUSED_PAD src0_sel:WORD_1
	v_add_lshl_u32 v40, v42, v66, 3
	s_waitcnt lgkmcnt(0)
	v_pk_fma_f32 v[36:37], v[34:35], v[36:37], 0 op_sel_hi:[0,1,0]
	v_mov_b32_e32 v34, v35
	v_pk_fma_f32 v[34:35], v[34:35], v[38:39], v[36:37] op_sel_hi:[0,1,1]
	v_add_u32_e32 v38, 28, v249
	v_lshlrev_b32_e32 v36, 1, v38
	v_and_b32_e32 v37, 15, v38
	v_and_or_b32 v36, v36, s11, v37
	v_mad_u32_u24 v39, v36, s10, 0
	v_add_u32_e32 v36, v39, v67
	ds_read2st64_b32 v[36:37], v36 offset1:17
	v_add_u32_e32 v43, 32, v249
	global_store_dwordx2 v40, v[34:35], s[6:7]
	v_lshlrev_b32_e32 v40, 1, v43
	v_and_or_b32 v40, v40, s11, v1
	v_lshlrev_b32_e32 v38, 7, v38
	ds_read2st64_b32 v[34:35], v39 offset0:1 offset1:18
	v_mad_u32_u24 v44, v40, s10, 0
	v_add_lshl_u32 v42, v38, v66, 3
	s_waitcnt lgkmcnt(1)
	v_cvt_f32_f16_e32 v38, v36
	v_cvt_f32_f16_sdwa v39, v36 dst_sel:DWORD dst_unused:UNUSED_PAD src0_sel:WORD_1
	v_add_u32_e32 v40, v44, v67
	v_cvt_f32_f16_e32 v36, v37
	v_cvt_f32_f16_sdwa v37, v37 dst_sel:DWORD dst_unused:UNUSED_PAD src0_sel:WORD_1
	ds_read2st64_b32 v[40:41], v40 offset1:17
	s_waitcnt lgkmcnt(1)
	v_pk_fma_f32 v[38:39], v[34:35], v[38:39], 0 op_sel_hi:[0,1,0]
	v_mov_b32_e32 v34, v35
	v_pk_fma_f32 v[34:35], v[34:35], v[36:37], v[38:39] op_sel_hi:[0,1,1]
	ds_read2st64_b32 v[36:37], v44 offset0:1 offset1:18
	s_waitcnt lgkmcnt(1)
	v_cvt_f32_f16_e32 v38, v40
	v_cvt_f32_f16_sdwa v39, v40 dst_sel:DWORD dst_unused:UNUSED_PAD src0_sel:WORD_1
	global_store_dwordx2 v42, v[34:35], s[6:7]
	v_lshlrev_b32_e32 v34, 7, v43
	v_add_lshl_u32 v42, v34, v66, 3
	s_waitcnt lgkmcnt(0)
	v_pk_fma_f32 v[34:35], v[36:37], v[38:39], 0 op_sel_hi:[0,1,0]
	v_mov_b32_e32 v36, v37
	v_add_u32_e32 v37, 36, v249
	v_cvt_f32_f16_e32 v38, v41
	v_cvt_f32_f16_sdwa v39, v41 dst_sel:DWORD dst_unused:UNUSED_PAD src0_sel:WORD_1
	v_lshlrev_b32_e32 v40, 1, v37
	v_and_b32_e32 v41, 15, v37
	v_and_or_b32 v40, v40, s11, v41
	v_mad_u32_u24 v43, v40, s10, 0
	v_add_u32_e32 v40, v43, v67
	ds_read2st64_b32 v[40:41], v40 offset1:17
	v_pk_fma_f32 v[34:35], v[36:37], v[38:39], v[34:35] op_sel_hi:[0,1,1]
	global_store_dwordx2 v42, v[34:35], s[6:7]
	ds_read2st64_b32 v[34:35], v43 offset0:1 offset1:18
	v_lshlrev_b32_e32 v42, 7, v37
	s_waitcnt lgkmcnt(1)
	v_cvt_f32_f16_e32 v36, v40
	v_cvt_f32_f16_sdwa v37, v40 dst_sel:DWORD dst_unused:UNUSED_PAD src0_sel:WORD_1
	v_cvt_f32_f16_e32 v38, v41
	v_cvt_f32_f16_sdwa v39, v41 dst_sel:DWORD dst_unused:UNUSED_PAD src0_sel:WORD_1
	v_add_lshl_u32 v40, v42, v66, 3
	s_waitcnt lgkmcnt(0)
	v_pk_fma_f32 v[36:37], v[34:35], v[36:37], 0 op_sel_hi:[0,1,0]
	v_mov_b32_e32 v34, v35
	v_pk_fma_f32 v[34:35], v[34:35], v[38:39], v[36:37] op_sel_hi:[0,1,1]
	v_add_u32_e32 v38, 40, v249
	v_lshlrev_b32_e32 v36, 1, v38
	v_and_b32_e32 v37, 15, v38
	v_and_or_b32 v36, v36, s11, v37
	v_mad_u32_u24 v39, v36, s10, 0
	v_add_u32_e32 v36, v39, v67
	ds_read2st64_b32 v[36:37], v36 offset1:17
	v_add_u32_e32 v43, 44, v249
	global_store_dwordx2 v40, v[34:35], s[6:7]
	v_lshlrev_b32_e32 v40, 1, v43
	v_and_b32_e32 v41, 15, v43
	v_and_or_b32 v40, v40, s11, v41
	v_lshlrev_b32_e32 v38, 7, v38
	ds_read2st64_b32 v[34:35], v39 offset0:1 offset1:18
	v_mad_u32_u24 v44, v40, s10, 0
	v_add_lshl_u32 v42, v38, v66, 3
	s_waitcnt lgkmcnt(1)
	v_cvt_f32_f16_e32 v38, v36
	v_cvt_f32_f16_sdwa v39, v36 dst_sel:DWORD dst_unused:UNUSED_PAD src0_sel:WORD_1
	v_add_u32_e32 v40, v44, v67
	v_cvt_f32_f16_e32 v36, v37
	v_cvt_f32_f16_sdwa v37, v37 dst_sel:DWORD dst_unused:UNUSED_PAD src0_sel:WORD_1
	ds_read2st64_b32 v[40:41], v40 offset1:17
	s_waitcnt lgkmcnt(1)
	v_pk_fma_f32 v[38:39], v[34:35], v[38:39], 0 op_sel_hi:[0,1,0]
	v_mov_b32_e32 v34, v35
	v_pk_fma_f32 v[34:35], v[34:35], v[36:37], v[38:39] op_sel_hi:[0,1,1]
	ds_read2st64_b32 v[36:37], v44 offset0:1 offset1:18
	s_waitcnt lgkmcnt(1)
	v_cvt_f32_f16_e32 v38, v40
	v_cvt_f32_f16_sdwa v39, v40 dst_sel:DWORD dst_unused:UNUSED_PAD src0_sel:WORD_1
	global_store_dwordx2 v42, v[34:35], s[6:7]
	v_lshlrev_b32_e32 v34, 7, v43
	v_add_lshl_u32 v42, v34, v66, 3
	s_waitcnt lgkmcnt(0)
	v_pk_fma_f32 v[34:35], v[36:37], v[38:39], 0 op_sel_hi:[0,1,0]
	v_mov_b32_e32 v36, v37
	v_add_u32_e32 v37, 48, v249
	v_lshlrev_b32_e32 v40, 1, v37
	v_and_or_b32 v1, v40, s11, v1
	v_mad_u32_u24 v1, v1, s10, 0
	v_cvt_f32_f16_e32 v38, v41
	v_cvt_f32_f16_sdwa v39, v41 dst_sel:DWORD dst_unused:UNUSED_PAD src0_sel:WORD_1
	v_add_u32_e32 v40, v1, v67
	ds_read2st64_b32 v[40:41], v40 offset1:17
	v_pk_fma_f32 v[34:35], v[36:37], v[38:39], v[34:35] op_sel_hi:[0,1,1]
	global_store_dwordx2 v42, v[34:35], s[6:7]
	ds_read2st64_b32 v[34:35], v1 offset0:1 offset1:18
	v_lshlrev_b32_e32 v42, 7, v37
	s_waitcnt lgkmcnt(1)
	v_cvt_f32_f16_e32 v36, v40
	v_cvt_f32_f16_sdwa v37, v40 dst_sel:DWORD dst_unused:UNUSED_PAD src0_sel:WORD_1
	v_cvt_f32_f16_e32 v38, v41
	v_cvt_f32_f16_sdwa v39, v41 dst_sel:DWORD dst_unused:UNUSED_PAD src0_sel:WORD_1
	v_add_lshl_u32 v1, v42, v66, 3
	s_waitcnt lgkmcnt(0)
	v_pk_fma_f32 v[36:37], v[34:35], v[36:37], 0 op_sel_hi:[0,1,0]
	v_mov_b32_e32 v34, v35
	v_pk_fma_f32 v[34:35], v[34:35], v[38:39], v[36:37] op_sel_hi:[0,1,1]
	v_add_u32_e32 v38, 52, v249
	v_lshlrev_b32_e32 v36, 1, v38
	v_and_b32_e32 v37, 15, v38
	v_and_or_b32 v36, v36, s11, v37
	v_mad_u32_u24 v39, v36, s10, 0
	v_add_u32_e32 v36, v39, v67
	ds_read2st64_b32 v[36:37], v36 offset1:17
	v_add_u32_e32 v42, 56, v249
	v_lshlrev_b32_e32 v40, 1, v42
	v_and_b32_e32 v41, 15, v42
	v_and_or_b32 v40, v40, s11, v41
	global_store_dwordx2 v1, v[34:35], s[6:7]
	ds_read2st64_b32 v[34:35], v39 offset0:1 offset1:18
	v_mad_u32_u24 v43, v40, s10, 0
	v_lshlrev_b32_e32 v1, 7, v38
	s_waitcnt lgkmcnt(1)
	v_cvt_f32_f16_e32 v38, v36
	v_cvt_f32_f16_sdwa v39, v36 dst_sel:DWORD dst_unused:UNUSED_PAD src0_sel:WORD_1
	v_add_u32_e32 v40, v43, v67
	v_cvt_f32_f16_e32 v36, v37
	v_cvt_f32_f16_sdwa v37, v37 dst_sel:DWORD dst_unused:UNUSED_PAD src0_sel:WORD_1
	ds_read2st64_b32 v[40:41], v40 offset1:17
	s_waitcnt lgkmcnt(1)
	v_pk_fma_f32 v[38:39], v[34:35], v[38:39], 0 op_sel_hi:[0,1,0]
	v_mov_b32_e32 v34, v35
	v_pk_fma_f32 v[34:35], v[34:35], v[36:37], v[38:39] op_sel_hi:[0,1,1]
	ds_read2st64_b32 v[36:37], v43 offset0:1 offset1:18
	s_waitcnt lgkmcnt(1)
	v_cvt_f32_f16_e32 v38, v40
	v_cvt_f32_f16_sdwa v39, v40 dst_sel:DWORD dst_unused:UNUSED_PAD src0_sel:WORD_1
	v_add_lshl_u32 v1, v1, v66, 3
	global_store_dwordx2 v1, v[34:35], s[6:7]
	v_lshlrev_b32_e32 v1, 7, v42
	s_waitcnt lgkmcnt(0)
	v_pk_fma_f32 v[34:35], v[36:37], v[38:39], 0 op_sel_hi:[0,1,0]
	v_mov_b32_e32 v36, v37
	v_add_u32_e32 v37, 60, v249
	v_cvt_f32_f16_e32 v38, v41
	v_cvt_f32_f16_sdwa v39, v41 dst_sel:DWORD dst_unused:UNUSED_PAD src0_sel:WORD_1
	v_lshlrev_b32_e32 v40, 1, v37
	v_and_b32_e32 v41, 15, v37
	v_and_or_b32 v40, v40, s11, v41
	v_mad_u32_u24 v42, v40, s10, 0
	v_add_u32_e32 v40, v42, v67
	ds_read2st64_b32 v[40:41], v40 offset1:17
	v_add_lshl_u32 v1, v1, v66, 3
	v_pk_fma_f32 v[34:35], v[36:37], v[38:39], v[34:35] op_sel_hi:[0,1,1]
	global_store_dwordx2 v1, v[34:35], s[6:7]
	ds_read2st64_b32 v[34:35], v42 offset0:1 offset1:18
	v_lshlrev_b32_e32 v1, 7, v37
	s_waitcnt lgkmcnt(1)
	v_cvt_f32_f16_e32 v36, v40
	v_cvt_f32_f16_sdwa v37, v40 dst_sel:DWORD dst_unused:UNUSED_PAD src0_sel:WORD_1
	v_cvt_f32_f16_e32 v38, v41
	v_cvt_f32_f16_sdwa v39, v41 dst_sel:DWORD dst_unused:UNUSED_PAD src0_sel:WORD_1
	v_add_lshl_u32 v1, v1, v66, 3
	s_waitcnt lgkmcnt(0)
	v_pk_fma_f32 v[36:37], v[34:35], v[36:37], 0 op_sel_hi:[0,1,0]
	v_mov_b32_e32 v34, v35
	v_pk_fma_f32 v[34:35], v[34:35], v[38:39], v[36:37] op_sel_hi:[0,1,1]
	global_store_dwordx2 v1, v[34:35], s[6:7]
.LBB30_763:
	s_or_b64 exec, exec, s[4:5]
	v_cvt_f16_f32_e32 v1, v2
	v_cvt_f16_f32_e32 v2, v3
	v_cvt_f16_f32_e32 v3, v4
	v_cvt_f16_f32_e32 v4, v5
	v_cvt_f16_f32_e32 v5, v6
	v_cvt_f16_f32_e32 v6, v8
	v_cvt_f16_f32_e32 v8, v9
	v_cvt_f16_f32_e32 v7, v7
	v_pack_b32_f16 v3, v3, v4
	v_pack_b32_f16 v1, v1, v2
	v_pack_b32_f16 v2, v6, v8
	v_pack_b32_f16 v4, v5, v7
	v_cvt_f16_f32_e32 v5, v10
	v_cvt_f16_f32_e32 v6, v11
	v_cvt_f16_f32_e32 v7, v12
	v_cvt_f16_f32_e32 v8, v13
	v_cvt_f16_f32_e32 v9, v14
	v_cvt_f16_f32_e32 v10, v16
	v_cvt_f16_f32_e32 v11, v17
	v_cvt_f16_f32_e32 v12, v15
	v_pack_b32_f16 v7, v7, v8
	v_pack_b32_f16 v5, v5, v6
	v_pack_b32_f16 v6, v10, v11
	v_pack_b32_f16 v8, v9, v12
	;; [unrolled: 12-line block ×4, first 2 shown]
	s_barrier
	ds_write2_b32 v0, v1, v3 offset1:1
	ds_write2_b32 v0, v4, v2 offset0:8 offset1:9
	ds_write2_b32 v0, v5, v7 offset0:16 offset1:17
	;; [unrolled: 1-line block ×7, first 2 shown]
	s_waitcnt lgkmcnt(0)
	s_barrier
	s_and_saveexec_b64 s[4:5], vcc
	s_cbranch_execz .LBB30_765
; %bb.764:
	s_load_dword s6, s[80:81], 0x10
	v_bfe_u32 v8, v241, 1, 4
	s_movk_i32 s10, 0x3e0
	v_and_or_b32 v0, v241, s10, v8
	s_mov_b32 s7, 0
	s_waitcnt lgkmcnt(0)
	s_lshr_b32 s6, s6, 16
	s_cmp_lg_u32 s6, 0
	s_cselect_b64 s[10:11], -1, 0
	s_cmp_lg_u64 s[10:11], 0
	s_movk_i32 s10, 0x110
	v_mad_u32_u24 v2, v0, s10, 0
	v_add_u32_e32 v0, v2, v67
	ds_read2st64_b32 v[0:1], v0 offset1:17
	ds_read2st64_b32 v[2:3], v2 offset0:1 offset1:18
	s_addc_u32 s6, s77, 0
	s_lshl_b32 s6, s6, 7
	s_lshl_b64 s[6:7], s[6:7], 3
	s_waitcnt lgkmcnt(1)
	v_cvt_f32_f16_e32 v4, v0
	v_cvt_f32_f16_sdwa v5, v0 dst_sel:DWORD dst_unused:UNUSED_PAD src0_sel:WORD_1
	v_cvt_f32_f16_e32 v0, v1
	v_cvt_f32_f16_sdwa v1, v1 dst_sel:DWORD dst_unused:UNUSED_PAD src0_sel:WORD_1
	s_add_u32 s6, s8, s6
	s_waitcnt lgkmcnt(0)
	v_pk_fma_f32 v[4:5], v[2:3], v[4:5], 0 op_sel_hi:[0,1,0]
	v_mov_b32_e32 v2, v3
	v_pk_fma_f32 v[0:1], v[2:3], v[0:1], v[4:5] op_sel_hi:[0,1,1]
	v_add_u32_e32 v4, 4, v249
	v_lshlrev_b32_e32 v2, 1, v4
	v_and_b32_e32 v3, 15, v4
	s_movk_i32 s8, 0x7e0
	v_and_or_b32 v2, v2, s8, v3
	v_mad_u32_u24 v5, v2, s10, 0
	v_add_u32_e32 v2, v5, v67
	v_lshlrev_b32_e32 v6, 6, v241
	ds_read2st64_b32 v[2:3], v2 offset1:17
	s_addc_u32 s7, s9, s7
	v_add_lshl_u32 v6, v66, v6, 3
	v_add_u32_e32 v10, 8, v249
	global_store_dwordx2 v6, v[0:1], s[6:7] offset:512
	v_lshlrev_b32_e32 v6, 1, v10
	v_and_b32_e32 v7, 15, v10
	v_and_or_b32 v6, v6, s8, v7
	v_lshlrev_b32_e32 v4, 7, v4
	ds_read2st64_b32 v[0:1], v5 offset0:1 offset1:18
	v_mad_u32_u24 v11, v6, s10, 0
	v_add_lshl_u32 v9, v66, v4, 3
	s_waitcnt lgkmcnt(1)
	v_cvt_f32_f16_e32 v4, v2
	v_cvt_f32_f16_sdwa v5, v2 dst_sel:DWORD dst_unused:UNUSED_PAD src0_sel:WORD_1
	v_add_u32_e32 v6, v11, v67
	v_cvt_f32_f16_e32 v2, v3
	v_cvt_f32_f16_sdwa v3, v3 dst_sel:DWORD dst_unused:UNUSED_PAD src0_sel:WORD_1
	ds_read2st64_b32 v[6:7], v6 offset1:17
	s_waitcnt lgkmcnt(1)
	v_pk_fma_f32 v[4:5], v[0:1], v[4:5], 0 op_sel_hi:[0,1,0]
	v_mov_b32_e32 v0, v1
	v_pk_fma_f32 v[0:1], v[0:1], v[2:3], v[4:5] op_sel_hi:[0,1,1]
	ds_read2st64_b32 v[2:3], v11 offset0:1 offset1:18
	s_waitcnt lgkmcnt(1)
	v_cvt_f32_f16_e32 v4, v6
	v_cvt_f32_f16_sdwa v5, v6 dst_sel:DWORD dst_unused:UNUSED_PAD src0_sel:WORD_1
	global_store_dwordx2 v9, v[0:1], s[6:7] offset:512
	v_lshlrev_b32_e32 v0, 7, v10
	v_add_lshl_u32 v9, v66, v0, 3
	s_waitcnt lgkmcnt(0)
	v_pk_fma_f32 v[0:1], v[2:3], v[4:5], 0 op_sel_hi:[0,1,0]
	v_mov_b32_e32 v2, v3
	v_add_u32_e32 v3, 12, v249
	v_cvt_f32_f16_e32 v4, v7
	v_cvt_f32_f16_sdwa v5, v7 dst_sel:DWORD dst_unused:UNUSED_PAD src0_sel:WORD_1
	v_lshlrev_b32_e32 v6, 1, v3
	v_and_b32_e32 v7, 15, v3
	v_and_or_b32 v6, v6, s8, v7
	v_mad_u32_u24 v10, v6, s10, 0
	v_add_u32_e32 v6, v10, v67
	ds_read2st64_b32 v[6:7], v6 offset1:17
	v_pk_fma_f32 v[0:1], v[2:3], v[4:5], v[0:1] op_sel_hi:[0,1,1]
	global_store_dwordx2 v9, v[0:1], s[6:7] offset:512
	ds_read2st64_b32 v[0:1], v10 offset0:1 offset1:18
	v_lshlrev_b32_e32 v9, 7, v3
	s_waitcnt lgkmcnt(1)
	v_cvt_f32_f16_e32 v2, v6
	v_cvt_f32_f16_sdwa v3, v6 dst_sel:DWORD dst_unused:UNUSED_PAD src0_sel:WORD_1
	v_cvt_f32_f16_e32 v4, v7
	v_cvt_f32_f16_sdwa v5, v7 dst_sel:DWORD dst_unused:UNUSED_PAD src0_sel:WORD_1
	v_add_lshl_u32 v6, v66, v9, 3
	s_waitcnt lgkmcnt(0)
	v_pk_fma_f32 v[2:3], v[0:1], v[2:3], 0 op_sel_hi:[0,1,0]
	v_mov_b32_e32 v0, v1
	v_pk_fma_f32 v[0:1], v[0:1], v[4:5], v[2:3] op_sel_hi:[0,1,1]
	v_add_u32_e32 v4, 16, v249
	v_lshlrev_b32_e32 v2, 1, v4
	v_and_or_b32 v2, v2, s8, v8
	v_mad_u32_u24 v5, v2, s10, 0
	v_add_u32_e32 v2, v5, v67
	ds_read2st64_b32 v[2:3], v2 offset1:17
	v_add_u32_e32 v10, 20, v249
	global_store_dwordx2 v6, v[0:1], s[6:7] offset:512
	v_lshlrev_b32_e32 v6, 1, v10
	v_and_b32_e32 v7, 15, v10
	v_and_or_b32 v6, v6, s8, v7
	v_lshlrev_b32_e32 v4, 7, v4
	ds_read2st64_b32 v[0:1], v5 offset0:1 offset1:18
	v_mad_u32_u24 v11, v6, s10, 0
	v_add_lshl_u32 v9, v66, v4, 3
	s_waitcnt lgkmcnt(1)
	v_cvt_f32_f16_e32 v4, v2
	v_cvt_f32_f16_sdwa v5, v2 dst_sel:DWORD dst_unused:UNUSED_PAD src0_sel:WORD_1
	v_add_u32_e32 v6, v11, v67
	v_cvt_f32_f16_e32 v2, v3
	v_cvt_f32_f16_sdwa v3, v3 dst_sel:DWORD dst_unused:UNUSED_PAD src0_sel:WORD_1
	ds_read2st64_b32 v[6:7], v6 offset1:17
	s_waitcnt lgkmcnt(1)
	v_pk_fma_f32 v[4:5], v[0:1], v[4:5], 0 op_sel_hi:[0,1,0]
	v_mov_b32_e32 v0, v1
	v_pk_fma_f32 v[0:1], v[0:1], v[2:3], v[4:5] op_sel_hi:[0,1,1]
	ds_read2st64_b32 v[2:3], v11 offset0:1 offset1:18
	s_waitcnt lgkmcnt(1)
	v_cvt_f32_f16_e32 v4, v6
	v_cvt_f32_f16_sdwa v5, v6 dst_sel:DWORD dst_unused:UNUSED_PAD src0_sel:WORD_1
	global_store_dwordx2 v9, v[0:1], s[6:7] offset:512
	v_lshlrev_b32_e32 v0, 7, v10
	v_add_lshl_u32 v9, v66, v0, 3
	s_waitcnt lgkmcnt(0)
	v_pk_fma_f32 v[0:1], v[2:3], v[4:5], 0 op_sel_hi:[0,1,0]
	v_mov_b32_e32 v2, v3
	v_add_u32_e32 v3, 24, v249
	v_cvt_f32_f16_e32 v4, v7
	v_cvt_f32_f16_sdwa v5, v7 dst_sel:DWORD dst_unused:UNUSED_PAD src0_sel:WORD_1
	v_lshlrev_b32_e32 v6, 1, v3
	v_and_b32_e32 v7, 15, v3
	v_and_or_b32 v6, v6, s8, v7
	v_mad_u32_u24 v10, v6, s10, 0
	v_add_u32_e32 v6, v10, v67
	ds_read2st64_b32 v[6:7], v6 offset1:17
	v_pk_fma_f32 v[0:1], v[2:3], v[4:5], v[0:1] op_sel_hi:[0,1,1]
	global_store_dwordx2 v9, v[0:1], s[6:7] offset:512
	ds_read2st64_b32 v[0:1], v10 offset0:1 offset1:18
	v_lshlrev_b32_e32 v9, 7, v3
	s_waitcnt lgkmcnt(1)
	v_cvt_f32_f16_e32 v2, v6
	v_cvt_f32_f16_sdwa v3, v6 dst_sel:DWORD dst_unused:UNUSED_PAD src0_sel:WORD_1
	v_cvt_f32_f16_e32 v4, v7
	v_cvt_f32_f16_sdwa v5, v7 dst_sel:DWORD dst_unused:UNUSED_PAD src0_sel:WORD_1
	v_add_lshl_u32 v6, v66, v9, 3
	s_waitcnt lgkmcnt(0)
	v_pk_fma_f32 v[2:3], v[0:1], v[2:3], 0 op_sel_hi:[0,1,0]
	v_mov_b32_e32 v0, v1
	v_pk_fma_f32 v[0:1], v[0:1], v[4:5], v[2:3] op_sel_hi:[0,1,1]
	v_add_u32_e32 v4, 28, v249
	v_lshlrev_b32_e32 v2, 1, v4
	v_and_b32_e32 v3, 15, v4
	v_and_or_b32 v2, v2, s8, v3
	v_mad_u32_u24 v5, v2, s10, 0
	v_add_u32_e32 v2, v5, v67
	ds_read2st64_b32 v[2:3], v2 offset1:17
	v_add_u32_e32 v10, 32, v249
	global_store_dwordx2 v6, v[0:1], s[6:7] offset:512
	v_lshlrev_b32_e32 v6, 1, v10
	v_and_or_b32 v6, v6, s8, v8
	v_lshlrev_b32_e32 v4, 7, v4
	ds_read2st64_b32 v[0:1], v5 offset0:1 offset1:18
	v_mad_u32_u24 v11, v6, s10, 0
	v_add_lshl_u32 v9, v66, v4, 3
	s_waitcnt lgkmcnt(1)
	v_cvt_f32_f16_e32 v4, v2
	v_cvt_f32_f16_sdwa v5, v2 dst_sel:DWORD dst_unused:UNUSED_PAD src0_sel:WORD_1
	v_add_u32_e32 v6, v11, v67
	v_cvt_f32_f16_e32 v2, v3
	v_cvt_f32_f16_sdwa v3, v3 dst_sel:DWORD dst_unused:UNUSED_PAD src0_sel:WORD_1
	ds_read2st64_b32 v[6:7], v6 offset1:17
	s_waitcnt lgkmcnt(1)
	v_pk_fma_f32 v[4:5], v[0:1], v[4:5], 0 op_sel_hi:[0,1,0]
	v_mov_b32_e32 v0, v1
	v_pk_fma_f32 v[0:1], v[0:1], v[2:3], v[4:5] op_sel_hi:[0,1,1]
	ds_read2st64_b32 v[2:3], v11 offset0:1 offset1:18
	s_waitcnt lgkmcnt(1)
	v_cvt_f32_f16_e32 v4, v6
	v_cvt_f32_f16_sdwa v5, v6 dst_sel:DWORD dst_unused:UNUSED_PAD src0_sel:WORD_1
	global_store_dwordx2 v9, v[0:1], s[6:7] offset:512
	v_lshlrev_b32_e32 v0, 7, v10
	v_add_lshl_u32 v9, v66, v0, 3
	s_waitcnt lgkmcnt(0)
	v_pk_fma_f32 v[0:1], v[2:3], v[4:5], 0 op_sel_hi:[0,1,0]
	v_mov_b32_e32 v2, v3
	v_add_u32_e32 v3, 36, v249
	v_cvt_f32_f16_e32 v4, v7
	v_cvt_f32_f16_sdwa v5, v7 dst_sel:DWORD dst_unused:UNUSED_PAD src0_sel:WORD_1
	v_lshlrev_b32_e32 v6, 1, v3
	v_and_b32_e32 v7, 15, v3
	v_and_or_b32 v6, v6, s8, v7
	v_mad_u32_u24 v10, v6, s10, 0
	v_add_u32_e32 v6, v10, v67
	ds_read2st64_b32 v[6:7], v6 offset1:17
	v_pk_fma_f32 v[0:1], v[2:3], v[4:5], v[0:1] op_sel_hi:[0,1,1]
	global_store_dwordx2 v9, v[0:1], s[6:7] offset:512
	ds_read2st64_b32 v[0:1], v10 offset0:1 offset1:18
	v_lshlrev_b32_e32 v9, 7, v3
	s_waitcnt lgkmcnt(1)
	v_cvt_f32_f16_e32 v2, v6
	v_cvt_f32_f16_sdwa v3, v6 dst_sel:DWORD dst_unused:UNUSED_PAD src0_sel:WORD_1
	v_cvt_f32_f16_e32 v4, v7
	v_cvt_f32_f16_sdwa v5, v7 dst_sel:DWORD dst_unused:UNUSED_PAD src0_sel:WORD_1
	v_add_lshl_u32 v6, v66, v9, 3
	s_waitcnt lgkmcnt(0)
	v_pk_fma_f32 v[2:3], v[0:1], v[2:3], 0 op_sel_hi:[0,1,0]
	v_mov_b32_e32 v0, v1
	v_pk_fma_f32 v[0:1], v[0:1], v[4:5], v[2:3] op_sel_hi:[0,1,1]
	v_add_u32_e32 v4, 40, v249
	v_lshlrev_b32_e32 v2, 1, v4
	v_and_b32_e32 v3, 15, v4
	v_and_or_b32 v2, v2, s8, v3
	v_mad_u32_u24 v5, v2, s10, 0
	v_add_u32_e32 v2, v5, v67
	ds_read2st64_b32 v[2:3], v2 offset1:17
	v_add_u32_e32 v10, 44, v249
	global_store_dwordx2 v6, v[0:1], s[6:7] offset:512
	v_lshlrev_b32_e32 v6, 1, v10
	v_and_b32_e32 v7, 15, v10
	v_and_or_b32 v6, v6, s8, v7
	v_lshlrev_b32_e32 v4, 7, v4
	ds_read2st64_b32 v[0:1], v5 offset0:1 offset1:18
	v_mad_u32_u24 v11, v6, s10, 0
	v_add_lshl_u32 v9, v66, v4, 3
	s_waitcnt lgkmcnt(1)
	v_cvt_f32_f16_e32 v4, v2
	v_cvt_f32_f16_sdwa v5, v2 dst_sel:DWORD dst_unused:UNUSED_PAD src0_sel:WORD_1
	v_add_u32_e32 v6, v11, v67
	v_cvt_f32_f16_e32 v2, v3
	v_cvt_f32_f16_sdwa v3, v3 dst_sel:DWORD dst_unused:UNUSED_PAD src0_sel:WORD_1
	ds_read2st64_b32 v[6:7], v6 offset1:17
	s_waitcnt lgkmcnt(1)
	v_pk_fma_f32 v[4:5], v[0:1], v[4:5], 0 op_sel_hi:[0,1,0]
	v_mov_b32_e32 v0, v1
	v_pk_fma_f32 v[0:1], v[0:1], v[2:3], v[4:5] op_sel_hi:[0,1,1]
	ds_read2st64_b32 v[2:3], v11 offset0:1 offset1:18
	s_waitcnt lgkmcnt(1)
	v_cvt_f32_f16_e32 v4, v6
	v_cvt_f32_f16_sdwa v5, v6 dst_sel:DWORD dst_unused:UNUSED_PAD src0_sel:WORD_1
	global_store_dwordx2 v9, v[0:1], s[6:7] offset:512
	v_lshlrev_b32_e32 v0, 7, v10
	v_add_lshl_u32 v9, v66, v0, 3
	s_waitcnt lgkmcnt(0)
	v_pk_fma_f32 v[0:1], v[2:3], v[4:5], 0 op_sel_hi:[0,1,0]
	v_mov_b32_e32 v2, v3
	v_add_u32_e32 v3, 48, v249
	v_lshlrev_b32_e32 v6, 1, v3
	v_and_or_b32 v6, v6, s8, v8
	v_mad_u32_u24 v8, v6, s10, 0
	v_cvt_f32_f16_e32 v4, v7
	v_cvt_f32_f16_sdwa v5, v7 dst_sel:DWORD dst_unused:UNUSED_PAD src0_sel:WORD_1
	v_add_u32_e32 v6, v8, v67
	ds_read2st64_b32 v[6:7], v6 offset1:17
	v_pk_fma_f32 v[0:1], v[2:3], v[4:5], v[0:1] op_sel_hi:[0,1,1]
	global_store_dwordx2 v9, v[0:1], s[6:7] offset:512
	ds_read2st64_b32 v[0:1], v8 offset0:1 offset1:18
	v_lshlrev_b32_e32 v9, 7, v3
	s_waitcnt lgkmcnt(1)
	v_cvt_f32_f16_e32 v2, v6
	v_cvt_f32_f16_sdwa v3, v6 dst_sel:DWORD dst_unused:UNUSED_PAD src0_sel:WORD_1
	v_cvt_f32_f16_e32 v4, v7
	v_cvt_f32_f16_sdwa v5, v7 dst_sel:DWORD dst_unused:UNUSED_PAD src0_sel:WORD_1
	v_add_lshl_u32 v6, v66, v9, 3
	s_waitcnt lgkmcnt(0)
	v_pk_fma_f32 v[2:3], v[0:1], v[2:3], 0 op_sel_hi:[0,1,0]
	v_mov_b32_e32 v0, v1
	v_pk_fma_f32 v[0:1], v[0:1], v[4:5], v[2:3] op_sel_hi:[0,1,1]
	v_add_u32_e32 v4, 52, v249
	v_lshlrev_b32_e32 v2, 1, v4
	v_and_b32_e32 v3, 15, v4
	v_and_or_b32 v2, v2, s8, v3
	v_mad_u32_u24 v5, v2, s10, 0
	v_add_u32_e32 v2, v5, v67
	ds_read2st64_b32 v[2:3], v2 offset1:17
	v_add_u32_e32 v9, 56, v249
	global_store_dwordx2 v6, v[0:1], s[6:7] offset:512
	v_lshlrev_b32_e32 v6, 1, v9
	v_and_b32_e32 v7, 15, v9
	v_and_or_b32 v6, v6, s8, v7
	v_lshlrev_b32_e32 v4, 7, v4
	ds_read2st64_b32 v[0:1], v5 offset0:1 offset1:18
	v_mad_u32_u24 v10, v6, s10, 0
	v_add_lshl_u32 v8, v66, v4, 3
	s_waitcnt lgkmcnt(1)
	v_cvt_f32_f16_e32 v4, v2
	v_cvt_f32_f16_sdwa v5, v2 dst_sel:DWORD dst_unused:UNUSED_PAD src0_sel:WORD_1
	v_add_u32_e32 v6, v10, v67
	v_cvt_f32_f16_e32 v2, v3
	v_cvt_f32_f16_sdwa v3, v3 dst_sel:DWORD dst_unused:UNUSED_PAD src0_sel:WORD_1
	ds_read2st64_b32 v[6:7], v6 offset1:17
	s_waitcnt lgkmcnt(1)
	v_pk_fma_f32 v[4:5], v[0:1], v[4:5], 0 op_sel_hi:[0,1,0]
	v_mov_b32_e32 v0, v1
	v_pk_fma_f32 v[0:1], v[0:1], v[2:3], v[4:5] op_sel_hi:[0,1,1]
	ds_read2st64_b32 v[2:3], v10 offset0:1 offset1:18
	s_waitcnt lgkmcnt(1)
	v_cvt_f32_f16_e32 v4, v6
	v_cvt_f32_f16_sdwa v5, v6 dst_sel:DWORD dst_unused:UNUSED_PAD src0_sel:WORD_1
	global_store_dwordx2 v8, v[0:1], s[6:7] offset:512
	v_lshlrev_b32_e32 v0, 7, v9
	v_add_lshl_u32 v8, v66, v0, 3
	s_waitcnt lgkmcnt(0)
	v_pk_fma_f32 v[0:1], v[2:3], v[4:5], 0 op_sel_hi:[0,1,0]
	v_mov_b32_e32 v2, v3
	v_add_u32_e32 v3, 60, v249
	v_cvt_f32_f16_e32 v4, v7
	v_cvt_f32_f16_sdwa v5, v7 dst_sel:DWORD dst_unused:UNUSED_PAD src0_sel:WORD_1
	v_lshlrev_b32_e32 v6, 1, v3
	v_and_b32_e32 v7, 15, v3
	v_and_or_b32 v6, v6, s8, v7
	v_mad_u32_u24 v9, v6, s10, 0
	v_add_u32_e32 v6, v9, v67
	ds_read2st64_b32 v[6:7], v6 offset1:17
	v_pk_fma_f32 v[0:1], v[2:3], v[4:5], v[0:1] op_sel_hi:[0,1,1]
	global_store_dwordx2 v8, v[0:1], s[6:7] offset:512
	ds_read2st64_b32 v[0:1], v9 offset0:1 offset1:18
	v_lshlrev_b32_e32 v8, 7, v3
	s_waitcnt lgkmcnt(1)
	v_cvt_f32_f16_e32 v2, v6
	v_cvt_f32_f16_sdwa v3, v6 dst_sel:DWORD dst_unused:UNUSED_PAD src0_sel:WORD_1
	v_cvt_f32_f16_e32 v4, v7
	v_cvt_f32_f16_sdwa v5, v7 dst_sel:DWORD dst_unused:UNUSED_PAD src0_sel:WORD_1
	v_add_lshl_u32 v6, v66, v8, 3
	s_waitcnt lgkmcnt(0)
	v_pk_fma_f32 v[2:3], v[0:1], v[2:3], 0 op_sel_hi:[0,1,0]
	v_mov_b32_e32 v0, v1
	v_pk_fma_f32 v[0:1], v[0:1], v[4:5], v[2:3] op_sel_hi:[0,1,1]
	global_store_dwordx2 v6, v[0:1], s[6:7] offset:512
.LBB30_765:
	s_or_b64 exec, exec, s[4:5]
	s_barrier
	s_endpgm
	.section	.rodata,"a",@progbits
	.p2align	6, 0x0
	.amdhsa_kernel _ZL18flash_attn_ext_f16ILi256ELi256ELi64ELi1ELb1ELb0EEvPKcS1_S1_S1_S1_PKiPfP15HIP_vector_typeIfLj2EEffffjfiS5_IjLj3EEiiiiiiiiiiiliiliiiiil
		.amdhsa_group_segment_fixed_size 0
		.amdhsa_private_segment_fixed_size 416
		.amdhsa_kernarg_size 464
		.amdhsa_user_sgpr_count 8
		.amdhsa_user_sgpr_private_segment_buffer 1
		.amdhsa_user_sgpr_dispatch_ptr 0
		.amdhsa_user_sgpr_queue_ptr 0
		.amdhsa_user_sgpr_kernarg_segment_ptr 1
		.amdhsa_user_sgpr_dispatch_id 0
		.amdhsa_user_sgpr_flat_scratch_init 1
		.amdhsa_user_sgpr_kernarg_preload_length 0
		.amdhsa_user_sgpr_kernarg_preload_offset 0
		.amdhsa_user_sgpr_private_segment_size 0
		.amdhsa_uses_dynamic_stack 0
		.amdhsa_system_sgpr_private_segment_wavefront_offset 1
		.amdhsa_system_sgpr_workgroup_id_x 1
		.amdhsa_system_sgpr_workgroup_id_y 0
		.amdhsa_system_sgpr_workgroup_id_z 0
		.amdhsa_system_sgpr_workgroup_info 0
		.amdhsa_system_vgpr_workitem_id 1
		.amdhsa_next_free_vgpr 256
		.amdhsa_next_free_sgpr 100
		.amdhsa_accum_offset 256
		.amdhsa_reserve_vcc 1
		.amdhsa_reserve_flat_scratch 1
		.amdhsa_float_round_mode_32 0
		.amdhsa_float_round_mode_16_64 0
		.amdhsa_float_denorm_mode_32 3
		.amdhsa_float_denorm_mode_16_64 3
		.amdhsa_dx10_clamp 1
		.amdhsa_ieee_mode 1
		.amdhsa_fp16_overflow 0
		.amdhsa_tg_split 0
		.amdhsa_exception_fp_ieee_invalid_op 0
		.amdhsa_exception_fp_denorm_src 0
		.amdhsa_exception_fp_ieee_div_zero 0
		.amdhsa_exception_fp_ieee_overflow 0
		.amdhsa_exception_fp_ieee_underflow 0
		.amdhsa_exception_fp_ieee_inexact 0
		.amdhsa_exception_int_div_zero 0
	.end_amdhsa_kernel
	.section	.text._ZL18flash_attn_ext_f16ILi256ELi256ELi64ELi1ELb1ELb0EEvPKcS1_S1_S1_S1_PKiPfP15HIP_vector_typeIfLj2EEffffjfiS5_IjLj3EEiiiiiiiiiiiliiliiiiil,"axG",@progbits,_ZL18flash_attn_ext_f16ILi256ELi256ELi64ELi1ELb1ELb0EEvPKcS1_S1_S1_S1_PKiPfP15HIP_vector_typeIfLj2EEffffjfiS5_IjLj3EEiiiiiiiiiiiliiliiiiil,comdat
.Lfunc_end30:
	.size	_ZL18flash_attn_ext_f16ILi256ELi256ELi64ELi1ELb1ELb0EEvPKcS1_S1_S1_S1_PKiPfP15HIP_vector_typeIfLj2EEffffjfiS5_IjLj3EEiiiiiiiiiiiliiliiiiil, .Lfunc_end30-_ZL18flash_attn_ext_f16ILi256ELi256ELi64ELi1ELb1ELb0EEvPKcS1_S1_S1_S1_PKiPfP15HIP_vector_typeIfLj2EEffffjfiS5_IjLj3EEiiiiiiiiiiiliiliiiiil
                                        ; -- End function
	.section	.AMDGPU.csdata,"",@progbits
; Kernel info:
; codeLenInByte = 101020
; NumSgprs: 106
; NumVgprs: 256
; NumAgprs: 0
; TotalNumVgprs: 256
; ScratchSize: 416
; MemoryBound: 0
; FloatMode: 240
; IeeeMode: 1
; LDSByteSize: 0 bytes/workgroup (compile time only)
; SGPRBlocks: 13
; VGPRBlocks: 31
; NumSGPRsForWavesPerEU: 106
; NumVGPRsForWavesPerEU: 256
; AccumOffset: 256
; Occupancy: 2
; WaveLimiterHint : 1
; COMPUTE_PGM_RSRC2:SCRATCH_EN: 1
; COMPUTE_PGM_RSRC2:USER_SGPR: 8
; COMPUTE_PGM_RSRC2:TRAP_HANDLER: 0
; COMPUTE_PGM_RSRC2:TGID_X_EN: 1
; COMPUTE_PGM_RSRC2:TGID_Y_EN: 0
; COMPUTE_PGM_RSRC2:TGID_Z_EN: 0
; COMPUTE_PGM_RSRC2:TIDIG_COMP_CNT: 1
; COMPUTE_PGM_RSRC3_GFX90A:ACCUM_OFFSET: 63
; COMPUTE_PGM_RSRC3_GFX90A:TG_SPLIT: 0
	.section	.text._ZL33flash_attn_stream_k_fixup_uniformILi256ELi64ELi1EEvPfPK15HIP_vector_typeIfLj2EEiiiiiiS1_IjLj3EES5_S5_,"axG",@progbits,_ZL33flash_attn_stream_k_fixup_uniformILi256ELi64ELi1EEvPfPK15HIP_vector_typeIfLj2EEiiiiiiS1_IjLj3EES5_S5_,comdat
	.globl	_ZL33flash_attn_stream_k_fixup_uniformILi256ELi64ELi1EEvPfPK15HIP_vector_typeIfLj2EEiiiiiiS1_IjLj3EES5_S5_ ; -- Begin function _ZL33flash_attn_stream_k_fixup_uniformILi256ELi64ELi1EEvPfPK15HIP_vector_typeIfLj2EEiiiiiiS1_IjLj3EES5_S5_
	.p2align	8
	.type	_ZL33flash_attn_stream_k_fixup_uniformILi256ELi64ELi1EEvPfPK15HIP_vector_typeIfLj2EEiiiiiiS1_IjLj3EES5_S5_,@function
_ZL33flash_attn_stream_k_fixup_uniformILi256ELi64ELi1EEvPfPK15HIP_vector_typeIfLj2EEiiiiiiS1_IjLj3EES5_S5_: ; @_ZL33flash_attn_stream_k_fixup_uniformILi256ELi64ELi1EEvPfPK15HIP_vector_typeIfLj2EEiiiiiiS1_IjLj3EES5_S5_
; %bb.0:
	s_load_dwordx8 s[12:19], s[4:5], 0x1c
	s_load_dwordx2 s[10:11], s[4:5], 0x10
	s_load_dwordx4 s[0:3], s[4:5], 0x3c
	s_waitcnt lgkmcnt(0)
	s_mul_hi_u32 s9, s15, s6
	s_add_i32 s9, s6, s9
	s_lshr_b32 s9, s9, s16
	s_mul_i32 s15, s9, s17
	s_sub_i32 s15, s6, s15
	s_mul_hi_u32 s16, s15, s18
	s_add_i32 s16, s15, s16
	s_lshr_b32 s16, s16, s19
	s_mul_i32 s0, s16, s0
	s_sub_i32 s0, s15, s0
	;; [unrolled: 5-line block ×3, first 2 shown]
	s_lshl_b32 s0, s17, 6
	s_add_i32 s0, s0, s7
	s_cmp_lt_i32 s0, s10
	s_cselect_b64 s[0:1], -1, 0
	s_add_i32 s2, s15, s8
	s_cmp_lt_i32 s2, s13
	s_cselect_b64 s[2:3], -1, 0
	s_and_b64 s[0:1], s[0:1], s[2:3]
	s_andn2_b64 vcc, exec, s[0:1]
	s_cbranch_vccnz .LBB31_6
; %bb.1:
	s_load_dwordx4 s[0:3], s[4:5], 0x0
	s_mul_i32 s4, s9, s10
	s_add_i32 s4, s4, s7
	s_mul_i32 s4, s4, s11
	s_mul_i32 s16, s16, s13
	s_add_i32 s4, s4, s8
	s_add_i32 s4, s4, s16
	s_mul_i32 s5, s11, s17
	s_add_i32 s4, s4, s15
	s_lshl_b32 s5, s5, 14
	s_lshl_b32 s4, s4, 8
	s_add_i32 s5, s5, s4
	v_or_b32_e32 v2, s5, v0
	v_ashrrev_i32_e32 v3, 31, v2
	v_lshlrev_b64 v[2:3], 2, v[2:3]
	s_waitcnt lgkmcnt(0)
	v_mov_b32_e32 v1, s1
	v_add_co_u32_e32 v2, vcc, s0, v2
	v_addc_co_u32_e32 v3, vcc, v1, v3, vcc
	global_load_dword v8, v[2:3], off
	s_add_i32 s4, s7, s8
	s_mul_i32 s7, s6, s14
	s_add_i32 s5, s7, s14
	s_lshl_b32 s0, s5, 6
	s_add_i32 s0, s4, s0
	s_sub_i32 s0, s0, 64
	s_ashr_i32 s1, s0, 31
	s_lshl_b64 s[0:1], s[0:1], 3
	s_add_u32 s0, s2, s0
	s_addc_u32 s1, s3, s1
	s_load_dword s10, s[0:1], 0x4
	s_add_i32 s8, s5, -2
	s_cmp_lt_i32 s8, s7
	s_cbranch_scc1 .LBB31_4
; %bb.2:
	s_lshl_b32 s8, s12, 8
	s_ashr_i32 s9, s8, 31
	s_lshl_b64 s[8:9], s[8:9], 2
	s_add_u32 s8, s2, s8
	s_addc_u32 s11, s3, s9
	s_add_i32 s6, s6, 1
	s_add_i32 s9, s5, -1
	s_mul_i32 s5, s14, s6
	s_load_dword s0, s[0:1], 0x0
	s_lshl_b32 s1, s4, 8
	s_lshl_b32 s6, s5, 14
	s_add_i32 s1, s1, s6
	v_or_b32_e32 v0, s1, v0
	s_lshl_b32 s1, s5, 6
	s_add_i32 s1, s4, s1
	s_lshl_b32 s4, s12, 6
	s_add_i32 s1, s1, s4
	v_add_u32_e32 v0, 0xffff8000, v0
	s_add_i32 s4, s1, 0xffffff80
	s_waitcnt lgkmcnt(0)
	v_mov_b32_e32 v7, s10
	v_mov_b32_e32 v6, s0
	;; [unrolled: 1-line block ×3, first 2 shown]
	s_mov_b32 s6, 0x3fb8aa3b
	s_mov_b32 s10, 0xc2ce8ed0
	;; [unrolled: 1-line block ×3, first 2 shown]
	v_mov_b32_e32 v5, 0x7f800000
	s_mov_b32 s12, 0xc1a00000
.LBB31_3:                               ; =>This Inner Loop Header: Depth=1
	v_ashrrev_i32_e32 v1, 31, v0
	v_lshlrev_b64 v[10:11], 2, v[0:1]
	v_add_co_u32_e32 v10, vcc, s8, v10
	v_addc_co_u32_e32 v11, vcc, v4, v11, vcc
	global_load_dword v1, v[10:11], off
	s_ashr_i32 s5, s4, 31
	s_lshl_b64 s[0:1], s[4:5], 3
	s_add_u32 s0, s2, s0
	s_addc_u32 s1, s3, s1
	s_load_dwordx2 s[14:15], s[0:1], 0x0
	s_waitcnt vmcnt(1)
	v_mov_b32_e32 v9, v8
	v_max_f32_e32 v8, v6, v6
	v_mov_b32_e32 v10, v7
	s_add_i32 s9, s9, -1
	s_waitcnt lgkmcnt(0)
	v_max_f32_e64 v7, s14, s14
	v_max_f32_e32 v7, v8, v7
	v_sub_f32_e32 v11, s14, v7
	v_sub_f32_e32 v8, v6, v7
	v_mul_f32_e32 v12, 0x3fb8aa3b, v11
	v_mov_b32_e32 v6, v7
	v_mul_f32_e32 v7, 0x3fb8aa3b, v8
	v_fma_f32 v15, v11, s6, -v12
	v_rndne_f32_e32 v16, v12
	v_fma_f32 v13, v8, s6, -v7
	v_rndne_f32_e32 v14, v7
	v_fmac_f32_e32 v15, 0x32a5705f, v11
	v_sub_f32_e32 v12, v12, v16
	v_fmac_f32_e32 v13, 0x32a5705f, v8
	v_sub_f32_e32 v7, v7, v14
	v_add_f32_e32 v12, v12, v15
	v_cvt_i32_f32_e32 v16, v16
	v_add_f32_e32 v7, v7, v13
	v_exp_f32_e32 v12, v12
	v_cvt_i32_f32_e32 v14, v14
	v_exp_f32_e32 v7, v7
	v_cmp_ngt_f32_e32 vcc, s10, v11
	v_ldexp_f32 v12, v12, v16
	v_cmp_ngt_f32_e64 s[0:1], s10, v8
	v_ldexp_f32 v7, v7, v14
	v_cndmask_b32_e32 v12, 0, v12, vcc
	v_cmp_nlt_f32_e32 vcc, s11, v11
	v_cndmask_b32_e64 v7, 0, v7, s[0:1]
	v_cmp_nlt_f32_e64 s[0:1], s11, v8
	v_cndmask_b32_e32 v12, v5, v12, vcc
	v_cmp_le_f32_e32 vcc, s12, v11
	v_cndmask_b32_e64 v7, v5, v7, s[0:1]
	v_cmp_le_f32_e64 s[0:1], s12, v8
	v_cndmask_b32_e32 v8, 0, v12, vcc
	s_sub_i32 s4, s4, 64
	v_cndmask_b32_e64 v11, 0, v7, s[0:1]
	v_mul_f32_e32 v7, s15, v8
	v_add_u32_e32 v0, 0xffffc000, v0
	s_cmp_le_i32 s9, s7
	v_fmac_f32_e32 v7, v10, v11
	s_waitcnt vmcnt(0)
	v_mul_f32_e32 v8, v1, v8
	v_fmac_f32_e32 v8, v9, v11
	s_cbranch_scc0 .LBB31_3
	s_branch .LBB31_5
.LBB31_4:
	s_waitcnt lgkmcnt(0)
	v_mov_b32_e32 v7, s10
.LBB31_5:
	s_waitcnt vmcnt(0)
	v_div_scale_f32 v0, s[0:1], v7, v7, v8
	v_rcp_f32_e32 v1, v0
	v_div_scale_f32 v4, vcc, v8, v7, v8
	v_fma_f32 v5, -v0, v1, 1.0
	v_fmac_f32_e32 v1, v5, v1
	v_mul_f32_e32 v5, v4, v1
	v_fma_f32 v6, -v0, v5, v4
	v_fmac_f32_e32 v5, v6, v1
	v_fma_f32 v0, -v0, v5, v4
	v_div_fmas_f32 v0, v0, v1, v5
	v_div_fixup_f32 v0, v0, v7, v8
	global_store_dword v[2:3], v0, off
.LBB31_6:
	s_endpgm
	.section	.rodata,"a",@progbits
	.p2align	6, 0x0
	.amdhsa_kernel _ZL33flash_attn_stream_k_fixup_uniformILi256ELi64ELi1EEvPfPK15HIP_vector_typeIfLj2EEiiiiiiS1_IjLj3EES5_S5_
		.amdhsa_group_segment_fixed_size 0
		.amdhsa_private_segment_fixed_size 0
		.amdhsa_kernarg_size 76
		.amdhsa_user_sgpr_count 6
		.amdhsa_user_sgpr_private_segment_buffer 1
		.amdhsa_user_sgpr_dispatch_ptr 0
		.amdhsa_user_sgpr_queue_ptr 0
		.amdhsa_user_sgpr_kernarg_segment_ptr 1
		.amdhsa_user_sgpr_dispatch_id 0
		.amdhsa_user_sgpr_flat_scratch_init 0
		.amdhsa_user_sgpr_kernarg_preload_length 0
		.amdhsa_user_sgpr_kernarg_preload_offset 0
		.amdhsa_user_sgpr_private_segment_size 0
		.amdhsa_uses_dynamic_stack 0
		.amdhsa_system_sgpr_private_segment_wavefront_offset 0
		.amdhsa_system_sgpr_workgroup_id_x 1
		.amdhsa_system_sgpr_workgroup_id_y 1
		.amdhsa_system_sgpr_workgroup_id_z 1
		.amdhsa_system_sgpr_workgroup_info 0
		.amdhsa_system_vgpr_workitem_id 0
		.amdhsa_next_free_vgpr 17
		.amdhsa_next_free_sgpr 20
		.amdhsa_accum_offset 20
		.amdhsa_reserve_vcc 1
		.amdhsa_reserve_flat_scratch 0
		.amdhsa_float_round_mode_32 0
		.amdhsa_float_round_mode_16_64 0
		.amdhsa_float_denorm_mode_32 3
		.amdhsa_float_denorm_mode_16_64 3
		.amdhsa_dx10_clamp 1
		.amdhsa_ieee_mode 1
		.amdhsa_fp16_overflow 0
		.amdhsa_tg_split 0
		.amdhsa_exception_fp_ieee_invalid_op 0
		.amdhsa_exception_fp_denorm_src 0
		.amdhsa_exception_fp_ieee_div_zero 0
		.amdhsa_exception_fp_ieee_overflow 0
		.amdhsa_exception_fp_ieee_underflow 0
		.amdhsa_exception_fp_ieee_inexact 0
		.amdhsa_exception_int_div_zero 0
	.end_amdhsa_kernel
	.section	.text._ZL33flash_attn_stream_k_fixup_uniformILi256ELi64ELi1EEvPfPK15HIP_vector_typeIfLj2EEiiiiiiS1_IjLj3EES5_S5_,"axG",@progbits,_ZL33flash_attn_stream_k_fixup_uniformILi256ELi64ELi1EEvPfPK15HIP_vector_typeIfLj2EEiiiiiiS1_IjLj3EES5_S5_,comdat
.Lfunc_end31:
	.size	_ZL33flash_attn_stream_k_fixup_uniformILi256ELi64ELi1EEvPfPK15HIP_vector_typeIfLj2EEiiiiiiS1_IjLj3EES5_S5_, .Lfunc_end31-_ZL33flash_attn_stream_k_fixup_uniformILi256ELi64ELi1EEvPfPK15HIP_vector_typeIfLj2EEiiiiiiS1_IjLj3EES5_S5_
                                        ; -- End function
	.section	.AMDGPU.csdata,"",@progbits
; Kernel info:
; codeLenInByte = 840
; NumSgprs: 24
; NumVgprs: 17
; NumAgprs: 0
; TotalNumVgprs: 17
; ScratchSize: 0
; MemoryBound: 0
; FloatMode: 240
; IeeeMode: 1
; LDSByteSize: 0 bytes/workgroup (compile time only)
; SGPRBlocks: 2
; VGPRBlocks: 2
; NumSGPRsForWavesPerEU: 24
; NumVGPRsForWavesPerEU: 17
; AccumOffset: 20
; Occupancy: 8
; WaveLimiterHint : 0
; COMPUTE_PGM_RSRC2:SCRATCH_EN: 0
; COMPUTE_PGM_RSRC2:USER_SGPR: 6
; COMPUTE_PGM_RSRC2:TRAP_HANDLER: 0
; COMPUTE_PGM_RSRC2:TGID_X_EN: 1
; COMPUTE_PGM_RSRC2:TGID_Y_EN: 1
; COMPUTE_PGM_RSRC2:TGID_Z_EN: 1
; COMPUTE_PGM_RSRC2:TIDIG_COMP_CNT: 0
; COMPUTE_PGM_RSRC3_GFX90A:ACCUM_OFFSET: 4
; COMPUTE_PGM_RSRC3_GFX90A:TG_SPLIT: 0
	.section	.text._ZL33flash_attn_stream_k_fixup_generalILi256ELi64ELi1EEvPfPK15HIP_vector_typeIfLj2EEiiiiS1_IjLj3EES5_S5_S5_,"axG",@progbits,_ZL33flash_attn_stream_k_fixup_generalILi256ELi64ELi1EEvPfPK15HIP_vector_typeIfLj2EEiiiiS1_IjLj3EES5_S5_S5_,comdat
	.globl	_ZL33flash_attn_stream_k_fixup_generalILi256ELi64ELi1EEvPfPK15HIP_vector_typeIfLj2EEiiiiS1_IjLj3EES5_S5_S5_ ; -- Begin function _ZL33flash_attn_stream_k_fixup_generalILi256ELi64ELi1EEvPfPK15HIP_vector_typeIfLj2EEiiiiS1_IjLj3EES5_S5_S5_
	.p2align	8
	.type	_ZL33flash_attn_stream_k_fixup_generalILi256ELi64ELi1EEvPfPK15HIP_vector_typeIfLj2EEiiiiS1_IjLj3EES5_S5_S5_,@function
_ZL33flash_attn_stream_k_fixup_generalILi256ELi64ELi1EEvPfPK15HIP_vector_typeIfLj2EEiiiiS1_IjLj3EES5_S5_S5_: ; @_ZL33flash_attn_stream_k_fixup_generalILi256ELi64ELi1EEvPfPK15HIP_vector_typeIfLj2EEiiiiS1_IjLj3EES5_S5_S5_
; %bb.0:
	s_load_dwordx4 s[12:15], s[4:5], 0x10
	s_load_dword s9, s[4:5], 0x50
	s_mov_b32 s2, 0
	s_waitcnt lgkmcnt(0)
	s_mul_hi_i32 s3, s15, s6
	s_cmp_lg_u64 s[2:3], 0
	s_mul_i32 s2, s15, s6
	s_cbranch_scc0 .LBB32_21
; %bb.1:
	v_cvt_f32_u32_e32 v1, s9
	v_cvt_f32_ubyte0_e32 v2, 0
	s_sub_u32 s10, 0, s9
	s_subb_u32 s11, 0, 0
	v_madmk_f32 v1, v2, 0x4f800000, v1
	v_rcp_f32_e32 v1, v1
	v_mul_f32_e32 v1, 0x5f7ffffc, v1
	v_mul_f32_e32 v2, 0x2f800000, v1
	v_trunc_f32_e32 v2, v2
	v_madmk_f32 v1, v2, 0xcf800000, v1
	v_cvt_u32_f32_e32 v2, v2
	v_cvt_u32_f32_e32 v1, v1
	v_readfirstlane_b32 s16, v2
	v_readfirstlane_b32 s17, v1
	s_mul_i32 s18, s10, s16
	s_mul_hi_u32 s20, s10, s17
	s_mul_i32 s19, s11, s17
	s_add_i32 s18, s20, s18
	s_add_i32 s18, s18, s19
	s_mul_i32 s21, s10, s17
	s_mul_hi_u32 s19, s17, s18
	s_mul_i32 s20, s17, s18
	s_mul_hi_u32 s17, s17, s21
	s_add_u32 s17, s17, s20
	s_addc_u32 s19, 0, s19
	s_mul_hi_u32 s22, s16, s21
	s_mul_i32 s21, s16, s21
	s_add_u32 s17, s17, s21
	s_mul_hi_u32 s20, s16, s18
	s_addc_u32 s17, s19, s22
	s_addc_u32 s19, s20, 0
	s_mul_i32 s18, s16, s18
	s_add_u32 s17, s17, s18
	s_addc_u32 s18, 0, s19
	v_add_co_u32_e32 v1, vcc, s17, v1
	s_cmp_lg_u64 vcc, 0
	s_addc_u32 s16, s16, s18
	v_readfirstlane_b32 s18, v1
	s_mul_i32 s17, s10, s16
	s_mul_hi_u32 s19, s10, s18
	s_add_i32 s17, s19, s17
	s_mul_i32 s11, s11, s18
	s_add_i32 s17, s17, s11
	s_mul_i32 s10, s10, s18
	s_mul_hi_u32 s19, s16, s10
	s_mul_i32 s20, s16, s10
	s_mul_i32 s22, s18, s17
	s_mul_hi_u32 s10, s18, s10
	s_mul_hi_u32 s21, s18, s17
	s_add_u32 s10, s10, s22
	s_addc_u32 s18, 0, s21
	s_add_u32 s10, s10, s20
	s_mul_hi_u32 s11, s16, s17
	s_addc_u32 s10, s18, s19
	s_addc_u32 s11, s11, 0
	s_mul_i32 s17, s16, s17
	s_add_u32 s10, s10, s17
	s_addc_u32 s11, 0, s11
	v_add_co_u32_e32 v1, vcc, s10, v1
	s_cmp_lg_u64 vcc, 0
	s_addc_u32 s18, s16, s11
	s_ashr_i32 s10, s3, 31
	s_add_u32 s16, s2, s10
	s_mov_b32 s11, s10
	s_addc_u32 s17, s3, s10
	s_xor_b64 s[16:17], s[16:17], s[10:11]
	v_readfirstlane_b32 s20, v1
	s_mul_i32 s19, s16, s18
	s_mul_hi_u32 s21, s16, s20
	s_mul_hi_u32 s3, s16, s18
	s_add_u32 s19, s21, s19
	s_addc_u32 s3, 0, s3
	s_mul_hi_u32 s22, s17, s20
	s_mul_i32 s20, s17, s20
	s_add_u32 s19, s19, s20
	s_mul_hi_u32 s21, s17, s18
	s_addc_u32 s3, s3, s22
	s_addc_u32 s19, s21, 0
	s_mul_i32 s18, s17, s18
	s_add_u32 s3, s3, s18
	s_addc_u32 s18, 0, s19
	s_add_u32 s19, s3, 1
	s_addc_u32 s20, s18, 0
	s_add_u32 s21, s3, 2
	s_mul_i32 s23, s9, s18
	s_mul_hi_u32 s24, s9, s3
	s_addc_u32 s22, s18, 0
	s_add_i32 s24, s24, s23
	s_mul_i32 s23, s9, s3
	v_mov_b32_e32 v1, s23
	v_sub_co_u32_e32 v1, vcc, s16, v1
	s_cmp_lg_u64 vcc, 0
	s_subb_u32 s16, s17, s24
	v_subrev_co_u32_e32 v2, vcc, s9, v1
	s_cmp_lg_u64 vcc, 0
	s_subb_u32 s17, s16, 0
	v_readfirstlane_b32 s23, v2
	s_cmp_ge_u32 s23, s9
	s_cselect_b32 s23, -1, 0
	s_cmp_eq_u32 s17, 0
	s_cselect_b32 s17, s23, -1
	s_cmp_lg_u32 s17, 0
	s_cselect_b32 s17, s22, s20
	v_readfirstlane_b32 s20, v1
	s_cselect_b32 s19, s21, s19
	s_cmp_ge_u32 s20, s9
	s_cselect_b32 s20, -1, 0
	s_cmp_eq_u32 s16, 0
	s_cselect_b32 s16, s20, -1
	s_cmp_lg_u32 s16, 0
	s_cselect_b32 s17, s17, s18
	s_cselect_b32 s16, s19, s3
	s_xor_b64 s[16:17], s[16:17], s[10:11]
	s_sub_u32 s20, s16, s10
	s_load_dwordx4 s[16:19], s[4:5], 0x44
	s_cbranch_execnz .LBB32_3
.LBB32_2:
	v_cvt_f32_u32_e32 v1, s9
	s_sub_i32 s0, 0, s9
	v_rcp_iflag_f32_e32 v1, v1
	v_mul_f32_e32 v1, 0x4f7ffffe, v1
	v_cvt_u32_f32_e32 v1, v1
	v_readfirstlane_b32 s1, v1
	s_mul_i32 s0, s0, s1
	s_mul_hi_u32 s0, s1, s0
	s_add_i32 s1, s1, s0
	s_mul_hi_u32 s0, s2, s1
	s_mul_i32 s3, s0, s9
	s_sub_i32 s2, s2, s3
	s_add_i32 s1, s0, 1
	s_sub_i32 s3, s2, s9
	s_cmp_ge_u32 s2, s9
	s_cselect_b32 s0, s1, s0
	s_cselect_b32 s2, s3, s2
	s_add_i32 s1, s0, 1
	s_cmp_ge_u32 s2, s9
	s_cselect_b32 s20, s1, s0
.LBB32_3:
	s_add_i32 s0, s6, 1
	s_mul_hi_i32 s3, s15, s0
	s_mov_b32 s2, 0
	s_cmp_lg_u64 s[2:3], 0
	s_mul_i32 s2, s15, s0
	s_cbranch_scc0 .LBB32_22
; %bb.4:
	v_cvt_f32_u32_e32 v1, s9
	v_cvt_f32_ubyte0_e32 v2, 0
	s_sub_u32 s10, 0, s9
	s_subb_u32 s11, 0, 0
	v_madmk_f32 v1, v2, 0x4f800000, v1
	v_rcp_f32_e32 v1, v1
	v_mul_f32_e32 v1, 0x5f7ffffc, v1
	v_mul_f32_e32 v2, 0x2f800000, v1
	v_trunc_f32_e32 v2, v2
	v_madmk_f32 v1, v2, 0xcf800000, v1
	v_cvt_u32_f32_e32 v2, v2
	v_cvt_u32_f32_e32 v1, v1
	s_waitcnt lgkmcnt(0)
	v_readfirstlane_b32 s19, v2
	v_readfirstlane_b32 s21, v1
	s_mul_i32 s22, s10, s19
	s_mul_hi_u32 s24, s10, s21
	s_mul_i32 s23, s11, s21
	s_add_i32 s22, s24, s22
	s_add_i32 s22, s22, s23
	s_mul_i32 s25, s10, s21
	s_mul_hi_u32 s23, s21, s22
	s_mul_i32 s24, s21, s22
	s_mul_hi_u32 s21, s21, s25
	s_add_u32 s21, s21, s24
	s_addc_u32 s23, 0, s23
	s_mul_hi_u32 s26, s19, s25
	s_mul_i32 s25, s19, s25
	s_add_u32 s21, s21, s25
	s_mul_hi_u32 s24, s19, s22
	s_addc_u32 s21, s23, s26
	s_addc_u32 s23, s24, 0
	s_mul_i32 s22, s19, s22
	s_add_u32 s21, s21, s22
	s_addc_u32 s22, 0, s23
	v_add_co_u32_e32 v1, vcc, s21, v1
	s_cmp_lg_u64 vcc, 0
	s_addc_u32 s19, s19, s22
	v_readfirstlane_b32 s22, v1
	s_mul_i32 s21, s10, s19
	s_mul_hi_u32 s23, s10, s22
	s_add_i32 s21, s23, s21
	s_mul_i32 s11, s11, s22
	s_add_i32 s21, s21, s11
	s_mul_i32 s10, s10, s22
	s_mul_hi_u32 s23, s19, s10
	s_mul_i32 s24, s19, s10
	s_mul_i32 s26, s22, s21
	s_mul_hi_u32 s10, s22, s10
	s_mul_hi_u32 s25, s22, s21
	s_add_u32 s10, s10, s26
	s_addc_u32 s22, 0, s25
	s_add_u32 s10, s10, s24
	s_mul_hi_u32 s11, s19, s21
	s_addc_u32 s10, s22, s23
	s_addc_u32 s11, s11, 0
	s_mul_i32 s21, s19, s21
	s_add_u32 s10, s10, s21
	s_addc_u32 s11, 0, s11
	v_add_co_u32_e32 v1, vcc, s10, v1
	s_cmp_lg_u64 vcc, 0
	s_addc_u32 s19, s19, s11
	s_ashr_i32 s10, s3, 31
	s_add_u32 s22, s2, s10
	s_mov_b32 s11, s10
	s_addc_u32 s23, s3, s10
	s_xor_b64 s[22:23], s[22:23], s[10:11]
	v_readfirstlane_b32 s21, v1
	s_mul_i32 s11, s22, s19
	s_mul_hi_u32 s24, s22, s21
	s_mul_hi_u32 s3, s22, s19
	s_add_u32 s11, s24, s11
	s_addc_u32 s3, 0, s3
	s_mul_hi_u32 s25, s23, s21
	s_mul_i32 s21, s23, s21
	s_add_u32 s11, s11, s21
	s_mul_hi_u32 s24, s23, s19
	s_addc_u32 s3, s3, s25
	s_addc_u32 s11, s24, 0
	s_mul_i32 s19, s23, s19
	s_add_u32 s3, s3, s19
	s_addc_u32 s11, 0, s11
	s_mul_i32 s11, s9, s11
	s_mul_hi_u32 s24, s9, s3
	s_add_i32 s24, s24, s11
	s_mul_i32 s11, s9, s3
	v_mov_b32_e32 v1, s11
	s_add_u32 s19, s3, 1
	s_add_u32 s21, s3, 2
	v_sub_co_u32_e32 v1, vcc, s22, v1
	s_cmp_lg_u64 vcc, 0
	s_subb_u32 s11, s23, s24
	v_subrev_co_u32_e32 v2, vcc, s9, v1
	s_cmp_lg_u64 vcc, 0
	s_subb_u32 s22, s11, 0
	v_cmp_le_u32_e32 vcc, s9, v2
	s_cmp_eq_u32 s22, 0
	v_cndmask_b32_e64 v2, 0, -1, vcc
	s_cselect_b64 vcc, -1, 0
	v_cndmask_b32_e32 v2, -1, v2, vcc
	v_mov_b32_e32 v3, s19
	v_mov_b32_e32 v4, s21
	v_cmp_ne_u32_e32 vcc, 0, v2
	v_cndmask_b32_e32 v2, v3, v4, vcc
	v_cmp_le_u32_e32 vcc, s9, v1
	s_cmp_eq_u32 s11, 0
	v_cndmask_b32_e64 v1, 0, -1, vcc
	s_cselect_b64 vcc, -1, 0
	v_cndmask_b32_e32 v1, -1, v1, vcc
	v_mov_b32_e32 v3, s3
	v_cmp_ne_u32_e32 vcc, 0, v1
	v_cndmask_b32_e32 v1, v3, v2, vcc
	v_xor_b32_e32 v1, s10, v1
	v_subrev_co_u32_e32 v2, vcc, s10, v1
	s_cbranch_execnz .LBB32_6
.LBB32_5:
	v_cvt_f32_u32_e32 v1, s9
	s_sub_i32 s0, 0, s9
	s_mov_b32 s1, 0
	v_rcp_iflag_f32_e32 v1, v1
	v_mul_f32_e32 v1, 0x4f7ffffe, v1
	v_cvt_u32_f32_e32 v1, v1
	v_readfirstlane_b32 s3, v1
	s_mul_i32 s0, s0, s3
	s_mul_hi_u32 s0, s3, s0
	s_add_i32 s3, s3, s0
	s_mul_hi_u32 s0, s2, s3
	s_mul_i32 s10, s0, s9
	s_sub_i32 s2, s2, s10
	s_add_i32 s3, s0, 1
	s_sub_i32 s10, s2, s9
	s_cmp_ge_u32 s2, s9
	s_cselect_b32 s0, s3, s0
	s_cselect_b32 s2, s10, s2
	s_add_i32 s3, s0, 1
	s_cmp_ge_u32 s2, s9
	s_cselect_b32 s0, s3, s0
	v_pk_mov_b32 v[2:3], s[0:1], s[0:1] op_sel:[0,1]
.LBB32_6:
	s_waitcnt lgkmcnt(0)
	s_mul_hi_u32 s0, s20, s16
	s_add_i32 s0, s0, s20
	v_mul_hi_u32 v1, v2, s16
	s_lshr_b32 s19, s0, s17
	v_add_u32_e32 v1, v1, v2
	s_mul_i32 s0, s19, s18
	v_lshrrev_b32_e32 v1, s17, v1
	s_cmp_eq_u32 s0, s20
	v_cmp_eq_u32_e64 s[0:1], s19, v1
	v_mul_lo_u32 v1, v1, s18
	v_cmp_eq_u32_e32 vcc, s20, v2
	s_cselect_b64 s[10:11], -1, 0
	v_cmp_ne_u32_e64 s[2:3], v1, v2
	s_and_b64 s[0:1], s[0:1], s[2:3]
	s_or_b64 s[2:3], vcc, s[10:11]
	s_or_b64 s[0:1], s[2:3], s[0:1]
	s_and_b64 vcc, exec, s[0:1]
	s_cbranch_vccnz .LBB32_24
; %bb.7:
	s_load_dwordx8 s[24:31], s[4:5], 0x20
	s_load_dword s0, s[4:5], 0x40
	s_mov_b32 s10, 0
	s_waitcnt lgkmcnt(0)
	s_mul_hi_u32 s1, s20, s24
	s_add_i32 s1, s1, s20
	s_lshr_b32 s11, s1, s25
	s_mul_i32 s1, s11, s26
	s_sub_i32 s1, s20, s1
	s_mul_hi_u32 s2, s1, s27
	s_add_i32 s2, s1, s2
	s_lshr_b32 s25, s2, s28
	s_mul_i32 s2, s25, s29
	s_sub_i32 s1, s1, s2
	;; [unrolled: 5-line block ×3, first 2 shown]
	s_mul_hi_u32 s1, s0, s16
	s_add_i32 s0, s0, s1
	s_lshr_b32 s26, s0, s17
	s_lshl_b32 s0, s26, 6
	s_add_i32 s0, s0, s7
	s_cmp_lt_i32 s0, s12
	s_cselect_b64 s[0:1], -1, 0
	s_add_i32 s2, s24, s8
	s_cmp_lt_i32 s2, s14
	s_cselect_b64 s[2:3], -1, 0
	s_and_b64 s[0:1], s[0:1], s[2:3]
	s_andn2_b64 vcc, exec, s[0:1]
	s_cbranch_vccnz .LBB32_24
; %bb.8:
	s_load_dwordx4 s[0:3], s[4:5], 0x0
	s_lshl_b32 s4, s9, 8
	s_mov_b32 s5, s10
	s_add_i32 s21, s7, s8
	s_lshl_b64 s[4:5], s[4:5], 2
	s_waitcnt lgkmcnt(0)
	s_add_u32 s22, s2, s4
	s_mul_i32 s4, s11, s12
	s_addc_u32 s23, s3, s5
	s_add_i32 s4, s4, s7
	s_mul_i32 s4, s4, s13
	s_mul_i32 s25, s25, s14
	s_add_i32 s4, s4, s8
	s_add_i32 s4, s4, s25
	s_mul_i32 s5, s13, s26
	s_add_i32 s4, s4, s24
	s_lshl_b32 s5, s5, 14
	s_lshl_b32 s4, s4, 8
	s_add_i32 s5, s5, s4
	v_or_b32_e32 v2, s5, v0
	v_ashrrev_i32_e32 v3, 31, v2
	v_lshlrev_b64 v[2:3], 2, v[2:3]
	v_mov_b32_e32 v1, s1
	v_add_co_u32_e32 v2, vcc, s0, v2
	v_addc_co_u32_e32 v3, vcc, v1, v3, vcc
	global_load_dword v5, v[2:3], off
	v_lshl_or_b32 v4, s21, 8, v0
	v_cvt_f32_u32_e32 v0, s9
	v_cvt_f32_ubyte0_e32 v1, 0
	s_lshl_b32 s0, s6, 6
	s_add_i32 s0, s0, s21
	v_mac_f32_e32 v0, 0x4f800000, v1
	v_rcp_f32_e32 v0, v0
	v_cvt_f32_u32_e32 v1, s9
	s_ashr_i32 s1, s0, 31
	s_lshl_b64 s[0:1], s[0:1], 3
	v_mul_f32_e32 v0, 0x5f7ffffc, v0
	v_rcp_iflag_f32_e32 v1, v1
	s_add_u32 s0, s2, s0
	v_mul_f32_e32 v9, 0x2f800000, v0
	s_addc_u32 s1, s3, s1
	v_trunc_f32_e32 v10, v9
	s_load_dwordx2 s[0:1], s[0:1], 0x0
	v_mac_f32_e32 v0, 0xcf800000, v10
	v_cvt_u32_f32_e32 v9, v0
	v_mul_f32_e32 v0, 0x4f7ffffe, v1
	v_cvt_u32_f32_e32 v10, v10
	v_cvt_u32_f32_e32 v11, v0
	s_add_i32 s8, s6, -1
	s_waitcnt lgkmcnt(0)
	v_mov_b32_e32 v6, s1
	v_mov_b32_e32 v7, s0
	;; [unrolled: 1-line block ×3, first 2 shown]
	s_mov_b32 s6, 0x3fb8aa3b
	s_mov_b32 s7, 0xc2ce8ed0
	;; [unrolled: 1-line block ×4, first 2 shown]
	v_mov_b32_e32 v12, 0x7f800000
	s_mul_hi_i32 s11, s8, s15
	s_cmp_lg_u64 s[10:11], 0
	s_mul_i32 s4, s8, s15
	s_cbranch_scc0 .LBB32_15
.LBB32_9:
	s_sub_u32 s0, 0, s9
	v_readfirstlane_b32 s5, v9
	v_readfirstlane_b32 s24, v10
	s_subb_u32 s1, 0, 0
	s_mul_hi_u32 s20, s0, s5
	s_mul_i32 s25, s0, s24
	s_mul_i32 s14, s1, s5
	s_add_i32 s20, s20, s25
	s_add_i32 s20, s20, s14
	s_mul_i32 s26, s0, s5
	s_mul_hi_u32 s14, s5, s20
	s_mul_i32 s25, s5, s20
	s_mul_hi_u32 s5, s5, s26
	s_add_u32 s5, s5, s25
	s_addc_u32 s14, 0, s14
	s_mul_hi_u32 s27, s24, s26
	s_mul_i32 s26, s24, s26
	s_add_u32 s5, s5, s26
	s_mul_hi_u32 s25, s24, s20
	s_addc_u32 s5, s14, s27
	s_addc_u32 s14, s25, 0
	s_mul_i32 s20, s24, s20
	s_add_u32 s5, s5, s20
	s_addc_u32 s14, 0, s14
	v_add_co_u32_e32 v0, vcc, s5, v9
	s_cmp_lg_u64 vcc, 0
	s_addc_u32 s5, s24, s14
	v_readfirstlane_b32 s20, v0
	s_mul_i32 s14, s0, s5
	s_mul_hi_u32 s24, s0, s20
	s_add_i32 s14, s24, s14
	s_mul_i32 s1, s1, s20
	s_add_i32 s14, s14, s1
	s_mul_i32 s0, s0, s20
	s_mul_hi_u32 s24, s5, s0
	s_mul_i32 s25, s5, s0
	s_mul_i32 s27, s20, s14
	s_mul_hi_u32 s0, s20, s0
	s_mul_hi_u32 s26, s20, s14
	s_add_u32 s0, s0, s27
	s_addc_u32 s20, 0, s26
	s_add_u32 s0, s0, s25
	s_mul_hi_u32 s1, s5, s14
	s_addc_u32 s0, s20, s24
	s_addc_u32 s1, s1, 0
	s_mul_i32 s14, s5, s14
	s_add_u32 s0, s0, s14
	s_addc_u32 s1, 0, s1
	v_add_co_u32_e32 v0, vcc, s0, v0
	s_cmp_lg_u64 vcc, 0
	s_addc_u32 s5, s5, s1
	s_ashr_i32 s0, s11, 31
	s_add_u32 s24, s4, s0
	s_mov_b32 s1, s0
	s_addc_u32 s25, s11, s0
	s_xor_b64 s[24:25], s[24:25], s[0:1]
	v_readfirstlane_b32 s14, v0
	s_mul_i32 s11, s24, s5
	s_mul_hi_u32 s20, s24, s14
	s_mul_hi_u32 s1, s24, s5
	s_add_u32 s11, s20, s11
	s_addc_u32 s1, 0, s1
	s_mul_hi_u32 s26, s25, s14
	s_mul_i32 s14, s25, s14
	s_add_u32 s11, s11, s14
	s_mul_hi_u32 s20, s25, s5
	s_addc_u32 s1, s1, s26
	s_addc_u32 s11, s20, 0
	s_mul_i32 s5, s25, s5
	s_add_u32 s1, s1, s5
	s_addc_u32 s5, 0, s11
	s_mul_i32 s5, s9, s5
	s_mul_hi_u32 s20, s9, s1
	s_add_i32 s20, s20, s5
	s_mul_i32 s5, s9, s1
	v_mov_b32_e32 v0, s5
	s_add_u32 s11, s1, 1
	s_add_u32 s14, s1, 2
	v_sub_co_u32_e32 v0, vcc, s24, v0
	s_cmp_lg_u64 vcc, 0
	s_subb_u32 s5, s25, s20
	v_subrev_co_u32_e32 v1, vcc, s9, v0
	s_cmp_lg_u64 vcc, 0
	s_subb_u32 s20, s5, 0
	v_cmp_le_u32_e32 vcc, s9, v1
	s_cmp_eq_u32 s20, 0
	v_cndmask_b32_e64 v1, 0, -1, vcc
	s_cselect_b64 vcc, -1, 0
	v_cndmask_b32_e32 v1, -1, v1, vcc
	v_mov_b32_e32 v13, s11
	v_mov_b32_e32 v14, s14
	v_cmp_ne_u32_e32 vcc, 0, v1
	v_cndmask_b32_e32 v1, v13, v14, vcc
	v_cmp_le_u32_e32 vcc, s9, v0
	s_cmp_eq_u32 s5, 0
	v_cndmask_b32_e64 v0, 0, -1, vcc
	s_cselect_b64 vcc, -1, 0
	v_cndmask_b32_e32 v0, -1, v0, vcc
	v_mov_b32_e32 v13, s1
	v_cmp_ne_u32_e32 vcc, 0, v0
	v_cndmask_b32_e32 v0, v13, v1, vcc
	v_xor_b32_e32 v0, s0, v0
	v_subrev_co_u32_e32 v0, vcc, s0, v0
	s_cbranch_execnz .LBB32_11
.LBB32_10:
	s_sub_i32 s0, 0, s9
	v_mul_lo_u32 v0, s0, v11
	v_mul_hi_u32 v0, v11, v0
	v_add_u32_e32 v0, v11, v0
	v_mul_hi_u32 v0, s4, v0
	v_mul_lo_u32 v13, v0, s9
	v_sub_u32_e32 v13, s4, v13
	v_add_u32_e32 v1, 1, v0
	v_subrev_u32_e32 v14, s9, v13
	v_cmp_le_u32_e32 vcc, s9, v13
	v_cndmask_b32_e32 v13, v13, v14, vcc
	v_cndmask_b32_e32 v0, v0, v1, vcc
	v_add_u32_e32 v1, 1, v0
	v_cmp_le_u32_e32 vcc, s9, v13
	v_cndmask_b32_e32 v0, v0, v1, vcc
.LBB32_11:
	v_cmp_ne_u32_e32 vcc, v8, v0
	s_cbranch_vccz .LBB32_14
; %bb.12:
	s_add_i32 s0, s8, s9
	s_lshl_b32 s0, s0, 6
	v_mul_hi_u32 v1, v0, s16
	s_add_i32 s0, s0, s21
	s_mov_b32 s1, s10
	v_add_u32_e32 v1, v1, v0
	s_lshl_b64 s[0:1], s[0:1], 3
	v_lshrrev_b32_e32 v1, s17, v1
	s_add_u32 s4, s2, s0
	v_mul_lo_u32 v13, v1, s18
	s_addc_u32 s5, s3, s1
	v_cmp_eq_u32_e32 vcc, v13, v0
	v_cmp_gt_u32_e64 s[0:1], s19, v1
	s_or_b64 s[0:1], s[0:1], vcc
	s_and_b64 vcc, exec, s[0:1]
	s_cbranch_vccnz .LBB32_16
; %bb.13:
	s_add_i32 s11, s8, -1
	s_mov_b64 s[0:1], 0
	s_branch .LBB32_17
.LBB32_14:
                                        ; implicit-def: $sgpr0_sgpr1
                                        ; implicit-def: $vgpr14
                                        ; implicit-def: $vgpr1
                                        ; implicit-def: $vgpr13
                                        ; implicit-def: $sgpr11
                                        ; implicit-def: $vgpr0
	s_branch .LBB32_18
.LBB32_15:
                                        ; implicit-def: $vgpr0_vgpr1
	s_branch .LBB32_10
.LBB32_16:
	s_mov_b64 s[0:1], -1
	s_mov_b32 s11, s8
	v_mov_b32_e32 v0, v8
.LBB32_17:
	v_lshl_add_u32 v14, s8, 14, v4
	v_ashrrev_i32_e32 v15, 31, v14
	v_lshlrev_b64 v[14:15], 2, v[14:15]
	v_mov_b32_e32 v1, s23
	v_add_co_u32_e32 v14, vcc, s22, v14
	v_addc_co_u32_e32 v15, vcc, v1, v15, vcc
	global_load_dword v14, v[14:15], off
	s_load_dwordx2 s[4:5], s[4:5], 0x0
	v_max_f32_e32 v1, v7, v7
	s_waitcnt lgkmcnt(0)
	v_max_f32_e64 v13, s4, s4
	v_max_f32_e32 v1, v1, v13
	v_sub_f32_e32 v13, v7, v1
	v_sub_f32_e32 v15, s4, v1
	v_mul_f32_e32 v16, 0x3fb8aa3b, v13
	v_mul_f32_e32 v17, 0x3fb8aa3b, v15
	v_fma_f32 v18, v13, s6, -v16
	v_rndne_f32_e32 v19, v16
	v_fma_f32 v20, v15, s6, -v17
	v_rndne_f32_e32 v21, v17
	v_fmac_f32_e32 v18, 0x32a5705f, v13
	v_sub_f32_e32 v16, v16, v19
	v_fmac_f32_e32 v20, 0x32a5705f, v15
	v_sub_f32_e32 v17, v17, v21
	v_add_f32_e32 v16, v16, v18
	v_cvt_i32_f32_e32 v19, v19
	v_add_f32_e32 v17, v17, v20
	v_exp_f32_e32 v16, v16
	v_cvt_i32_f32_e32 v21, v21
	v_exp_f32_e32 v17, v17
	v_cmp_ngt_f32_e32 vcc, s7, v13
	v_ldexp_f32 v16, v16, v19
	v_cndmask_b32_e32 v16, 0, v16, vcc
	v_ldexp_f32 v17, v17, v21
	v_cmp_ngt_f32_e32 vcc, s7, v15
	v_cndmask_b32_e32 v17, 0, v17, vcc
	v_cmp_nlt_f32_e32 vcc, s12, v13
	v_cndmask_b32_e32 v16, v12, v16, vcc
	v_cmp_nlt_f32_e32 vcc, s12, v15
	v_cndmask_b32_e32 v17, v12, v17, vcc
	v_cmp_le_f32_e32 vcc, s13, v13
	v_cndmask_b32_e32 v16, 0, v16, vcc
	v_cmp_le_f32_e32 vcc, s13, v15
	v_cndmask_b32_e32 v15, 0, v17, vcc
	v_mul_f32_e32 v13, s5, v15
	v_fmac_f32_e32 v13, v6, v16
	s_waitcnt vmcnt(0)
	v_mul_f32_e32 v14, v14, v15
	v_fmac_f32_e32 v14, v5, v16
	s_cbranch_execnz .LBB32_19
.LBB32_18:
	s_add_i32 s11, s8, -1
	s_mov_b64 s[0:1], 0
	v_mov_b32_e32 v0, v8
	v_mov_b32_e32 v13, v6
	;; [unrolled: 1-line block ×3, first 2 shown]
	s_waitcnt vmcnt(0)
	v_mov_b32_e32 v14, v5
.LBB32_19:
	s_andn2_b64 vcc, exec, s[0:1]
	s_cbranch_vccz .LBB32_23
; %bb.20:
	v_mov_b32_e32 v8, v0
	s_mov_b32 s8, s11
	v_mov_b32_e32 v6, v13
	v_mov_b32_e32 v7, v1
	s_waitcnt vmcnt(0)
	v_mov_b32_e32 v5, v14
	s_mul_hi_i32 s11, s8, s15
	s_cmp_lg_u64 s[10:11], 0
	s_mul_i32 s4, s8, s15
	s_cbranch_scc1 .LBB32_9
	s_branch .LBB32_15
.LBB32_21:
                                        ; implicit-def: $sgpr20_sgpr21
	s_load_dwordx4 s[16:19], s[4:5], 0x44
	s_branch .LBB32_2
.LBB32_22:
                                        ; implicit-def: $vgpr2_vgpr3
	s_branch .LBB32_5
.LBB32_23:
	v_div_scale_f32 v0, s[0:1], v13, v13, v14
	v_rcp_f32_e32 v1, v0
	v_div_scale_f32 v4, vcc, v14, v13, v14
	s_waitcnt vmcnt(0)
	v_fma_f32 v5, -v0, v1, 1.0
	v_fmac_f32_e32 v1, v5, v1
	v_mul_f32_e32 v5, v4, v1
	v_fma_f32 v6, -v0, v5, v4
	v_fmac_f32_e32 v5, v6, v1
	v_fma_f32 v0, -v0, v5, v4
	v_div_fmas_f32 v0, v0, v1, v5
	v_div_fixup_f32 v0, v0, v13, v14
	global_store_dword v[2:3], v0, off
.LBB32_24:
	s_endpgm
	.section	.rodata,"a",@progbits
	.p2align	6, 0x0
	.amdhsa_kernel _ZL33flash_attn_stream_k_fixup_generalILi256ELi64ELi1EEvPfPK15HIP_vector_typeIfLj2EEiiiiS1_IjLj3EES5_S5_S5_
		.amdhsa_group_segment_fixed_size 0
		.amdhsa_private_segment_fixed_size 0
		.amdhsa_kernarg_size 336
		.amdhsa_user_sgpr_count 6
		.amdhsa_user_sgpr_private_segment_buffer 1
		.amdhsa_user_sgpr_dispatch_ptr 0
		.amdhsa_user_sgpr_queue_ptr 0
		.amdhsa_user_sgpr_kernarg_segment_ptr 1
		.amdhsa_user_sgpr_dispatch_id 0
		.amdhsa_user_sgpr_flat_scratch_init 0
		.amdhsa_user_sgpr_kernarg_preload_length 0
		.amdhsa_user_sgpr_kernarg_preload_offset 0
		.amdhsa_user_sgpr_private_segment_size 0
		.amdhsa_uses_dynamic_stack 0
		.amdhsa_system_sgpr_private_segment_wavefront_offset 0
		.amdhsa_system_sgpr_workgroup_id_x 1
		.amdhsa_system_sgpr_workgroup_id_y 1
		.amdhsa_system_sgpr_workgroup_id_z 1
		.amdhsa_system_sgpr_workgroup_info 0
		.amdhsa_system_vgpr_workitem_id 0
		.amdhsa_next_free_vgpr 22
		.amdhsa_next_free_sgpr 32
		.amdhsa_accum_offset 24
		.amdhsa_reserve_vcc 1
		.amdhsa_reserve_flat_scratch 0
		.amdhsa_float_round_mode_32 0
		.amdhsa_float_round_mode_16_64 0
		.amdhsa_float_denorm_mode_32 3
		.amdhsa_float_denorm_mode_16_64 3
		.amdhsa_dx10_clamp 1
		.amdhsa_ieee_mode 1
		.amdhsa_fp16_overflow 0
		.amdhsa_tg_split 0
		.amdhsa_exception_fp_ieee_invalid_op 0
		.amdhsa_exception_fp_denorm_src 0
		.amdhsa_exception_fp_ieee_div_zero 0
		.amdhsa_exception_fp_ieee_overflow 0
		.amdhsa_exception_fp_ieee_underflow 0
		.amdhsa_exception_fp_ieee_inexact 0
		.amdhsa_exception_int_div_zero 0
	.end_amdhsa_kernel
	.section	.text._ZL33flash_attn_stream_k_fixup_generalILi256ELi64ELi1EEvPfPK15HIP_vector_typeIfLj2EEiiiiS1_IjLj3EES5_S5_S5_,"axG",@progbits,_ZL33flash_attn_stream_k_fixup_generalILi256ELi64ELi1EEvPfPK15HIP_vector_typeIfLj2EEiiiiS1_IjLj3EES5_S5_S5_,comdat
.Lfunc_end32:
	.size	_ZL33flash_attn_stream_k_fixup_generalILi256ELi64ELi1EEvPfPK15HIP_vector_typeIfLj2EEiiiiS1_IjLj3EES5_S5_S5_, .Lfunc_end32-_ZL33flash_attn_stream_k_fixup_generalILi256ELi64ELi1EEvPfPK15HIP_vector_typeIfLj2EEiiiiS1_IjLj3EES5_S5_S5_
                                        ; -- End function
	.section	.AMDGPU.csdata,"",@progbits
; Kernel info:
; codeLenInByte = 2816
; NumSgprs: 36
; NumVgprs: 22
; NumAgprs: 0
; TotalNumVgprs: 22
; ScratchSize: 0
; MemoryBound: 0
; FloatMode: 240
; IeeeMode: 1
; LDSByteSize: 0 bytes/workgroup (compile time only)
; SGPRBlocks: 4
; VGPRBlocks: 2
; NumSGPRsForWavesPerEU: 36
; NumVGPRsForWavesPerEU: 22
; AccumOffset: 24
; Occupancy: 8
; WaveLimiterHint : 0
; COMPUTE_PGM_RSRC2:SCRATCH_EN: 0
; COMPUTE_PGM_RSRC2:USER_SGPR: 6
; COMPUTE_PGM_RSRC2:TRAP_HANDLER: 0
; COMPUTE_PGM_RSRC2:TGID_X_EN: 1
; COMPUTE_PGM_RSRC2:TGID_Y_EN: 1
; COMPUTE_PGM_RSRC2:TGID_Z_EN: 1
; COMPUTE_PGM_RSRC2:TIDIG_COMP_CNT: 0
; COMPUTE_PGM_RSRC3_GFX90A:ACCUM_OFFSET: 5
; COMPUTE_PGM_RSRC3_GFX90A:TG_SPLIT: 0
	.section	.text._ZL26flash_attn_combine_resultsILi256EEvPKfPK15HIP_vector_typeIfLj2EEPfi,"axG",@progbits,_ZL26flash_attn_combine_resultsILi256EEvPKfPK15HIP_vector_typeIfLj2EEPfi,comdat
	.globl	_ZL26flash_attn_combine_resultsILi256EEvPKfPK15HIP_vector_typeIfLj2EEPfi ; -- Begin function _ZL26flash_attn_combine_resultsILi256EEvPKfPK15HIP_vector_typeIfLj2EEPfi
	.p2align	8
	.type	_ZL26flash_attn_combine_resultsILi256EEvPKfPK15HIP_vector_typeIfLj2EEPfi,@function
_ZL26flash_attn_combine_resultsILi256EEvPKfPK15HIP_vector_typeIfLj2EEPfi: ; @_ZL26flash_attn_combine_resultsILi256EEvPKfPK15HIP_vector_typeIfLj2EEPfi
; %bb.0:
	s_load_dwordx2 s[10:11], s[4:5], 0x20
	s_load_dword s17, s[4:5], 0x18
	s_load_dwordx4 s[0:3], s[4:5], 0x0
	s_load_dwordx2 s[14:15], s[4:5], 0x10
	s_waitcnt lgkmcnt(0)
	s_mul_i32 s4, s10, s8
	s_add_i32 s4, s4, s6
	s_mul_i32 s16, s4, s11
	s_add_i32 s16, s16, s7
	s_lshl_b32 s18, s17, 1
	s_mul_i32 s4, s16, s17
	v_cmp_gt_i32_e32 vcc, s18, v0
	s_and_saveexec_b64 s[6:7], vcc
	s_cbranch_execz .LBB33_13
; %bb.1:
	v_xad_u32 v1, v0, -1, s18
	s_movk_i32 s8, 0xff
	s_ashr_i32 s5, s4, 31
	v_cmp_lt_u32_e32 vcc, s8, v1
	s_mov_b64 s[10:11], -1
	v_mov_b32_e32 v2, v0
	s_and_saveexec_b64 s[8:9], vcc
	s_cbranch_execz .LBB33_10
; %bb.2:
	v_lshrrev_b32_e32 v6, 8, v1
	s_lshl_b64 s[10:11], s[4:5], 3
	v_add_u32_e32 v2, -1, v6
	s_add_u32 s19, s2, s10
	v_or_b32_e32 v1, 0x100, v0
	v_lshrrev_b32_e32 v3, 1, v2
	s_addc_u32 s20, s3, s11
	v_add_u32_e32 v7, 1, v3
	v_cmp_lt_u32_e32 vcc, 13, v2
	v_mov_b32_e32 v4, 0
	v_pk_mov_b32 v[2:3], v[0:1], v[0:1] op_sel:[0,1]
	s_and_saveexec_b64 s[10:11], vcc
	s_cbranch_execz .LBB33_6
; %bb.3:
	v_and_b32_e32 v8, -8, v7
	s_mov_b32 s21, 0
	v_lshl_add_u32 v9, v0, 2, 0
	s_mov_b64 s[12:13], 0
	v_mov_b32_e32 v10, s20
	v_mov_b32_e32 v5, 0
	v_pk_mov_b32 v[2:3], v[0:1], v[0:1] op_sel:[0,1]
.LBB33_4:                               ; =>This Inner Loop Header: Depth=1
	v_mov_b32_e32 v4, v2
	v_lshlrev_b64 v[26:27], 2, v[4:5]
	v_add_u32_e32 v12, 0x200, v3
	v_mov_b32_e32 v13, v5
	v_add_co_u32_e32 v26, vcc, s19, v26
	v_lshlrev_b64 v[12:13], 2, v[12:13]
	v_addc_co_u32_e32 v27, vcc, v10, v27, vcc
	v_add_u32_e32 v14, 0x400, v3
	v_mov_b32_e32 v15, v5
	v_add_co_u32_e32 v12, vcc, s19, v12
	v_lshlrev_b64 v[14:15], 2, v[14:15]
	v_addc_co_u32_e32 v13, vcc, v10, v13, vcc
	;; [unrolled: 5-line block ×7, first 2 shown]
	v_mov_b32_e32 v4, v3
	v_add_co_u32_e32 v24, vcc, s19, v24
	v_lshlrev_b64 v[28:29], 2, v[4:5]
	v_addc_co_u32_e32 v25, vcc, v10, v25, vcc
	v_add_u32_e32 v4, 0x200, v2
	v_add_co_u32_e32 v28, vcc, s19, v28
	v_addc_co_u32_e32 v29, vcc, v10, v29, vcc
	global_load_dword v1, v[26:27], off
	v_lshlrev_b64 v[26:27], 2, v[4:5]
	v_add_u32_e32 v4, 0x400, v2
	v_add_co_u32_e32 v26, vcc, s19, v26
	v_addc_co_u32_e32 v27, vcc, v10, v27, vcc
	v_lshlrev_b64 v[30:31], 2, v[4:5]
	v_add_u32_e32 v4, 0x600, v2
	global_load_dword v11, v[28:29], off
	global_load_dword v32, v[26:27], off
	;; [unrolled: 1-line block ×3, first 2 shown]
	v_add_co_u32_e32 v12, vcc, s19, v30
	v_addc_co_u32_e32 v13, vcc, v10, v31, vcc
	v_lshlrev_b64 v[26:27], 2, v[4:5]
	v_add_u32_e32 v4, 0x800, v2
	v_add_co_u32_e32 v26, vcc, s19, v26
	v_addc_co_u32_e32 v27, vcc, v10, v27, vcc
	v_lshlrev_b64 v[28:29], 2, v[4:5]
	v_add_u32_e32 v4, 0xa00, v2
	global_load_dword v30, v[12:13], off
	global_load_dword v31, v[14:15], off
	;; [unrolled: 1-line block ×4, first 2 shown]
	v_add_co_u32_e32 v12, vcc, s19, v28
	v_addc_co_u32_e32 v13, vcc, v10, v29, vcc
	v_lshlrev_b64 v[14:15], 2, v[4:5]
	v_add_u32_e32 v4, 0xc00, v2
	v_add_co_u32_e32 v14, vcc, s19, v14
	v_addc_co_u32_e32 v15, vcc, v10, v15, vcc
	v_lshlrev_b64 v[16:17], 2, v[4:5]
	v_add_u32_e32 v4, 0xe00, v2
	global_load_dword v26, v[12:13], off
	global_load_dword v27, v[18:19], off
	;; [unrolled: 1-line block ×4, first 2 shown]
	v_add_co_u32_e32 v12, vcc, s19, v16
	v_addc_co_u32_e32 v13, vcc, v10, v17, vcc
	v_lshlrev_b64 v[14:15], 2, v[4:5]
	v_add_co_u32_e32 v14, vcc, s19, v14
	v_addc_co_u32_e32 v15, vcc, v10, v15, vcc
	global_load_dword v16, v[12:13], off
	global_load_dword v17, v[22:23], off
	;; [unrolled: 1-line block ×4, first 2 shown]
	v_add_u32_e32 v8, -8, v8
	s_add_i32 s21, s21, 16
	v_cmp_eq_u32_e32 vcc, 0, v8
	v_add_u32_e32 v3, 0x1000, v3
	v_mov_b32_e32 v4, s21
	s_or_b64 s[12:13], vcc, s[12:13]
	v_add_u32_e32 v2, 0x1000, v2
	s_waitcnt vmcnt(14)
	ds_write2st64_b32 v9, v1, v11 offset1:4
	s_waitcnt vmcnt(12)
	ds_write2st64_b32 v9, v32, v33 offset0:8 offset1:12
	s_waitcnt vmcnt(10)
	ds_write2st64_b32 v9, v30, v31 offset0:16 offset1:20
	;; [unrolled: 2-line block ×7, first 2 shown]
	v_add_u32_e32 v9, 0x4000, v9
	s_andn2_b64 exec, exec, s[12:13]
	s_cbranch_execnz .LBB33_4
; %bb.5:
	s_or_b64 exec, exec, s[12:13]
.LBB33_6:
	s_or_b64 exec, exec, s[10:11]
	v_and_b32_e32 v1, 7, v7
	v_cmp_ne_u32_e32 vcc, 0, v1
	s_and_saveexec_b64 s[10:11], vcc
	s_cbranch_execz .LBB33_9
; %bb.7:
	v_lshlrev_b32_e32 v5, 2, v0
	v_lshl_or_b32 v4, v4, 10, v5
	v_add_u32_e32 v7, 0, v4
	s_mov_b64 s[12:13], 0
	v_mov_b32_e32 v8, s20
	v_mov_b32_e32 v5, 0
.LBB33_8:                               ; =>This Inner Loop Header: Depth=1
	v_mov_b32_e32 v4, v2
	v_lshlrev_b64 v[10:11], 2, v[4:5]
	v_mov_b32_e32 v4, v3
	v_add_co_u32_e32 v10, vcc, s19, v10
	v_addc_co_u32_e32 v11, vcc, v8, v11, vcc
	v_lshlrev_b64 v[12:13], 2, v[4:5]
	v_add_co_u32_e32 v12, vcc, s19, v12
	v_addc_co_u32_e32 v13, vcc, v8, v13, vcc
	global_load_dword v4, v[10:11], off
	global_load_dword v9, v[12:13], off
	v_add_u32_e32 v1, -1, v1
	v_cmp_eq_u32_e32 vcc, 0, v1
	v_add_u32_e32 v2, 0x200, v2
	v_add_u32_e32 v3, 0x200, v3
	s_or_b64 s[12:13], vcc, s[12:13]
	s_waitcnt vmcnt(0)
	ds_write2st64_b32 v7, v4, v9 offset1:4
	v_add_u32_e32 v7, 0x800, v7
	s_andn2_b64 exec, exec, s[12:13]
	s_cbranch_execnz .LBB33_8
.LBB33_9:
	s_or_b64 exec, exec, s[10:11]
	v_add_u32_e32 v1, 1, v6
	v_and_b32_e32 v3, 0x1fffffe, v1
	v_cmp_ne_u32_e32 vcc, v1, v3
	v_lshl_or_b32 v2, v3, 8, v0
	s_orn2_b64 s[10:11], vcc, exec
.LBB33_10:
	s_or_b64 exec, exec, s[8:9]
	s_and_b64 exec, exec, s[10:11]
	s_cbranch_execz .LBB33_13
; %bb.11:
	s_lshl_b64 s[8:9], s[4:5], 3
	v_mov_b32_e32 v3, 0
	s_add_u32 s2, s2, s8
	v_lshlrev_b64 v[4:5], 2, v[2:3]
	s_addc_u32 s3, s3, s9
	v_mov_b32_e32 v1, s3
	v_add_co_u32_e32 v4, vcc, s2, v4
	v_addc_co_u32_e32 v5, vcc, v1, v5, vcc
	v_lshl_add_u32 v1, v2, 2, 0
	s_mov_b64 s[2:3], 0
.LBB33_12:                              ; =>This Inner Loop Header: Depth=1
	global_load_dword v3, v[4:5], off
	v_add_co_u32_e32 v4, vcc, 0x400, v4
	v_add_u32_e32 v2, 0x100, v2
	v_addc_co_u32_e32 v5, vcc, 0, v5, vcc
	v_cmp_le_i32_e32 vcc, s18, v2
	s_or_b64 s[2:3], vcc, s[2:3]
	s_waitcnt vmcnt(0)
	ds_write_b32 v1, v3
	v_add_u32_e32 v1, 0x400, v1
	s_andn2_b64 exec, exec, s[2:3]
	s_cbranch_execnz .LBB33_12
.LBB33_13:
	s_or_b64 exec, exec, s[6:7]
	v_mov_b32_e32 v1, 0
	s_waitcnt lgkmcnt(0)
	s_barrier
	ds_read_b32 v1, v1
	s_cmp_lt_i32 s17, 2
	s_cbranch_scc1 .LBB33_21
; %bb.14:
	s_add_i32 s2, s17, -1
	s_add_i32 s3, s17, -2
	s_cmp_lt_u32 s3, 7
	s_cbranch_scc1 .LBB33_18
; %bb.15:
	s_mov_b32 s6, 0
	s_add_i32 s3, 0, 8
	s_and_b32 s5, s2, -8
.LBB33_16:                              ; =>This Inner Loop Header: Depth=1
	v_mov_b32_e32 v8, s3
	ds_read2_b32 v[2:3], v8 offset1:2
	ds_read2_b32 v[4:5], v8 offset0:4 offset1:6
	ds_read2_b32 v[6:7], v8 offset0:8 offset1:10
	;; [unrolled: 1-line block ×3, first 2 shown]
	s_mov_b32 s7, s6
	s_waitcnt lgkmcnt(3)
	v_max3_f32 v1, v1, v2, v3
	s_waitcnt lgkmcnt(2)
	v_max3_f32 v1, v1, v4, v5
	s_add_i32 s3, s3, 64
	s_add_i32 s6, s6, 8
	s_waitcnt lgkmcnt(1)
	v_max3_f32 v1, v1, v6, v7
	s_cmp_eq_u32 s5, s6
	s_waitcnt lgkmcnt(0)
	v_max3_f32 v1, v1, v8, v9
	s_cbranch_scc0 .LBB33_16
; %bb.17:
	s_add_i32 s3, s7, 9
	s_and_b32 s2, s2, 7
	s_cmp_eq_u32 s2, 0
	s_cbranch_scc0 .LBB33_19
	s_branch .LBB33_21
.LBB33_18:
	s_mov_b32 s3, 1
	s_and_b32 s2, s2, 7
	s_cmp_eq_u32 s2, 0
	s_cbranch_scc1 .LBB33_21
.LBB33_19:
	s_lshl_b32 s3, s3, 3
	s_add_i32 s3, s3, 0
.LBB33_20:                              ; =>This Inner Loop Header: Depth=1
	v_mov_b32_e32 v2, s3
	ds_read_b32 v2, v2
	s_waitcnt lgkmcnt(1)
	v_max_f32_e32 v1, v1, v1
	s_add_i32 s3, s3, 8
	s_add_i32 s2, s2, -1
	s_cmp_lg_u32 s2, 0
	s_waitcnt lgkmcnt(0)
	v_max_f32_e32 v2, v2, v2
	v_max_f32_e32 v1, v1, v2
	s_cbranch_scc1 .LBB33_20
.LBB33_21:
	s_cmp_lt_i32 s17, 1
	s_cbranch_scc1 .LBB33_26
; %bb.22:
	s_lshl_b32 s2, s4, 8
	s_ashr_i32 s3, s2, 31
	s_lshl_b64 s[2:3], s[2:3], 2
	s_add_u32 s18, s0, s2
	s_addc_u32 s19, s1, s3
	s_cmp_lt_u32 s17, 8
	v_mov_b32_e32 v6, 0
	s_cbranch_scc1 .LBB33_27
; %bb.23:
	s_and_b32 s20, s17, 0x7ffffff8
	v_or_b32_e32 v2, 0x700, v0
	s_mov_b32 s21, 0
	v_mov_b32_e32 v5, 0
	s_mov_b32 s22, 0x3fb8aa3b
	s_mov_b32 s23, 0xc2ce8ed0
	;; [unrolled: 1-line block ×3, first 2 shown]
	v_mov_b32_e32 v8, 0x7f800000
	v_mov_b32_e32 v9, s19
	s_mov_b32 s25, 0
	v_mov_b32_e32 v7, 0
	v_mov_b32_e32 v6, 0
.LBB33_24:                              ; =>This Inner Loop Header: Depth=1
	v_add_u32_e32 v4, 0xfffff900, v2
	v_lshlrev_b64 v[26:27], 2, v[4:5]
	v_mov_b32_e32 v3, v5
	v_add_co_u32_e32 v26, vcc, s18, v26
	v_lshlrev_b64 v[28:29], 2, v[2:3]
	v_addc_co_u32_e32 v27, vcc, v9, v27, vcc
	v_add_u32_e32 v4, 0xfffffa00, v2
	v_add_co_u32_e32 v28, vcc, s18, v28
	v_mov_b32_e32 v22, s21
	v_lshlrev_b64 v[30:31], 2, v[4:5]
	v_addc_co_u32_e32 v29, vcc, v9, v29, vcc
	ds_read2_b64 v[10:13], v22 offset1:1
	ds_read2_b64 v[14:17], v22 offset0:2 offset1:3
	ds_read2_b64 v[18:21], v22 offset0:4 offset1:5
	ds_read2_b64 v[22:25], v22 offset0:6 offset1:7
	v_add_u32_e32 v4, 0xfffffb00, v2
	global_load_dword v3, v[26:27], off
	v_add_co_u32_e32 v26, vcc, s18, v30
	v_addc_co_u32_e32 v27, vcc, v9, v31, vcc
	v_lshlrev_b64 v[30:31], 2, v[4:5]
	v_add_u32_e32 v4, 0xfffffc00, v2
	v_add_co_u32_e32 v30, vcc, s18, v30
	v_addc_co_u32_e32 v31, vcc, v9, v31, vcc
	v_lshlrev_b64 v[32:33], 2, v[4:5]
	v_add_u32_e32 v4, 0xfffffd00, v2
	global_load_dword v34, v[26:27], off
	global_load_dword v35, v[30:31], off
	v_add_co_u32_e32 v26, vcc, s18, v32
	v_addc_co_u32_e32 v27, vcc, v9, v33, vcc
	v_lshlrev_b64 v[30:31], 2, v[4:5]
	v_add_u32_e32 v4, 0xfffffe00, v2
	v_add_co_u32_e32 v30, vcc, s18, v30
	v_addc_co_u32_e32 v31, vcc, v9, v31, vcc
	v_lshlrev_b64 v[32:33], 2, v[4:5]
	global_load_dword v36, v[26:27], off
	v_add_u32_e32 v4, 0xffffff00, v2
	global_load_dword v28, v[28:29], off
	v_add_co_u32_e32 v26, vcc, s18, v32
	v_addc_co_u32_e32 v27, vcc, v9, v33, vcc
	global_load_dword v42, v[30:31], off
	s_waitcnt lgkmcnt(3)
	v_sub_f32_e32 v12, v12, v1
	global_load_dword v26, v[26:27], off
	v_lshlrev_b64 v[30:31], 2, v[4:5]
	v_add_co_u32_e32 v30, vcc, s18, v30
	v_addc_co_u32_e32 v31, vcc, v9, v31, vcc
	global_load_dword v30, v[30:31], off
	s_waitcnt lgkmcnt(2)
	v_sub_f32_e32 v14, v14, v1
	v_sub_f32_e32 v10, v10, v1
	v_mul_f32_e32 v38, 0x3fb8aa3b, v12
	v_mul_f32_e32 v39, 0x3fb8aa3b, v14
	s_waitcnt lgkmcnt(1)
	v_sub_f32_e32 v18, v18, v1
	s_waitcnt lgkmcnt(0)
	v_sub_f32_e32 v22, v22, v1
	v_mul_f32_e32 v37, 0x3fb8aa3b, v10
	v_fma_f32 v45, v12, s22, -v38
	v_rndne_f32_e32 v46, v38
	v_fma_f32 v47, v14, s22, -v39
	v_rndne_f32_e32 v48, v39
	v_sub_f32_e32 v16, v16, v1
	v_sub_f32_e32 v20, v20, v1
	v_mul_f32_e32 v41, 0x3fb8aa3b, v18
	v_mul_f32_e32 v32, 0x3fb8aa3b, v22
	v_fma_f32 v33, v10, s22, -v37
	v_rndne_f32_e32 v44, v37
	v_fmac_f32_e32 v45, 0x32a5705f, v12
	v_sub_f32_e32 v38, v38, v46
	v_fmac_f32_e32 v47, 0x32a5705f, v14
	v_sub_f32_e32 v39, v39, v48
	v_mul_f32_e32 v40, 0x3fb8aa3b, v16
	v_mul_f32_e32 v43, 0x3fb8aa3b, v20
	v_fma_f32 v27, v18, s22, -v41
	v_rndne_f32_e32 v31, v41
	v_fmac_f32_e32 v33, 0x32a5705f, v10
	v_sub_f32_e32 v37, v37, v44
	v_add_f32_e32 v38, v38, v45
	v_fma_f32 v45, v22, s22, -v32
	v_add_f32_e32 v39, v39, v47
	v_rndne_f32_e32 v47, v32
	v_fma_f32 v49, v16, s22, -v40
	v_rndne_f32_e32 v50, v40
	v_fma_f32 v29, v20, s22, -v43
	v_add_f32_e32 v33, v37, v33
	v_rndne_f32_e32 v37, v43
	v_fmac_f32_e32 v27, 0x32a5705f, v18
	v_sub_f32_e32 v41, v41, v31
	v_fmac_f32_e32 v45, 0x32a5705f, v22
	v_sub_f32_e32 v32, v32, v47
	;; [unrolled: 2-line block ×3, first 2 shown]
	v_add_f32_e32 v27, v41, v27
	v_cvt_i32_f32_e32 v44, v44
	v_fmac_f32_e32 v29, 0x32a5705f, v20
	v_sub_f32_e32 v43, v43, v37
	v_add_f32_e32 v32, v32, v45
	v_exp_f32_e32 v33, v33
	v_add_f32_e32 v40, v40, v49
	v_cvt_i32_f32_e32 v46, v46
	v_cvt_i32_f32_e32 v31, v31
	;; [unrolled: 1-line block ×3, first 2 shown]
	v_add_f32_e32 v29, v43, v29
	v_exp_f32_e32 v38, v38
	v_exp_f32_e32 v27, v27
	;; [unrolled: 1-line block ×3, first 2 shown]
	v_sub_f32_e32 v24, v24, v1
	v_cvt_i32_f32_e32 v48, v48
	v_cvt_i32_f32_e32 v50, v50
	;; [unrolled: 1-line block ×3, first 2 shown]
	v_exp_f32_e32 v39, v39
	v_exp_f32_e32 v40, v40
	;; [unrolled: 1-line block ×3, first 2 shown]
	v_mul_f32_e32 v4, 0x3fb8aa3b, v24
	v_fma_f32 v49, v24, s22, -v4
	v_rndne_f32_e32 v41, v4
	v_ldexp_f32 v33, v33, v44
	v_cmp_ngt_f32_e64 s[12:13], s23, v10
	v_fmac_f32_e32 v49, 0x32a5705f, v24
	v_sub_f32_e32 v4, v4, v41
	v_ldexp_f32 v38, v38, v46
	v_cmp_ngt_f32_e32 vcc, s23, v12
	v_ldexp_f32 v27, v27, v31
	v_ldexp_f32 v31, v32, v47
	v_cndmask_b32_e64 v32, 0, v33, s[12:13]
	v_cmp_nlt_f32_e64 s[12:13], s24, v10
	v_add_f32_e32 v4, v4, v49
	v_ldexp_f32 v39, v39, v48
	v_cmp_ngt_f32_e64 s[0:1], s23, v14
	v_ldexp_f32 v40, v40, v50
	v_cmp_ngt_f32_e64 s[2:3], s23, v16
	v_cmp_ngt_f32_e64 s[4:5], s23, v18
	v_ldexp_f32 v29, v29, v37
	v_cmp_ngt_f32_e64 s[6:7], s23, v20
	v_cmp_ngt_f32_e64 s[8:9], s23, v22
	v_cndmask_b32_e32 v33, 0, v38, vcc
	v_cmp_nlt_f32_e32 vcc, s24, v12
	v_cndmask_b32_e64 v10, v8, v32, s[12:13]
	v_cvt_i32_f32_e32 v41, v41
	v_exp_f32_e32 v4, v4
	v_cndmask_b32_e64 v12, 0, v39, s[0:1]
	v_cmp_nlt_f32_e64 s[0:1], s24, v14
	v_cndmask_b32_e64 v14, 0, v40, s[2:3]
	v_cmp_nlt_f32_e64 s[2:3], s24, v16
	;; [unrolled: 2-line block ×5, first 2 shown]
	v_cndmask_b32_e32 v22, v8, v33, vcc
	v_fmac_f32_e32 v7, v10, v11
	s_waitcnt vmcnt(7)
	v_fmac_f32_e32 v6, v3, v10
	v_cndmask_b32_e64 v12, v8, v12, s[0:1]
	v_fmac_f32_e32 v7, v22, v13
	s_waitcnt vmcnt(6)
	v_fmac_f32_e32 v6, v34, v22
	v_cndmask_b32_e64 v14, v8, v14, s[2:3]
	;; [unrolled: 4-line block ×3, first 2 shown]
	v_fmac_f32_e32 v7, v14, v17
	s_waitcnt vmcnt(4)
	v_fmac_f32_e32 v6, v36, v14
	v_ldexp_f32 v4, v4, v41
	v_cmp_ngt_f32_e64 s[10:11], s23, v24
	v_cndmask_b32_e64 v18, v8, v18, s[6:7]
	v_fmac_f32_e32 v7, v16, v19
	s_waitcnt vmcnt(2)
	v_fmac_f32_e32 v6, v42, v16
	v_cndmask_b32_e64 v4, 0, v4, s[10:11]
	v_cmp_nlt_f32_e64 s[10:11], s24, v24
	v_cndmask_b32_e64 v20, v8, v20, s[8:9]
	v_fmac_f32_e32 v7, v18, v21
	s_waitcnt vmcnt(1)
	v_fmac_f32_e32 v6, v26, v18
	s_add_i32 s25, s25, 8
	s_add_i32 s21, s21, 64
	v_cndmask_b32_e64 v4, v8, v4, s[10:11]
	v_fmac_f32_e32 v7, v20, v23
	s_waitcnt vmcnt(0)
	v_fmac_f32_e32 v6, v30, v20
	s_cmp_eq_u32 s20, s25
	v_add_u32_e32 v2, 0x800, v2
	v_fmac_f32_e32 v7, v4, v25
	v_fmac_f32_e32 v6, v28, v4
	s_cbranch_scc0 .LBB33_24
; %bb.25:
	s_and_b32 s0, s17, 7
	s_cmp_eq_u32 s0, 0
	s_cbranch_scc0 .LBB33_28
	s_branch .LBB33_30
.LBB33_26:
	s_waitcnt lgkmcnt(0)
	v_mov_b32_e32 v1, 0x7fc00000
	s_branch .LBB33_31
.LBB33_27:
	s_mov_b32 s20, 0
	v_mov_b32_e32 v7, 0
	s_and_b32 s0, s17, 7
	s_cmp_eq_u32 s0, 0
	s_cbranch_scc1 .LBB33_30
.LBB33_28:
	s_lshl_b32 s1, s20, 3
	v_lshl_or_b32 v2, s20, 8, v0
	s_add_i32 s1, s1, 0
	s_mov_b32 s2, 0x3fb8aa3b
	s_mov_b32 s3, 0xc2ce8ed0
	;; [unrolled: 1-line block ×3, first 2 shown]
	v_mov_b32_e32 v4, 0x7f800000
	v_mov_b32_e32 v3, 0
	;; [unrolled: 1-line block ×3, first 2 shown]
.LBB33_29:                              ; =>This Inner Loop Header: Depth=1
	v_lshlrev_b64 v[8:9], 2, v[2:3]
	v_add_co_u32_e32 v8, vcc, s18, v8
	v_addc_co_u32_e32 v9, vcc, v5, v9, vcc
	global_load_dword v10, v[8:9], off
	v_mov_b32_e32 v8, s1
	ds_read_b64 v[8:9], v8
	s_add_i32 s1, s1, 8
	s_add_i32 s0, s0, -1
	v_add_u32_e32 v2, 0x100, v2
	s_cmp_lg_u32 s0, 0
	s_waitcnt lgkmcnt(0)
	v_sub_f32_e32 v8, v8, v1
	v_mul_f32_e32 v11, 0x3fb8aa3b, v8
	v_fma_f32 v12, v8, s2, -v11
	v_rndne_f32_e32 v13, v11
	v_fmac_f32_e32 v12, 0x32a5705f, v8
	v_sub_f32_e32 v11, v11, v13
	v_add_f32_e32 v11, v11, v12
	v_cvt_i32_f32_e32 v13, v13
	v_exp_f32_e32 v11, v11
	v_cmp_ngt_f32_e32 vcc, s3, v8
	v_ldexp_f32 v11, v11, v13
	v_cndmask_b32_e32 v11, 0, v11, vcc
	v_cmp_nlt_f32_e32 vcc, s4, v8
	v_cndmask_b32_e32 v8, v4, v11, vcc
	v_fmac_f32_e32 v7, v8, v9
	s_waitcnt vmcnt(0)
	v_fmac_f32_e32 v6, v10, v8
	s_cbranch_scc1 .LBB33_29
.LBB33_30:
	s_waitcnt lgkmcnt(0)
	v_div_scale_f32 v1, s[0:1], v7, v7, v6
	v_rcp_f32_e32 v2, v1
	v_div_scale_f32 v3, vcc, v6, v7, v6
	v_fma_f32 v4, -v1, v2, 1.0
	v_fmac_f32_e32 v2, v4, v2
	v_mul_f32_e32 v4, v3, v2
	v_fma_f32 v5, -v1, v4, v3
	v_fmac_f32_e32 v4, v5, v2
	v_fma_f32 v1, -v1, v4, v3
	v_div_fmas_f32 v1, v1, v2, v4
	v_div_fixup_f32 v1, v1, v7, v6
.LBB33_31:
	s_lshl_b32 s0, s16, 8
	s_ashr_i32 s1, s0, 31
	s_lshl_b64 s[0:1], s[0:1], 2
	s_add_u32 s0, s14, s0
	s_addc_u32 s1, s15, s1
	v_lshlrev_b32_e32 v0, 2, v0
	global_store_dword v0, v1, s[0:1]
	s_endpgm
	.section	.rodata,"a",@progbits
	.p2align	6, 0x0
	.amdhsa_kernel _ZL26flash_attn_combine_resultsILi256EEvPKfPK15HIP_vector_typeIfLj2EEPfi
		.amdhsa_group_segment_fixed_size 0
		.amdhsa_private_segment_fixed_size 0
		.amdhsa_kernarg_size 288
		.amdhsa_user_sgpr_count 6
		.amdhsa_user_sgpr_private_segment_buffer 1
		.amdhsa_user_sgpr_dispatch_ptr 0
		.amdhsa_user_sgpr_queue_ptr 0
		.amdhsa_user_sgpr_kernarg_segment_ptr 1
		.amdhsa_user_sgpr_dispatch_id 0
		.amdhsa_user_sgpr_flat_scratch_init 0
		.amdhsa_user_sgpr_kernarg_preload_length 0
		.amdhsa_user_sgpr_kernarg_preload_offset 0
		.amdhsa_user_sgpr_private_segment_size 0
		.amdhsa_uses_dynamic_stack 0
		.amdhsa_system_sgpr_private_segment_wavefront_offset 0
		.amdhsa_system_sgpr_workgroup_id_x 1
		.amdhsa_system_sgpr_workgroup_id_y 1
		.amdhsa_system_sgpr_workgroup_id_z 1
		.amdhsa_system_sgpr_workgroup_info 0
		.amdhsa_system_vgpr_workitem_id 0
		.amdhsa_next_free_vgpr 51
		.amdhsa_next_free_sgpr 26
		.amdhsa_accum_offset 52
		.amdhsa_reserve_vcc 1
		.amdhsa_reserve_flat_scratch 0
		.amdhsa_float_round_mode_32 0
		.amdhsa_float_round_mode_16_64 0
		.amdhsa_float_denorm_mode_32 3
		.amdhsa_float_denorm_mode_16_64 3
		.amdhsa_dx10_clamp 1
		.amdhsa_ieee_mode 1
		.amdhsa_fp16_overflow 0
		.amdhsa_tg_split 0
		.amdhsa_exception_fp_ieee_invalid_op 0
		.amdhsa_exception_fp_denorm_src 0
		.amdhsa_exception_fp_ieee_div_zero 0
		.amdhsa_exception_fp_ieee_overflow 0
		.amdhsa_exception_fp_ieee_underflow 0
		.amdhsa_exception_fp_ieee_inexact 0
		.amdhsa_exception_int_div_zero 0
	.end_amdhsa_kernel
	.section	.text._ZL26flash_attn_combine_resultsILi256EEvPKfPK15HIP_vector_typeIfLj2EEPfi,"axG",@progbits,_ZL26flash_attn_combine_resultsILi256EEvPKfPK15HIP_vector_typeIfLj2EEPfi,comdat
.Lfunc_end33:
	.size	_ZL26flash_attn_combine_resultsILi256EEvPKfPK15HIP_vector_typeIfLj2EEPfi, .Lfunc_end33-_ZL26flash_attn_combine_resultsILi256EEvPKfPK15HIP_vector_typeIfLj2EEPfi
                                        ; -- End function
	.section	.AMDGPU.csdata,"",@progbits
; Kernel info:
; codeLenInByte = 3048
; NumSgprs: 30
; NumVgprs: 51
; NumAgprs: 0
; TotalNumVgprs: 51
; ScratchSize: 0
; MemoryBound: 0
; FloatMode: 240
; IeeeMode: 1
; LDSByteSize: 0 bytes/workgroup (compile time only)
; SGPRBlocks: 3
; VGPRBlocks: 6
; NumSGPRsForWavesPerEU: 30
; NumVGPRsForWavesPerEU: 51
; AccumOffset: 52
; Occupancy: 8
; WaveLimiterHint : 0
; COMPUTE_PGM_RSRC2:SCRATCH_EN: 0
; COMPUTE_PGM_RSRC2:USER_SGPR: 6
; COMPUTE_PGM_RSRC2:TRAP_HANDLER: 0
; COMPUTE_PGM_RSRC2:TGID_X_EN: 1
; COMPUTE_PGM_RSRC2:TGID_Y_EN: 1
; COMPUTE_PGM_RSRC2:TGID_Z_EN: 1
; COMPUTE_PGM_RSRC2:TIDIG_COMP_CNT: 0
; COMPUTE_PGM_RSRC3_GFX90A:ACCUM_OFFSET: 12
; COMPUTE_PGM_RSRC3_GFX90A:TG_SPLIT: 0
	.text
	.p2alignl 6, 3212836864
	.fill 256, 4, 3212836864
	.type	.str.1,@object                  ; @.str.1
	.section	.rodata.str1.1,"aMS",@progbits,1
.str.1:
	.asciz	"/root/src/amdgpu-assembly/repos/ggml-org__llama.cpp/ggml/src/ggml-cuda/template-instances/../fattn-mma-f16.cuh"
	.size	.str.1, 111

	.type	__FUNCTION__._ZL18flash_attn_ext_f16ILi64ELi64ELi64ELi1ELb1ELb0EEvPKcS1_S1_S1_S1_PKiPfP15HIP_vector_typeIfLj2EEffffjfiS5_IjLj3EEiiiiiiiiiiiliiliiiiil,@object ; @__FUNCTION__._ZL18flash_attn_ext_f16ILi64ELi64ELi64ELi1ELb1ELb0EEvPKcS1_S1_S1_S1_PKiPfP15HIP_vector_typeIfLj2EEffffjfiS5_IjLj3EEiiiiiiiiiiiliiliiiiil
__FUNCTION__._ZL18flash_attn_ext_f16ILi64ELi64ELi64ELi1ELb1ELb0EEvPKcS1_S1_S1_S1_PKiPfP15HIP_vector_typeIfLj2EEffffjfiS5_IjLj3EEiiiiiiiiiiiliiliiiiil:
	.asciz	"flash_attn_ext_f16"
	.size	__FUNCTION__._ZL18flash_attn_ext_f16ILi64ELi64ELi64ELi1ELb1ELb0EEvPKcS1_S1_S1_S1_PKiPfP15HIP_vector_typeIfLj2EEffffjfiS5_IjLj3EEiiiiiiiiiiiliiliiiiil, 19

	.type	.str.3,@object                  ; @.str.3
.str.3:
	.asciz	"%s:%d: ERROR: HIP kernel %s has no device code compatible with HIP arch %d.\n"
	.size	.str.3, 77

	.type	__hip_cuid_1d0cb65ddfa7cdbf,@object ; @__hip_cuid_1d0cb65ddfa7cdbf
	.section	.bss,"aw",@nobits
	.globl	__hip_cuid_1d0cb65ddfa7cdbf
__hip_cuid_1d0cb65ddfa7cdbf:
	.byte	0                               ; 0x0
	.size	__hip_cuid_1d0cb65ddfa7cdbf, 1

	.ident	"AMD clang version 19.0.0git (https://github.com/RadeonOpenCompute/llvm-project roc-6.4.0 25133 c7fe45cf4b819c5991fe208aaa96edf142730f1d)"
	.section	".note.GNU-stack","",@progbits
	.addrsig
	.addrsig_sym __hip_cuid_1d0cb65ddfa7cdbf
	.amdgpu_metadata
---
amdhsa.kernels:
  - .agpr_count:     0
    .args:
      - .address_space:  global
        .offset:         0
        .size:           8
        .value_kind:     global_buffer
      - .address_space:  global
        .offset:         8
        .size:           8
        .value_kind:     global_buffer
      - .address_space:  global
        .offset:         16
        .size:           8
        .value_kind:     global_buffer
      - .address_space:  global
        .offset:         24
        .size:           8
        .value_kind:     global_buffer
      - .address_space:  global
        .offset:         32
        .size:           8
        .value_kind:     global_buffer
      - .address_space:  global
        .offset:         40
        .size:           8
        .value_kind:     global_buffer
      - .address_space:  global
        .offset:         48
        .size:           8
        .value_kind:     global_buffer
      - .address_space:  global
        .offset:         56
        .size:           8
        .value_kind:     global_buffer
      - .offset:         64
        .size:           4
        .value_kind:     by_value
      - .offset:         68
        .size:           4
        .value_kind:     by_value
      - .offset:         72
        .size:           4
        .value_kind:     by_value
      - .offset:         76
        .size:           4
        .value_kind:     by_value
      - .offset:         80
        .size:           4
        .value_kind:     by_value
      - .offset:         84
        .size:           4
        .value_kind:     by_value
      - .offset:         88
        .size:           4
        .value_kind:     by_value
      - .offset:         92
        .size:           12
        .value_kind:     by_value
      - .offset:         104
        .size:           4
        .value_kind:     by_value
      - .offset:         108
        .size:           4
        .value_kind:     by_value
      - .offset:         112
        .size:           4
        .value_kind:     by_value
      - .offset:         116
        .size:           4
        .value_kind:     by_value
      - .offset:         120
        .size:           4
        .value_kind:     by_value
      - .offset:         124
        .size:           4
        .value_kind:     by_value
      - .offset:         128
        .size:           4
        .value_kind:     by_value
      - .offset:         132
        .size:           4
        .value_kind:     by_value
      - .offset:         136
        .size:           4
        .value_kind:     by_value
      - .offset:         140
        .size:           4
        .value_kind:     by_value
      - .offset:         144
        .size:           4
        .value_kind:     by_value
      - .offset:         152
        .size:           8
        .value_kind:     by_value
      - .offset:         160
        .size:           4
        .value_kind:     by_value
      - .offset:         164
        .size:           4
        .value_kind:     by_value
      - .offset:         168
        .size:           8
        .value_kind:     by_value
      - .offset:         176
        .size:           4
        .value_kind:     by_value
      - .offset:         180
        .size:           4
        .value_kind:     by_value
      - .offset:         184
        .size:           4
        .value_kind:     by_value
      - .offset:         188
        .size:           4
        .value_kind:     by_value
      - .offset:         192
        .size:           4
        .value_kind:     by_value
      - .offset:         200
        .size:           8
        .value_kind:     by_value
      - .offset:         208
        .size:           4
        .value_kind:     hidden_block_count_x
      - .offset:         212
        .size:           4
        .value_kind:     hidden_block_count_y
      - .offset:         216
        .size:           4
        .value_kind:     hidden_block_count_z
      - .offset:         220
        .size:           2
        .value_kind:     hidden_group_size_x
      - .offset:         222
        .size:           2
        .value_kind:     hidden_group_size_y
      - .offset:         224
        .size:           2
        .value_kind:     hidden_group_size_z
      - .offset:         226
        .size:           2
        .value_kind:     hidden_remainder_x
      - .offset:         228
        .size:           2
        .value_kind:     hidden_remainder_y
      - .offset:         230
        .size:           2
        .value_kind:     hidden_remainder_z
      - .offset:         248
        .size:           8
        .value_kind:     hidden_global_offset_x
      - .offset:         256
        .size:           8
        .value_kind:     hidden_global_offset_y
      - .offset:         264
        .size:           8
        .value_kind:     hidden_global_offset_z
      - .offset:         272
        .size:           2
        .value_kind:     hidden_grid_dims
      - .offset:         328
        .size:           4
        .value_kind:     hidden_dynamic_lds_size
    .group_segment_fixed_size: 0
    .kernarg_segment_align: 8
    .kernarg_segment_size: 464
    .language:       OpenCL C
    .language_version:
      - 2
      - 0
    .max_flat_workgroup_size: 256
    .name:           _ZL18flash_attn_ext_f16ILi64ELi64ELi64ELi1ELb0ELb0EEvPKcS1_S1_S1_S1_PKiPfP15HIP_vector_typeIfLj2EEffffjfiS5_IjLj3EEiiiiiiiiiiiliiliiiiil
    .private_segment_fixed_size: 352
    .sgpr_count:     106
    .sgpr_spill_count: 130
    .symbol:         _ZL18flash_attn_ext_f16ILi64ELi64ELi64ELi1ELb0ELb0EEvPKcS1_S1_S1_S1_PKiPfP15HIP_vector_typeIfLj2EEffffjfiS5_IjLj3EEiiiiiiiiiiiliiliiiiil.kd
    .uniform_work_group_size: 1
    .uses_dynamic_stack: false
    .vgpr_count:     128
    .vgpr_spill_count: 103
    .wavefront_size: 64
  - .agpr_count:     0
    .args:
      - .address_space:  global
        .offset:         0
        .size:           8
        .value_kind:     global_buffer
      - .address_space:  global
        .offset:         8
        .size:           8
        .value_kind:     global_buffer
      - .address_space:  global
        .offset:         16
        .size:           8
        .value_kind:     global_buffer
      - .address_space:  global
        .offset:         24
        .size:           8
        .value_kind:     global_buffer
      - .address_space:  global
        .offset:         32
        .size:           8
        .value_kind:     global_buffer
      - .address_space:  global
        .offset:         40
        .size:           8
        .value_kind:     global_buffer
      - .address_space:  global
        .offset:         48
        .size:           8
        .value_kind:     global_buffer
      - .address_space:  global
        .offset:         56
        .size:           8
        .value_kind:     global_buffer
      - .offset:         64
        .size:           4
        .value_kind:     by_value
      - .offset:         68
        .size:           4
        .value_kind:     by_value
      - .offset:         72
        .size:           4
        .value_kind:     by_value
      - .offset:         76
        .size:           4
        .value_kind:     by_value
      - .offset:         80
        .size:           4
        .value_kind:     by_value
      - .offset:         84
        .size:           4
        .value_kind:     by_value
      - .offset:         88
        .size:           4
        .value_kind:     by_value
      - .offset:         92
        .size:           12
        .value_kind:     by_value
      - .offset:         104
        .size:           4
        .value_kind:     by_value
      - .offset:         108
        .size:           4
        .value_kind:     by_value
      - .offset:         112
        .size:           4
        .value_kind:     by_value
      - .offset:         116
        .size:           4
        .value_kind:     by_value
      - .offset:         120
        .size:           4
        .value_kind:     by_value
      - .offset:         124
        .size:           4
        .value_kind:     by_value
      - .offset:         128
        .size:           4
        .value_kind:     by_value
      - .offset:         132
        .size:           4
        .value_kind:     by_value
      - .offset:         136
        .size:           4
        .value_kind:     by_value
      - .offset:         140
        .size:           4
        .value_kind:     by_value
      - .offset:         144
        .size:           4
        .value_kind:     by_value
      - .offset:         152
        .size:           8
        .value_kind:     by_value
      - .offset:         160
        .size:           4
        .value_kind:     by_value
      - .offset:         164
        .size:           4
        .value_kind:     by_value
      - .offset:         168
        .size:           8
        .value_kind:     by_value
      - .offset:         176
        .size:           4
        .value_kind:     by_value
      - .offset:         180
        .size:           4
        .value_kind:     by_value
      - .offset:         184
        .size:           4
        .value_kind:     by_value
      - .offset:         188
        .size:           4
        .value_kind:     by_value
      - .offset:         192
        .size:           4
        .value_kind:     by_value
      - .offset:         200
        .size:           8
        .value_kind:     by_value
      - .offset:         208
        .size:           4
        .value_kind:     hidden_block_count_x
      - .offset:         212
        .size:           4
        .value_kind:     hidden_block_count_y
      - .offset:         216
        .size:           4
        .value_kind:     hidden_block_count_z
      - .offset:         220
        .size:           2
        .value_kind:     hidden_group_size_x
      - .offset:         222
        .size:           2
        .value_kind:     hidden_group_size_y
      - .offset:         224
        .size:           2
        .value_kind:     hidden_group_size_z
      - .offset:         226
        .size:           2
        .value_kind:     hidden_remainder_x
      - .offset:         228
        .size:           2
        .value_kind:     hidden_remainder_y
      - .offset:         230
        .size:           2
        .value_kind:     hidden_remainder_z
      - .offset:         248
        .size:           8
        .value_kind:     hidden_global_offset_x
      - .offset:         256
        .size:           8
        .value_kind:     hidden_global_offset_y
      - .offset:         264
        .size:           8
        .value_kind:     hidden_global_offset_z
      - .offset:         272
        .size:           2
        .value_kind:     hidden_grid_dims
      - .offset:         288
        .size:           8
        .value_kind:     hidden_hostcall_buffer
    .group_segment_fixed_size: 0
    .kernarg_segment_align: 8
    .kernarg_segment_size: 464
    .language:       OpenCL C
    .language_version:
      - 2
      - 0
    .max_flat_workgroup_size: 256
    .name:           _ZL18flash_attn_ext_f16ILi64ELi64ELi64ELi1ELb1ELb0EEvPKcS1_S1_S1_S1_PKiPfP15HIP_vector_typeIfLj2EEffffjfiS5_IjLj3EEiiiiiiiiiiiliiliiiiil
    .private_segment_fixed_size: 16
    .sgpr_count:     40
    .sgpr_spill_count: 0
    .symbol:         _ZL18flash_attn_ext_f16ILi64ELi64ELi64ELi1ELb1ELb0EEvPKcS1_S1_S1_S1_PKiPfP15HIP_vector_typeIfLj2EEffffjfiS5_IjLj3EEiiiiiiiiiiiliiliiiiil.kd
    .uniform_work_group_size: 1
    .uses_dynamic_stack: false
    .vgpr_count:     39
    .vgpr_spill_count: 0
    .wavefront_size: 64
  - .agpr_count:     0
    .args:
      - .actual_access:  read_only
        .address_space:  global
        .offset:         0
        .size:           8
        .value_kind:     global_buffer
      - .actual_access:  write_only
        .address_space:  global
        .offset:         8
        .size:           8
        .value_kind:     global_buffer
      - .offset:         16
        .size:           4
        .value_kind:     by_value
      - .offset:         20
        .size:           4
        .value_kind:     by_value
      - .offset:         24
        .size:           4
        .value_kind:     by_value
      - .offset:         32
        .size:           4
        .value_kind:     hidden_block_count_x
      - .offset:         36
        .size:           4
        .value_kind:     hidden_block_count_y
      - .offset:         40
        .size:           4
        .value_kind:     hidden_block_count_z
      - .offset:         44
        .size:           2
        .value_kind:     hidden_group_size_x
      - .offset:         46
        .size:           2
        .value_kind:     hidden_group_size_y
      - .offset:         48
        .size:           2
        .value_kind:     hidden_group_size_z
      - .offset:         50
        .size:           2
        .value_kind:     hidden_remainder_x
      - .offset:         52
        .size:           2
        .value_kind:     hidden_remainder_y
      - .offset:         54
        .size:           2
        .value_kind:     hidden_remainder_z
      - .offset:         72
        .size:           8
        .value_kind:     hidden_global_offset_x
      - .offset:         80
        .size:           8
        .value_kind:     hidden_global_offset_y
      - .offset:         88
        .size:           8
        .value_kind:     hidden_global_offset_z
      - .offset:         96
        .size:           2
        .value_kind:     hidden_grid_dims
    .group_segment_fixed_size: 128
    .kernarg_segment_align: 8
    .kernarg_segment_size: 288
    .language:       OpenCL C
    .language_version:
      - 2
      - 0
    .max_flat_workgroup_size: 128
    .name:           _ZL25flash_attn_mask_to_KV_maxILi64EEvPK7__half2Piiii
    .private_segment_fixed_size: 0
    .sgpr_count:     100
    .sgpr_spill_count: 176
    .symbol:         _ZL25flash_attn_mask_to_KV_maxILi64EEvPK7__half2Piiii.kd
    .uniform_work_group_size: 1
    .uses_dynamic_stack: false
    .vgpr_count:     15
    .vgpr_spill_count: 0
    .wavefront_size: 64
  - .agpr_count:     0
    .args:
      - .address_space:  global
        .offset:         0
        .size:           8
        .value_kind:     global_buffer
      - .address_space:  global
        .offset:         8
        .size:           8
        .value_kind:     global_buffer
      - .offset:         16
        .size:           4
        .value_kind:     by_value
      - .offset:         20
        .size:           4
        .value_kind:     by_value
      - .offset:         24
        .size:           4
        .value_kind:     by_value
      - .offset:         28
        .size:           4
        .value_kind:     by_value
      - .offset:         32
        .size:           4
        .value_kind:     by_value
      - .offset:         36
        .size:           4
        .value_kind:     by_value
      - .offset:         40
        .size:           12
        .value_kind:     by_value
      - .offset:         52
        .size:           12
        .value_kind:     by_value
      - .offset:         64
        .size:           12
        .value_kind:     by_value
    .group_segment_fixed_size: 0
    .kernarg_segment_align: 8
    .kernarg_segment_size: 76
    .language:       OpenCL C
    .language_version:
      - 2
      - 0
    .max_flat_workgroup_size: 64
    .name:           _ZL33flash_attn_stream_k_fixup_uniformILi64ELi64ELi1EEvPfPK15HIP_vector_typeIfLj2EEiiiiiiS1_IjLj3EES5_S5_
    .private_segment_fixed_size: 0
    .sgpr_count:     24
    .sgpr_spill_count: 0
    .symbol:         _ZL33flash_attn_stream_k_fixup_uniformILi64ELi64ELi1EEvPfPK15HIP_vector_typeIfLj2EEiiiiiiS1_IjLj3EES5_S5_.kd
    .uniform_work_group_size: 1
    .uses_dynamic_stack: false
    .vgpr_count:     17
    .vgpr_spill_count: 0
    .wavefront_size: 64
  - .agpr_count:     0
    .args:
      - .address_space:  global
        .offset:         0
        .size:           8
        .value_kind:     global_buffer
      - .address_space:  global
        .offset:         8
        .size:           8
        .value_kind:     global_buffer
      - .offset:         16
        .size:           4
        .value_kind:     by_value
      - .offset:         20
        .size:           4
        .value_kind:     by_value
      - .offset:         24
        .size:           4
        .value_kind:     by_value
      - .offset:         28
        .size:           4
        .value_kind:     by_value
      - .offset:         32
        .size:           12
        .value_kind:     by_value
      - .offset:         44
        .size:           12
        .value_kind:     by_value
      - .offset:         56
        .size:           12
        .value_kind:     by_value
      - .offset:         68
        .size:           12
        .value_kind:     by_value
      - .offset:         80
        .size:           4
        .value_kind:     hidden_block_count_x
      - .offset:         84
        .size:           4
        .value_kind:     hidden_block_count_y
      - .offset:         88
        .size:           4
        .value_kind:     hidden_block_count_z
      - .offset:         92
        .size:           2
        .value_kind:     hidden_group_size_x
      - .offset:         94
        .size:           2
        .value_kind:     hidden_group_size_y
      - .offset:         96
        .size:           2
        .value_kind:     hidden_group_size_z
      - .offset:         98
        .size:           2
        .value_kind:     hidden_remainder_x
      - .offset:         100
        .size:           2
        .value_kind:     hidden_remainder_y
      - .offset:         102
        .size:           2
        .value_kind:     hidden_remainder_z
      - .offset:         120
        .size:           8
        .value_kind:     hidden_global_offset_x
      - .offset:         128
        .size:           8
        .value_kind:     hidden_global_offset_y
      - .offset:         136
        .size:           8
        .value_kind:     hidden_global_offset_z
      - .offset:         144
        .size:           2
        .value_kind:     hidden_grid_dims
    .group_segment_fixed_size: 0
    .kernarg_segment_align: 8
    .kernarg_segment_size: 336
    .language:       OpenCL C
    .language_version:
      - 2
      - 0
    .max_flat_workgroup_size: 64
    .name:           _ZL33flash_attn_stream_k_fixup_generalILi64ELi64ELi1EEvPfPK15HIP_vector_typeIfLj2EEiiiiS1_IjLj3EES5_S5_S5_
    .private_segment_fixed_size: 0
    .sgpr_count:     36
    .sgpr_spill_count: 0
    .symbol:         _ZL33flash_attn_stream_k_fixup_generalILi64ELi64ELi1EEvPfPK15HIP_vector_typeIfLj2EEiiiiS1_IjLj3EES5_S5_S5_.kd
    .uniform_work_group_size: 1
    .uses_dynamic_stack: false
    .vgpr_count:     22
    .vgpr_spill_count: 0
    .wavefront_size: 64
  - .agpr_count:     0
    .args:
      - .address_space:  global
        .offset:         0
        .size:           8
        .value_kind:     global_buffer
      - .address_space:  global
        .offset:         8
        .size:           8
        .value_kind:     global_buffer
      - .address_space:  global
        .offset:         16
        .size:           8
        .value_kind:     global_buffer
      - .offset:         24
        .size:           4
        .value_kind:     by_value
      - .offset:         32
        .size:           4
        .value_kind:     hidden_block_count_x
      - .offset:         36
        .size:           4
        .value_kind:     hidden_block_count_y
      - .offset:         40
        .size:           4
        .value_kind:     hidden_block_count_z
      - .offset:         44
        .size:           2
        .value_kind:     hidden_group_size_x
      - .offset:         46
        .size:           2
        .value_kind:     hidden_group_size_y
      - .offset:         48
        .size:           2
        .value_kind:     hidden_group_size_z
      - .offset:         50
        .size:           2
        .value_kind:     hidden_remainder_x
      - .offset:         52
        .size:           2
        .value_kind:     hidden_remainder_y
      - .offset:         54
        .size:           2
        .value_kind:     hidden_remainder_z
      - .offset:         72
        .size:           8
        .value_kind:     hidden_global_offset_x
      - .offset:         80
        .size:           8
        .value_kind:     hidden_global_offset_y
      - .offset:         88
        .size:           8
        .value_kind:     hidden_global_offset_z
      - .offset:         96
        .size:           2
        .value_kind:     hidden_grid_dims
      - .offset:         152
        .size:           4
        .value_kind:     hidden_dynamic_lds_size
    .group_segment_fixed_size: 0
    .kernarg_segment_align: 8
    .kernarg_segment_size: 288
    .language:       OpenCL C
    .language_version:
      - 2
      - 0
    .max_flat_workgroup_size: 64
    .name:           _ZL26flash_attn_combine_resultsILi64EEvPKfPK15HIP_vector_typeIfLj2EEPfi
    .private_segment_fixed_size: 0
    .sgpr_count:     30
    .sgpr_spill_count: 0
    .symbol:         _ZL26flash_attn_combine_resultsILi64EEvPKfPK15HIP_vector_typeIfLj2EEPfi.kd
    .uniform_work_group_size: 1
    .uses_dynamic_stack: false
    .vgpr_count:     51
    .vgpr_spill_count: 0
    .wavefront_size: 64
  - .agpr_count:     0
    .args:
      - .address_space:  global
        .offset:         0
        .size:           8
        .value_kind:     global_buffer
      - .address_space:  global
        .offset:         8
        .size:           8
        .value_kind:     global_buffer
      - .address_space:  global
        .offset:         16
        .size:           8
        .value_kind:     global_buffer
      - .address_space:  global
        .offset:         24
        .size:           8
        .value_kind:     global_buffer
      - .address_space:  global
        .offset:         32
        .size:           8
        .value_kind:     global_buffer
      - .address_space:  global
        .offset:         40
        .size:           8
        .value_kind:     global_buffer
      - .address_space:  global
        .offset:         48
        .size:           8
        .value_kind:     global_buffer
      - .address_space:  global
        .offset:         56
        .size:           8
        .value_kind:     global_buffer
      - .offset:         64
        .size:           4
        .value_kind:     by_value
      - .offset:         68
        .size:           4
        .value_kind:     by_value
      - .offset:         72
        .size:           4
        .value_kind:     by_value
      - .offset:         76
        .size:           4
        .value_kind:     by_value
      - .offset:         80
        .size:           4
        .value_kind:     by_value
      - .offset:         84
        .size:           4
        .value_kind:     by_value
      - .offset:         88
        .size:           4
        .value_kind:     by_value
      - .offset:         92
        .size:           12
        .value_kind:     by_value
      - .offset:         104
        .size:           4
        .value_kind:     by_value
      - .offset:         108
        .size:           4
        .value_kind:     by_value
      - .offset:         112
        .size:           4
        .value_kind:     by_value
      - .offset:         116
        .size:           4
        .value_kind:     by_value
      - .offset:         120
        .size:           4
        .value_kind:     by_value
      - .offset:         124
        .size:           4
        .value_kind:     by_value
      - .offset:         128
        .size:           4
        .value_kind:     by_value
      - .offset:         132
        .size:           4
        .value_kind:     by_value
      - .offset:         136
        .size:           4
        .value_kind:     by_value
      - .offset:         140
        .size:           4
        .value_kind:     by_value
      - .offset:         144
        .size:           4
        .value_kind:     by_value
      - .offset:         152
        .size:           8
        .value_kind:     by_value
      - .offset:         160
        .size:           4
        .value_kind:     by_value
      - .offset:         164
        .size:           4
        .value_kind:     by_value
      - .offset:         168
        .size:           8
        .value_kind:     by_value
      - .offset:         176
        .size:           4
        .value_kind:     by_value
      - .offset:         180
        .size:           4
        .value_kind:     by_value
      - .offset:         184
        .size:           4
        .value_kind:     by_value
      - .offset:         188
        .size:           4
        .value_kind:     by_value
      - .offset:         192
        .size:           4
        .value_kind:     by_value
      - .offset:         200
        .size:           8
        .value_kind:     by_value
      - .offset:         208
        .size:           4
        .value_kind:     hidden_block_count_x
      - .offset:         212
        .size:           4
        .value_kind:     hidden_block_count_y
      - .offset:         216
        .size:           4
        .value_kind:     hidden_block_count_z
      - .offset:         220
        .size:           2
        .value_kind:     hidden_group_size_x
      - .offset:         222
        .size:           2
        .value_kind:     hidden_group_size_y
      - .offset:         224
        .size:           2
        .value_kind:     hidden_group_size_z
      - .offset:         226
        .size:           2
        .value_kind:     hidden_remainder_x
      - .offset:         228
        .size:           2
        .value_kind:     hidden_remainder_y
      - .offset:         230
        .size:           2
        .value_kind:     hidden_remainder_z
      - .offset:         248
        .size:           8
        .value_kind:     hidden_global_offset_x
      - .offset:         256
        .size:           8
        .value_kind:     hidden_global_offset_y
      - .offset:         264
        .size:           8
        .value_kind:     hidden_global_offset_z
      - .offset:         272
        .size:           2
        .value_kind:     hidden_grid_dims
      - .offset:         328
        .size:           4
        .value_kind:     hidden_dynamic_lds_size
    .group_segment_fixed_size: 0
    .kernarg_segment_align: 8
    .kernarg_segment_size: 464
    .language:       OpenCL C
    .language_version:
      - 2
      - 0
    .max_flat_workgroup_size: 256
    .name:           _ZL18flash_attn_ext_f16ILi80ELi80ELi64ELi1ELb0ELb0EEvPKcS1_S1_S1_S1_PKiPfP15HIP_vector_typeIfLj2EEffffjfiS5_IjLj3EEiiiiiiiiiiiliiliiiiil
    .private_segment_fixed_size: 32
    .sgpr_count:     106
    .sgpr_spill_count: 157
    .symbol:         _ZL18flash_attn_ext_f16ILi80ELi80ELi64ELi1ELb0ELb0EEvPKcS1_S1_S1_S1_PKiPfP15HIP_vector_typeIfLj2EEffffjfiS5_IjLj3EEiiiiiiiiiiiliiliiiiil.kd
    .uniform_work_group_size: 1
    .uses_dynamic_stack: false
    .vgpr_count:     256
    .vgpr_spill_count: 3
    .wavefront_size: 64
  - .agpr_count:     0
    .args:
      - .address_space:  global
        .offset:         0
        .size:           8
        .value_kind:     global_buffer
      - .address_space:  global
        .offset:         8
        .size:           8
        .value_kind:     global_buffer
      - .address_space:  global
        .offset:         16
        .size:           8
        .value_kind:     global_buffer
      - .address_space:  global
        .offset:         24
        .size:           8
        .value_kind:     global_buffer
      - .address_space:  global
        .offset:         32
        .size:           8
        .value_kind:     global_buffer
      - .address_space:  global
        .offset:         40
        .size:           8
        .value_kind:     global_buffer
      - .address_space:  global
        .offset:         48
        .size:           8
        .value_kind:     global_buffer
      - .address_space:  global
        .offset:         56
        .size:           8
        .value_kind:     global_buffer
      - .offset:         64
        .size:           4
        .value_kind:     by_value
      - .offset:         68
        .size:           4
        .value_kind:     by_value
      - .offset:         72
        .size:           4
        .value_kind:     by_value
      - .offset:         76
        .size:           4
        .value_kind:     by_value
      - .offset:         80
        .size:           4
        .value_kind:     by_value
      - .offset:         84
        .size:           4
        .value_kind:     by_value
      - .offset:         88
        .size:           4
        .value_kind:     by_value
      - .offset:         92
        .size:           12
        .value_kind:     by_value
      - .offset:         104
        .size:           4
        .value_kind:     by_value
      - .offset:         108
        .size:           4
        .value_kind:     by_value
      - .offset:         112
        .size:           4
        .value_kind:     by_value
      - .offset:         116
        .size:           4
        .value_kind:     by_value
      - .offset:         120
        .size:           4
        .value_kind:     by_value
      - .offset:         124
        .size:           4
        .value_kind:     by_value
      - .offset:         128
        .size:           4
        .value_kind:     by_value
      - .offset:         132
        .size:           4
        .value_kind:     by_value
      - .offset:         136
        .size:           4
        .value_kind:     by_value
      - .offset:         140
        .size:           4
        .value_kind:     by_value
      - .offset:         144
        .size:           4
        .value_kind:     by_value
      - .offset:         152
        .size:           8
        .value_kind:     by_value
      - .offset:         160
        .size:           4
        .value_kind:     by_value
      - .offset:         164
        .size:           4
        .value_kind:     by_value
      - .offset:         168
        .size:           8
        .value_kind:     by_value
      - .offset:         176
        .size:           4
        .value_kind:     by_value
      - .offset:         180
        .size:           4
        .value_kind:     by_value
      - .offset:         184
        .size:           4
        .value_kind:     by_value
      - .offset:         188
        .size:           4
        .value_kind:     by_value
      - .offset:         192
        .size:           4
        .value_kind:     by_value
      - .offset:         200
        .size:           8
        .value_kind:     by_value
      - .offset:         208
        .size:           4
        .value_kind:     hidden_block_count_x
      - .offset:         212
        .size:           4
        .value_kind:     hidden_block_count_y
      - .offset:         216
        .size:           4
        .value_kind:     hidden_block_count_z
      - .offset:         220
        .size:           2
        .value_kind:     hidden_group_size_x
      - .offset:         222
        .size:           2
        .value_kind:     hidden_group_size_y
      - .offset:         224
        .size:           2
        .value_kind:     hidden_group_size_z
      - .offset:         226
        .size:           2
        .value_kind:     hidden_remainder_x
      - .offset:         228
        .size:           2
        .value_kind:     hidden_remainder_y
      - .offset:         230
        .size:           2
        .value_kind:     hidden_remainder_z
      - .offset:         248
        .size:           8
        .value_kind:     hidden_global_offset_x
      - .offset:         256
        .size:           8
        .value_kind:     hidden_global_offset_y
      - .offset:         264
        .size:           8
        .value_kind:     hidden_global_offset_z
      - .offset:         272
        .size:           2
        .value_kind:     hidden_grid_dims
      - .offset:         288
        .size:           8
        .value_kind:     hidden_hostcall_buffer
    .group_segment_fixed_size: 0
    .kernarg_segment_align: 8
    .kernarg_segment_size: 464
    .language:       OpenCL C
    .language_version:
      - 2
      - 0
    .max_flat_workgroup_size: 256
    .name:           _ZL18flash_attn_ext_f16ILi80ELi80ELi64ELi1ELb1ELb0EEvPKcS1_S1_S1_S1_PKiPfP15HIP_vector_typeIfLj2EEffffjfiS5_IjLj3EEiiiiiiiiiiiliiliiiiil
    .private_segment_fixed_size: 16
    .sgpr_count:     40
    .sgpr_spill_count: 0
    .symbol:         _ZL18flash_attn_ext_f16ILi80ELi80ELi64ELi1ELb1ELb0EEvPKcS1_S1_S1_S1_PKiPfP15HIP_vector_typeIfLj2EEffffjfiS5_IjLj3EEiiiiiiiiiiiliiliiiiil.kd
    .uniform_work_group_size: 1
    .uses_dynamic_stack: false
    .vgpr_count:     39
    .vgpr_spill_count: 0
    .wavefront_size: 64
  - .agpr_count:     0
    .args:
      - .address_space:  global
        .offset:         0
        .size:           8
        .value_kind:     global_buffer
      - .address_space:  global
        .offset:         8
        .size:           8
        .value_kind:     global_buffer
      - .offset:         16
        .size:           4
        .value_kind:     by_value
      - .offset:         20
        .size:           4
        .value_kind:     by_value
      - .offset:         24
        .size:           4
        .value_kind:     by_value
      - .offset:         28
        .size:           4
        .value_kind:     by_value
      - .offset:         32
        .size:           4
        .value_kind:     by_value
      - .offset:         36
        .size:           4
        .value_kind:     by_value
      - .offset:         40
        .size:           12
        .value_kind:     by_value
      - .offset:         52
        .size:           12
        .value_kind:     by_value
      - .offset:         64
        .size:           12
        .value_kind:     by_value
    .group_segment_fixed_size: 0
    .kernarg_segment_align: 8
    .kernarg_segment_size: 76
    .language:       OpenCL C
    .language_version:
      - 2
      - 0
    .max_flat_workgroup_size: 80
    .name:           _ZL33flash_attn_stream_k_fixup_uniformILi80ELi64ELi1EEvPfPK15HIP_vector_typeIfLj2EEiiiiiiS1_IjLj3EES5_S5_
    .private_segment_fixed_size: 0
    .sgpr_count:     24
    .sgpr_spill_count: 0
    .symbol:         _ZL33flash_attn_stream_k_fixup_uniformILi80ELi64ELi1EEvPfPK15HIP_vector_typeIfLj2EEiiiiiiS1_IjLj3EES5_S5_.kd
    .uniform_work_group_size: 1
    .uses_dynamic_stack: false
    .vgpr_count:     17
    .vgpr_spill_count: 0
    .wavefront_size: 64
  - .agpr_count:     0
    .args:
      - .address_space:  global
        .offset:         0
        .size:           8
        .value_kind:     global_buffer
      - .address_space:  global
        .offset:         8
        .size:           8
        .value_kind:     global_buffer
      - .offset:         16
        .size:           4
        .value_kind:     by_value
      - .offset:         20
        .size:           4
        .value_kind:     by_value
      - .offset:         24
        .size:           4
        .value_kind:     by_value
      - .offset:         28
        .size:           4
        .value_kind:     by_value
      - .offset:         32
        .size:           12
        .value_kind:     by_value
      - .offset:         44
        .size:           12
        .value_kind:     by_value
      - .offset:         56
        .size:           12
        .value_kind:     by_value
      - .offset:         68
        .size:           12
        .value_kind:     by_value
      - .offset:         80
        .size:           4
        .value_kind:     hidden_block_count_x
      - .offset:         84
        .size:           4
        .value_kind:     hidden_block_count_y
      - .offset:         88
        .size:           4
        .value_kind:     hidden_block_count_z
      - .offset:         92
        .size:           2
        .value_kind:     hidden_group_size_x
      - .offset:         94
        .size:           2
        .value_kind:     hidden_group_size_y
      - .offset:         96
        .size:           2
        .value_kind:     hidden_group_size_z
      - .offset:         98
        .size:           2
        .value_kind:     hidden_remainder_x
      - .offset:         100
        .size:           2
        .value_kind:     hidden_remainder_y
      - .offset:         102
        .size:           2
        .value_kind:     hidden_remainder_z
      - .offset:         120
        .size:           8
        .value_kind:     hidden_global_offset_x
      - .offset:         128
        .size:           8
        .value_kind:     hidden_global_offset_y
      - .offset:         136
        .size:           8
        .value_kind:     hidden_global_offset_z
      - .offset:         144
        .size:           2
        .value_kind:     hidden_grid_dims
    .group_segment_fixed_size: 0
    .kernarg_segment_align: 8
    .kernarg_segment_size: 336
    .language:       OpenCL C
    .language_version:
      - 2
      - 0
    .max_flat_workgroup_size: 80
    .name:           _ZL33flash_attn_stream_k_fixup_generalILi80ELi64ELi1EEvPfPK15HIP_vector_typeIfLj2EEiiiiS1_IjLj3EES5_S5_S5_
    .private_segment_fixed_size: 0
    .sgpr_count:     36
    .sgpr_spill_count: 0
    .symbol:         _ZL33flash_attn_stream_k_fixup_generalILi80ELi64ELi1EEvPfPK15HIP_vector_typeIfLj2EEiiiiS1_IjLj3EES5_S5_S5_.kd
    .uniform_work_group_size: 1
    .uses_dynamic_stack: false
    .vgpr_count:     22
    .vgpr_spill_count: 0
    .wavefront_size: 64
  - .agpr_count:     0
    .args:
      - .address_space:  global
        .offset:         0
        .size:           8
        .value_kind:     global_buffer
      - .address_space:  global
        .offset:         8
        .size:           8
        .value_kind:     global_buffer
      - .address_space:  global
        .offset:         16
        .size:           8
        .value_kind:     global_buffer
      - .offset:         24
        .size:           4
        .value_kind:     by_value
      - .offset:         32
        .size:           4
        .value_kind:     hidden_block_count_x
      - .offset:         36
        .size:           4
        .value_kind:     hidden_block_count_y
      - .offset:         40
        .size:           4
        .value_kind:     hidden_block_count_z
      - .offset:         44
        .size:           2
        .value_kind:     hidden_group_size_x
      - .offset:         46
        .size:           2
        .value_kind:     hidden_group_size_y
      - .offset:         48
        .size:           2
        .value_kind:     hidden_group_size_z
      - .offset:         50
        .size:           2
        .value_kind:     hidden_remainder_x
      - .offset:         52
        .size:           2
        .value_kind:     hidden_remainder_y
      - .offset:         54
        .size:           2
        .value_kind:     hidden_remainder_z
      - .offset:         72
        .size:           8
        .value_kind:     hidden_global_offset_x
      - .offset:         80
        .size:           8
        .value_kind:     hidden_global_offset_y
      - .offset:         88
        .size:           8
        .value_kind:     hidden_global_offset_z
      - .offset:         96
        .size:           2
        .value_kind:     hidden_grid_dims
      - .offset:         152
        .size:           4
        .value_kind:     hidden_dynamic_lds_size
    .group_segment_fixed_size: 0
    .kernarg_segment_align: 8
    .kernarg_segment_size: 288
    .language:       OpenCL C
    .language_version:
      - 2
      - 0
    .max_flat_workgroup_size: 80
    .name:           _ZL26flash_attn_combine_resultsILi80EEvPKfPK15HIP_vector_typeIfLj2EEPfi
    .private_segment_fixed_size: 0
    .sgpr_count:     33
    .sgpr_spill_count: 0
    .symbol:         _ZL26flash_attn_combine_resultsILi80EEvPKfPK15HIP_vector_typeIfLj2EEPfi.kd
    .uniform_work_group_size: 1
    .uses_dynamic_stack: false
    .vgpr_count:     51
    .vgpr_spill_count: 0
    .wavefront_size: 64
  - .agpr_count:     0
    .args:
      - .address_space:  global
        .offset:         0
        .size:           8
        .value_kind:     global_buffer
      - .address_space:  global
        .offset:         8
        .size:           8
        .value_kind:     global_buffer
      - .address_space:  global
        .offset:         16
        .size:           8
        .value_kind:     global_buffer
      - .address_space:  global
        .offset:         24
        .size:           8
        .value_kind:     global_buffer
      - .address_space:  global
        .offset:         32
        .size:           8
        .value_kind:     global_buffer
      - .address_space:  global
        .offset:         40
        .size:           8
        .value_kind:     global_buffer
      - .address_space:  global
        .offset:         48
        .size:           8
        .value_kind:     global_buffer
      - .address_space:  global
        .offset:         56
        .size:           8
        .value_kind:     global_buffer
      - .offset:         64
        .size:           4
        .value_kind:     by_value
      - .offset:         68
        .size:           4
        .value_kind:     by_value
      - .offset:         72
        .size:           4
        .value_kind:     by_value
      - .offset:         76
        .size:           4
        .value_kind:     by_value
      - .offset:         80
        .size:           4
        .value_kind:     by_value
      - .offset:         84
        .size:           4
        .value_kind:     by_value
      - .offset:         88
        .size:           4
        .value_kind:     by_value
      - .offset:         92
        .size:           12
        .value_kind:     by_value
      - .offset:         104
        .size:           4
        .value_kind:     by_value
      - .offset:         108
        .size:           4
        .value_kind:     by_value
      - .offset:         112
        .size:           4
        .value_kind:     by_value
      - .offset:         116
        .size:           4
        .value_kind:     by_value
      - .offset:         120
        .size:           4
        .value_kind:     by_value
      - .offset:         124
        .size:           4
        .value_kind:     by_value
      - .offset:         128
        .size:           4
        .value_kind:     by_value
      - .offset:         132
        .size:           4
        .value_kind:     by_value
      - .offset:         136
        .size:           4
        .value_kind:     by_value
      - .offset:         140
        .size:           4
        .value_kind:     by_value
      - .offset:         144
        .size:           4
        .value_kind:     by_value
      - .offset:         152
        .size:           8
        .value_kind:     by_value
      - .offset:         160
        .size:           4
        .value_kind:     by_value
      - .offset:         164
        .size:           4
        .value_kind:     by_value
      - .offset:         168
        .size:           8
        .value_kind:     by_value
      - .offset:         176
        .size:           4
        .value_kind:     by_value
      - .offset:         180
        .size:           4
        .value_kind:     by_value
      - .offset:         184
        .size:           4
        .value_kind:     by_value
      - .offset:         188
        .size:           4
        .value_kind:     by_value
      - .offset:         192
        .size:           4
        .value_kind:     by_value
      - .offset:         200
        .size:           8
        .value_kind:     by_value
      - .offset:         208
        .size:           4
        .value_kind:     hidden_block_count_x
      - .offset:         212
        .size:           4
        .value_kind:     hidden_block_count_y
      - .offset:         216
        .size:           4
        .value_kind:     hidden_block_count_z
      - .offset:         220
        .size:           2
        .value_kind:     hidden_group_size_x
      - .offset:         222
        .size:           2
        .value_kind:     hidden_group_size_y
      - .offset:         224
        .size:           2
        .value_kind:     hidden_group_size_z
      - .offset:         226
        .size:           2
        .value_kind:     hidden_remainder_x
      - .offset:         228
        .size:           2
        .value_kind:     hidden_remainder_y
      - .offset:         230
        .size:           2
        .value_kind:     hidden_remainder_z
      - .offset:         248
        .size:           8
        .value_kind:     hidden_global_offset_x
      - .offset:         256
        .size:           8
        .value_kind:     hidden_global_offset_y
      - .offset:         264
        .size:           8
        .value_kind:     hidden_global_offset_z
      - .offset:         272
        .size:           2
        .value_kind:     hidden_grid_dims
      - .offset:         328
        .size:           4
        .value_kind:     hidden_dynamic_lds_size
    .group_segment_fixed_size: 0
    .kernarg_segment_align: 8
    .kernarg_segment_size: 464
    .language:       OpenCL C
    .language_version:
      - 2
      - 0
    .max_flat_workgroup_size: 256
    .name:           _ZL18flash_attn_ext_f16ILi96ELi96ELi64ELi1ELb0ELb0EEvPKcS1_S1_S1_S1_PKiPfP15HIP_vector_typeIfLj2EEffffjfiS5_IjLj3EEiiiiiiiiiiiliiliiiiil
    .private_segment_fixed_size: 112
    .sgpr_count:     106
    .sgpr_spill_count: 155
    .symbol:         _ZL18flash_attn_ext_f16ILi96ELi96ELi64ELi1ELb0ELb0EEvPKcS1_S1_S1_S1_PKiPfP15HIP_vector_typeIfLj2EEffffjfiS5_IjLj3EEiiiiiiiiiiiliiliiiiil.kd
    .uniform_work_group_size: 1
    .uses_dynamic_stack: false
    .vgpr_count:     256
    .vgpr_spill_count: 24
    .wavefront_size: 64
  - .agpr_count:     0
    .args:
      - .address_space:  global
        .offset:         0
        .size:           8
        .value_kind:     global_buffer
      - .address_space:  global
        .offset:         8
        .size:           8
        .value_kind:     global_buffer
      - .address_space:  global
        .offset:         16
        .size:           8
        .value_kind:     global_buffer
      - .address_space:  global
        .offset:         24
        .size:           8
        .value_kind:     global_buffer
      - .address_space:  global
        .offset:         32
        .size:           8
        .value_kind:     global_buffer
      - .address_space:  global
        .offset:         40
        .size:           8
        .value_kind:     global_buffer
      - .address_space:  global
        .offset:         48
        .size:           8
        .value_kind:     global_buffer
      - .address_space:  global
        .offset:         56
        .size:           8
        .value_kind:     global_buffer
      - .offset:         64
        .size:           4
        .value_kind:     by_value
      - .offset:         68
        .size:           4
        .value_kind:     by_value
      - .offset:         72
        .size:           4
        .value_kind:     by_value
      - .offset:         76
        .size:           4
        .value_kind:     by_value
      - .offset:         80
        .size:           4
        .value_kind:     by_value
      - .offset:         84
        .size:           4
        .value_kind:     by_value
      - .offset:         88
        .size:           4
        .value_kind:     by_value
      - .offset:         92
        .size:           12
        .value_kind:     by_value
      - .offset:         104
        .size:           4
        .value_kind:     by_value
      - .offset:         108
        .size:           4
        .value_kind:     by_value
      - .offset:         112
        .size:           4
        .value_kind:     by_value
      - .offset:         116
        .size:           4
        .value_kind:     by_value
      - .offset:         120
        .size:           4
        .value_kind:     by_value
      - .offset:         124
        .size:           4
        .value_kind:     by_value
      - .offset:         128
        .size:           4
        .value_kind:     by_value
      - .offset:         132
        .size:           4
        .value_kind:     by_value
      - .offset:         136
        .size:           4
        .value_kind:     by_value
      - .offset:         140
        .size:           4
        .value_kind:     by_value
      - .offset:         144
        .size:           4
        .value_kind:     by_value
      - .offset:         152
        .size:           8
        .value_kind:     by_value
      - .offset:         160
        .size:           4
        .value_kind:     by_value
      - .offset:         164
        .size:           4
        .value_kind:     by_value
      - .offset:         168
        .size:           8
        .value_kind:     by_value
      - .offset:         176
        .size:           4
        .value_kind:     by_value
      - .offset:         180
        .size:           4
        .value_kind:     by_value
      - .offset:         184
        .size:           4
        .value_kind:     by_value
      - .offset:         188
        .size:           4
        .value_kind:     by_value
      - .offset:         192
        .size:           4
        .value_kind:     by_value
      - .offset:         200
        .size:           8
        .value_kind:     by_value
      - .offset:         208
        .size:           4
        .value_kind:     hidden_block_count_x
      - .offset:         212
        .size:           4
        .value_kind:     hidden_block_count_y
      - .offset:         216
        .size:           4
        .value_kind:     hidden_block_count_z
      - .offset:         220
        .size:           2
        .value_kind:     hidden_group_size_x
      - .offset:         222
        .size:           2
        .value_kind:     hidden_group_size_y
      - .offset:         224
        .size:           2
        .value_kind:     hidden_group_size_z
      - .offset:         226
        .size:           2
        .value_kind:     hidden_remainder_x
      - .offset:         228
        .size:           2
        .value_kind:     hidden_remainder_y
      - .offset:         230
        .size:           2
        .value_kind:     hidden_remainder_z
      - .offset:         248
        .size:           8
        .value_kind:     hidden_global_offset_x
      - .offset:         256
        .size:           8
        .value_kind:     hidden_global_offset_y
      - .offset:         264
        .size:           8
        .value_kind:     hidden_global_offset_z
      - .offset:         272
        .size:           2
        .value_kind:     hidden_grid_dims
      - .offset:         288
        .size:           8
        .value_kind:     hidden_hostcall_buffer
    .group_segment_fixed_size: 0
    .kernarg_segment_align: 8
    .kernarg_segment_size: 464
    .language:       OpenCL C
    .language_version:
      - 2
      - 0
    .max_flat_workgroup_size: 256
    .name:           _ZL18flash_attn_ext_f16ILi96ELi96ELi64ELi1ELb1ELb0EEvPKcS1_S1_S1_S1_PKiPfP15HIP_vector_typeIfLj2EEffffjfiS5_IjLj3EEiiiiiiiiiiiliiliiiiil
    .private_segment_fixed_size: 16
    .sgpr_count:     40
    .sgpr_spill_count: 0
    .symbol:         _ZL18flash_attn_ext_f16ILi96ELi96ELi64ELi1ELb1ELb0EEvPKcS1_S1_S1_S1_PKiPfP15HIP_vector_typeIfLj2EEffffjfiS5_IjLj3EEiiiiiiiiiiiliiliiiiil.kd
    .uniform_work_group_size: 1
    .uses_dynamic_stack: false
    .vgpr_count:     39
    .vgpr_spill_count: 0
    .wavefront_size: 64
  - .agpr_count:     0
    .args:
      - .address_space:  global
        .offset:         0
        .size:           8
        .value_kind:     global_buffer
      - .address_space:  global
        .offset:         8
        .size:           8
        .value_kind:     global_buffer
      - .offset:         16
        .size:           4
        .value_kind:     by_value
      - .offset:         20
        .size:           4
        .value_kind:     by_value
      - .offset:         24
        .size:           4
        .value_kind:     by_value
      - .offset:         28
        .size:           4
        .value_kind:     by_value
      - .offset:         32
        .size:           4
        .value_kind:     by_value
      - .offset:         36
        .size:           4
        .value_kind:     by_value
      - .offset:         40
        .size:           12
        .value_kind:     by_value
      - .offset:         52
        .size:           12
        .value_kind:     by_value
      - .offset:         64
        .size:           12
        .value_kind:     by_value
    .group_segment_fixed_size: 0
    .kernarg_segment_align: 8
    .kernarg_segment_size: 76
    .language:       OpenCL C
    .language_version:
      - 2
      - 0
    .max_flat_workgroup_size: 96
    .name:           _ZL33flash_attn_stream_k_fixup_uniformILi96ELi64ELi1EEvPfPK15HIP_vector_typeIfLj2EEiiiiiiS1_IjLj3EES5_S5_
    .private_segment_fixed_size: 0
    .sgpr_count:     24
    .sgpr_spill_count: 0
    .symbol:         _ZL33flash_attn_stream_k_fixup_uniformILi96ELi64ELi1EEvPfPK15HIP_vector_typeIfLj2EEiiiiiiS1_IjLj3EES5_S5_.kd
    .uniform_work_group_size: 1
    .uses_dynamic_stack: false
    .vgpr_count:     17
    .vgpr_spill_count: 0
    .wavefront_size: 64
  - .agpr_count:     0
    .args:
      - .address_space:  global
        .offset:         0
        .size:           8
        .value_kind:     global_buffer
      - .address_space:  global
        .offset:         8
        .size:           8
        .value_kind:     global_buffer
      - .offset:         16
        .size:           4
        .value_kind:     by_value
      - .offset:         20
        .size:           4
        .value_kind:     by_value
      - .offset:         24
        .size:           4
        .value_kind:     by_value
      - .offset:         28
        .size:           4
        .value_kind:     by_value
      - .offset:         32
        .size:           12
        .value_kind:     by_value
      - .offset:         44
        .size:           12
        .value_kind:     by_value
      - .offset:         56
        .size:           12
        .value_kind:     by_value
      - .offset:         68
        .size:           12
        .value_kind:     by_value
      - .offset:         80
        .size:           4
        .value_kind:     hidden_block_count_x
      - .offset:         84
        .size:           4
        .value_kind:     hidden_block_count_y
      - .offset:         88
        .size:           4
        .value_kind:     hidden_block_count_z
      - .offset:         92
        .size:           2
        .value_kind:     hidden_group_size_x
      - .offset:         94
        .size:           2
        .value_kind:     hidden_group_size_y
      - .offset:         96
        .size:           2
        .value_kind:     hidden_group_size_z
      - .offset:         98
        .size:           2
        .value_kind:     hidden_remainder_x
      - .offset:         100
        .size:           2
        .value_kind:     hidden_remainder_y
      - .offset:         102
        .size:           2
        .value_kind:     hidden_remainder_z
      - .offset:         120
        .size:           8
        .value_kind:     hidden_global_offset_x
      - .offset:         128
        .size:           8
        .value_kind:     hidden_global_offset_y
      - .offset:         136
        .size:           8
        .value_kind:     hidden_global_offset_z
      - .offset:         144
        .size:           2
        .value_kind:     hidden_grid_dims
    .group_segment_fixed_size: 0
    .kernarg_segment_align: 8
    .kernarg_segment_size: 336
    .language:       OpenCL C
    .language_version:
      - 2
      - 0
    .max_flat_workgroup_size: 96
    .name:           _ZL33flash_attn_stream_k_fixup_generalILi96ELi64ELi1EEvPfPK15HIP_vector_typeIfLj2EEiiiiS1_IjLj3EES5_S5_S5_
    .private_segment_fixed_size: 0
    .sgpr_count:     36
    .sgpr_spill_count: 0
    .symbol:         _ZL33flash_attn_stream_k_fixup_generalILi96ELi64ELi1EEvPfPK15HIP_vector_typeIfLj2EEiiiiS1_IjLj3EES5_S5_S5_.kd
    .uniform_work_group_size: 1
    .uses_dynamic_stack: false
    .vgpr_count:     22
    .vgpr_spill_count: 0
    .wavefront_size: 64
  - .agpr_count:     0
    .args:
      - .address_space:  global
        .offset:         0
        .size:           8
        .value_kind:     global_buffer
      - .address_space:  global
        .offset:         8
        .size:           8
        .value_kind:     global_buffer
      - .address_space:  global
        .offset:         16
        .size:           8
        .value_kind:     global_buffer
      - .offset:         24
        .size:           4
        .value_kind:     by_value
      - .offset:         32
        .size:           4
        .value_kind:     hidden_block_count_x
      - .offset:         36
        .size:           4
        .value_kind:     hidden_block_count_y
      - .offset:         40
        .size:           4
        .value_kind:     hidden_block_count_z
      - .offset:         44
        .size:           2
        .value_kind:     hidden_group_size_x
      - .offset:         46
        .size:           2
        .value_kind:     hidden_group_size_y
      - .offset:         48
        .size:           2
        .value_kind:     hidden_group_size_z
      - .offset:         50
        .size:           2
        .value_kind:     hidden_remainder_x
      - .offset:         52
        .size:           2
        .value_kind:     hidden_remainder_y
      - .offset:         54
        .size:           2
        .value_kind:     hidden_remainder_z
      - .offset:         72
        .size:           8
        .value_kind:     hidden_global_offset_x
      - .offset:         80
        .size:           8
        .value_kind:     hidden_global_offset_y
      - .offset:         88
        .size:           8
        .value_kind:     hidden_global_offset_z
      - .offset:         96
        .size:           2
        .value_kind:     hidden_grid_dims
      - .offset:         152
        .size:           4
        .value_kind:     hidden_dynamic_lds_size
    .group_segment_fixed_size: 0
    .kernarg_segment_align: 8
    .kernarg_segment_size: 288
    .language:       OpenCL C
    .language_version:
      - 2
      - 0
    .max_flat_workgroup_size: 96
    .name:           _ZL26flash_attn_combine_resultsILi96EEvPKfPK15HIP_vector_typeIfLj2EEPfi
    .private_segment_fixed_size: 0
    .sgpr_count:     33
    .sgpr_spill_count: 0
    .symbol:         _ZL26flash_attn_combine_resultsILi96EEvPKfPK15HIP_vector_typeIfLj2EEPfi.kd
    .uniform_work_group_size: 1
    .uses_dynamic_stack: false
    .vgpr_count:     51
    .vgpr_spill_count: 0
    .wavefront_size: 64
  - .agpr_count:     0
    .args:
      - .address_space:  global
        .offset:         0
        .size:           8
        .value_kind:     global_buffer
      - .address_space:  global
        .offset:         8
        .size:           8
        .value_kind:     global_buffer
      - .address_space:  global
        .offset:         16
        .size:           8
        .value_kind:     global_buffer
      - .address_space:  global
        .offset:         24
        .size:           8
        .value_kind:     global_buffer
      - .address_space:  global
        .offset:         32
        .size:           8
        .value_kind:     global_buffer
      - .address_space:  global
        .offset:         40
        .size:           8
        .value_kind:     global_buffer
      - .address_space:  global
        .offset:         48
        .size:           8
        .value_kind:     global_buffer
      - .address_space:  global
        .offset:         56
        .size:           8
        .value_kind:     global_buffer
      - .offset:         64
        .size:           4
        .value_kind:     by_value
      - .offset:         68
        .size:           4
        .value_kind:     by_value
      - .offset:         72
        .size:           4
        .value_kind:     by_value
      - .offset:         76
        .size:           4
        .value_kind:     by_value
      - .offset:         80
        .size:           4
        .value_kind:     by_value
      - .offset:         84
        .size:           4
        .value_kind:     by_value
      - .offset:         88
        .size:           4
        .value_kind:     by_value
      - .offset:         92
        .size:           12
        .value_kind:     by_value
      - .offset:         104
        .size:           4
        .value_kind:     by_value
      - .offset:         108
        .size:           4
        .value_kind:     by_value
      - .offset:         112
        .size:           4
        .value_kind:     by_value
      - .offset:         116
        .size:           4
        .value_kind:     by_value
      - .offset:         120
        .size:           4
        .value_kind:     by_value
      - .offset:         124
        .size:           4
        .value_kind:     by_value
      - .offset:         128
        .size:           4
        .value_kind:     by_value
      - .offset:         132
        .size:           4
        .value_kind:     by_value
      - .offset:         136
        .size:           4
        .value_kind:     by_value
      - .offset:         140
        .size:           4
        .value_kind:     by_value
      - .offset:         144
        .size:           4
        .value_kind:     by_value
      - .offset:         152
        .size:           8
        .value_kind:     by_value
      - .offset:         160
        .size:           4
        .value_kind:     by_value
      - .offset:         164
        .size:           4
        .value_kind:     by_value
      - .offset:         168
        .size:           8
        .value_kind:     by_value
      - .offset:         176
        .size:           4
        .value_kind:     by_value
      - .offset:         180
        .size:           4
        .value_kind:     by_value
      - .offset:         184
        .size:           4
        .value_kind:     by_value
      - .offset:         188
        .size:           4
        .value_kind:     by_value
      - .offset:         192
        .size:           4
        .value_kind:     by_value
      - .offset:         200
        .size:           8
        .value_kind:     by_value
      - .offset:         208
        .size:           4
        .value_kind:     hidden_block_count_x
      - .offset:         212
        .size:           4
        .value_kind:     hidden_block_count_y
      - .offset:         216
        .size:           4
        .value_kind:     hidden_block_count_z
      - .offset:         220
        .size:           2
        .value_kind:     hidden_group_size_x
      - .offset:         222
        .size:           2
        .value_kind:     hidden_group_size_y
      - .offset:         224
        .size:           2
        .value_kind:     hidden_group_size_z
      - .offset:         226
        .size:           2
        .value_kind:     hidden_remainder_x
      - .offset:         228
        .size:           2
        .value_kind:     hidden_remainder_y
      - .offset:         230
        .size:           2
        .value_kind:     hidden_remainder_z
      - .offset:         248
        .size:           8
        .value_kind:     hidden_global_offset_x
      - .offset:         256
        .size:           8
        .value_kind:     hidden_global_offset_y
      - .offset:         264
        .size:           8
        .value_kind:     hidden_global_offset_z
      - .offset:         272
        .size:           2
        .value_kind:     hidden_grid_dims
      - .offset:         328
        .size:           4
        .value_kind:     hidden_dynamic_lds_size
    .group_segment_fixed_size: 0
    .kernarg_segment_align: 8
    .kernarg_segment_size: 464
    .language:       OpenCL C
    .language_version:
      - 2
      - 0
    .max_flat_workgroup_size: 256
    .name:           _ZL18flash_attn_ext_f16ILi112ELi112ELi64ELi1ELb0ELb0EEvPKcS1_S1_S1_S1_PKiPfP15HIP_vector_typeIfLj2EEffffjfiS5_IjLj3EEiiiiiiiiiiiliiliiiiil
    .private_segment_fixed_size: 176
    .sgpr_count:     106
    .sgpr_spill_count: 173
    .symbol:         _ZL18flash_attn_ext_f16ILi112ELi112ELi64ELi1ELb0ELb0EEvPKcS1_S1_S1_S1_PKiPfP15HIP_vector_typeIfLj2EEffffjfiS5_IjLj3EEiiiiiiiiiiiliiliiiiil.kd
    .uniform_work_group_size: 1
    .uses_dynamic_stack: false
    .vgpr_count:     256
    .vgpr_spill_count: 37
    .wavefront_size: 64
  - .agpr_count:     0
    .args:
      - .address_space:  global
        .offset:         0
        .size:           8
        .value_kind:     global_buffer
      - .address_space:  global
        .offset:         8
        .size:           8
        .value_kind:     global_buffer
      - .address_space:  global
        .offset:         16
        .size:           8
        .value_kind:     global_buffer
      - .address_space:  global
        .offset:         24
        .size:           8
        .value_kind:     global_buffer
      - .address_space:  global
        .offset:         32
        .size:           8
        .value_kind:     global_buffer
      - .address_space:  global
        .offset:         40
        .size:           8
        .value_kind:     global_buffer
      - .address_space:  global
        .offset:         48
        .size:           8
        .value_kind:     global_buffer
      - .address_space:  global
        .offset:         56
        .size:           8
        .value_kind:     global_buffer
      - .offset:         64
        .size:           4
        .value_kind:     by_value
      - .offset:         68
        .size:           4
        .value_kind:     by_value
      - .offset:         72
        .size:           4
        .value_kind:     by_value
      - .offset:         76
        .size:           4
        .value_kind:     by_value
      - .offset:         80
        .size:           4
        .value_kind:     by_value
      - .offset:         84
        .size:           4
        .value_kind:     by_value
      - .offset:         88
        .size:           4
        .value_kind:     by_value
      - .offset:         92
        .size:           12
        .value_kind:     by_value
      - .offset:         104
        .size:           4
        .value_kind:     by_value
      - .offset:         108
        .size:           4
        .value_kind:     by_value
      - .offset:         112
        .size:           4
        .value_kind:     by_value
      - .offset:         116
        .size:           4
        .value_kind:     by_value
      - .offset:         120
        .size:           4
        .value_kind:     by_value
      - .offset:         124
        .size:           4
        .value_kind:     by_value
      - .offset:         128
        .size:           4
        .value_kind:     by_value
      - .offset:         132
        .size:           4
        .value_kind:     by_value
      - .offset:         136
        .size:           4
        .value_kind:     by_value
      - .offset:         140
        .size:           4
        .value_kind:     by_value
      - .offset:         144
        .size:           4
        .value_kind:     by_value
      - .offset:         152
        .size:           8
        .value_kind:     by_value
      - .offset:         160
        .size:           4
        .value_kind:     by_value
      - .offset:         164
        .size:           4
        .value_kind:     by_value
      - .offset:         168
        .size:           8
        .value_kind:     by_value
      - .offset:         176
        .size:           4
        .value_kind:     by_value
      - .offset:         180
        .size:           4
        .value_kind:     by_value
      - .offset:         184
        .size:           4
        .value_kind:     by_value
      - .offset:         188
        .size:           4
        .value_kind:     by_value
      - .offset:         192
        .size:           4
        .value_kind:     by_value
      - .offset:         200
        .size:           8
        .value_kind:     by_value
      - .offset:         208
        .size:           4
        .value_kind:     hidden_block_count_x
      - .offset:         212
        .size:           4
        .value_kind:     hidden_block_count_y
      - .offset:         216
        .size:           4
        .value_kind:     hidden_block_count_z
      - .offset:         220
        .size:           2
        .value_kind:     hidden_group_size_x
      - .offset:         222
        .size:           2
        .value_kind:     hidden_group_size_y
      - .offset:         224
        .size:           2
        .value_kind:     hidden_group_size_z
      - .offset:         226
        .size:           2
        .value_kind:     hidden_remainder_x
      - .offset:         228
        .size:           2
        .value_kind:     hidden_remainder_y
      - .offset:         230
        .size:           2
        .value_kind:     hidden_remainder_z
      - .offset:         248
        .size:           8
        .value_kind:     hidden_global_offset_x
      - .offset:         256
        .size:           8
        .value_kind:     hidden_global_offset_y
      - .offset:         264
        .size:           8
        .value_kind:     hidden_global_offset_z
      - .offset:         272
        .size:           2
        .value_kind:     hidden_grid_dims
      - .offset:         288
        .size:           8
        .value_kind:     hidden_hostcall_buffer
    .group_segment_fixed_size: 0
    .kernarg_segment_align: 8
    .kernarg_segment_size: 464
    .language:       OpenCL C
    .language_version:
      - 2
      - 0
    .max_flat_workgroup_size: 256
    .name:           _ZL18flash_attn_ext_f16ILi112ELi112ELi64ELi1ELb1ELb0EEvPKcS1_S1_S1_S1_PKiPfP15HIP_vector_typeIfLj2EEffffjfiS5_IjLj3EEiiiiiiiiiiiliiliiiiil
    .private_segment_fixed_size: 16
    .sgpr_count:     40
    .sgpr_spill_count: 0
    .symbol:         _ZL18flash_attn_ext_f16ILi112ELi112ELi64ELi1ELb1ELb0EEvPKcS1_S1_S1_S1_PKiPfP15HIP_vector_typeIfLj2EEffffjfiS5_IjLj3EEiiiiiiiiiiiliiliiiiil.kd
    .uniform_work_group_size: 1
    .uses_dynamic_stack: false
    .vgpr_count:     39
    .vgpr_spill_count: 0
    .wavefront_size: 64
  - .agpr_count:     0
    .args:
      - .address_space:  global
        .offset:         0
        .size:           8
        .value_kind:     global_buffer
      - .address_space:  global
        .offset:         8
        .size:           8
        .value_kind:     global_buffer
      - .offset:         16
        .size:           4
        .value_kind:     by_value
      - .offset:         20
        .size:           4
        .value_kind:     by_value
      - .offset:         24
        .size:           4
        .value_kind:     by_value
      - .offset:         28
        .size:           4
        .value_kind:     by_value
      - .offset:         32
        .size:           4
        .value_kind:     by_value
      - .offset:         36
        .size:           4
        .value_kind:     by_value
      - .offset:         40
        .size:           12
        .value_kind:     by_value
      - .offset:         52
        .size:           12
        .value_kind:     by_value
      - .offset:         64
        .size:           12
        .value_kind:     by_value
    .group_segment_fixed_size: 0
    .kernarg_segment_align: 8
    .kernarg_segment_size: 76
    .language:       OpenCL C
    .language_version:
      - 2
      - 0
    .max_flat_workgroup_size: 112
    .name:           _ZL33flash_attn_stream_k_fixup_uniformILi112ELi64ELi1EEvPfPK15HIP_vector_typeIfLj2EEiiiiiiS1_IjLj3EES5_S5_
    .private_segment_fixed_size: 0
    .sgpr_count:     24
    .sgpr_spill_count: 0
    .symbol:         _ZL33flash_attn_stream_k_fixup_uniformILi112ELi64ELi1EEvPfPK15HIP_vector_typeIfLj2EEiiiiiiS1_IjLj3EES5_S5_.kd
    .uniform_work_group_size: 1
    .uses_dynamic_stack: false
    .vgpr_count:     17
    .vgpr_spill_count: 0
    .wavefront_size: 64
  - .agpr_count:     0
    .args:
      - .address_space:  global
        .offset:         0
        .size:           8
        .value_kind:     global_buffer
      - .address_space:  global
        .offset:         8
        .size:           8
        .value_kind:     global_buffer
      - .offset:         16
        .size:           4
        .value_kind:     by_value
      - .offset:         20
        .size:           4
        .value_kind:     by_value
      - .offset:         24
        .size:           4
        .value_kind:     by_value
      - .offset:         28
        .size:           4
        .value_kind:     by_value
      - .offset:         32
        .size:           12
        .value_kind:     by_value
      - .offset:         44
        .size:           12
        .value_kind:     by_value
      - .offset:         56
        .size:           12
        .value_kind:     by_value
      - .offset:         68
        .size:           12
        .value_kind:     by_value
      - .offset:         80
        .size:           4
        .value_kind:     hidden_block_count_x
      - .offset:         84
        .size:           4
        .value_kind:     hidden_block_count_y
      - .offset:         88
        .size:           4
        .value_kind:     hidden_block_count_z
      - .offset:         92
        .size:           2
        .value_kind:     hidden_group_size_x
      - .offset:         94
        .size:           2
        .value_kind:     hidden_group_size_y
      - .offset:         96
        .size:           2
        .value_kind:     hidden_group_size_z
      - .offset:         98
        .size:           2
        .value_kind:     hidden_remainder_x
      - .offset:         100
        .size:           2
        .value_kind:     hidden_remainder_y
      - .offset:         102
        .size:           2
        .value_kind:     hidden_remainder_z
      - .offset:         120
        .size:           8
        .value_kind:     hidden_global_offset_x
      - .offset:         128
        .size:           8
        .value_kind:     hidden_global_offset_y
      - .offset:         136
        .size:           8
        .value_kind:     hidden_global_offset_z
      - .offset:         144
        .size:           2
        .value_kind:     hidden_grid_dims
    .group_segment_fixed_size: 0
    .kernarg_segment_align: 8
    .kernarg_segment_size: 336
    .language:       OpenCL C
    .language_version:
      - 2
      - 0
    .max_flat_workgroup_size: 112
    .name:           _ZL33flash_attn_stream_k_fixup_generalILi112ELi64ELi1EEvPfPK15HIP_vector_typeIfLj2EEiiiiS1_IjLj3EES5_S5_S5_
    .private_segment_fixed_size: 0
    .sgpr_count:     36
    .sgpr_spill_count: 0
    .symbol:         _ZL33flash_attn_stream_k_fixup_generalILi112ELi64ELi1EEvPfPK15HIP_vector_typeIfLj2EEiiiiS1_IjLj3EES5_S5_S5_.kd
    .uniform_work_group_size: 1
    .uses_dynamic_stack: false
    .vgpr_count:     22
    .vgpr_spill_count: 0
    .wavefront_size: 64
  - .agpr_count:     0
    .args:
      - .address_space:  global
        .offset:         0
        .size:           8
        .value_kind:     global_buffer
      - .address_space:  global
        .offset:         8
        .size:           8
        .value_kind:     global_buffer
      - .address_space:  global
        .offset:         16
        .size:           8
        .value_kind:     global_buffer
      - .offset:         24
        .size:           4
        .value_kind:     by_value
      - .offset:         32
        .size:           4
        .value_kind:     hidden_block_count_x
      - .offset:         36
        .size:           4
        .value_kind:     hidden_block_count_y
      - .offset:         40
        .size:           4
        .value_kind:     hidden_block_count_z
      - .offset:         44
        .size:           2
        .value_kind:     hidden_group_size_x
      - .offset:         46
        .size:           2
        .value_kind:     hidden_group_size_y
      - .offset:         48
        .size:           2
        .value_kind:     hidden_group_size_z
      - .offset:         50
        .size:           2
        .value_kind:     hidden_remainder_x
      - .offset:         52
        .size:           2
        .value_kind:     hidden_remainder_y
      - .offset:         54
        .size:           2
        .value_kind:     hidden_remainder_z
      - .offset:         72
        .size:           8
        .value_kind:     hidden_global_offset_x
      - .offset:         80
        .size:           8
        .value_kind:     hidden_global_offset_y
      - .offset:         88
        .size:           8
        .value_kind:     hidden_global_offset_z
      - .offset:         96
        .size:           2
        .value_kind:     hidden_grid_dims
      - .offset:         152
        .size:           4
        .value_kind:     hidden_dynamic_lds_size
    .group_segment_fixed_size: 0
    .kernarg_segment_align: 8
    .kernarg_segment_size: 288
    .language:       OpenCL C
    .language_version:
      - 2
      - 0
    .max_flat_workgroup_size: 112
    .name:           _ZL26flash_attn_combine_resultsILi112EEvPKfPK15HIP_vector_typeIfLj2EEPfi
    .private_segment_fixed_size: 0
    .sgpr_count:     33
    .sgpr_spill_count: 0
    .symbol:         _ZL26flash_attn_combine_resultsILi112EEvPKfPK15HIP_vector_typeIfLj2EEPfi.kd
    .uniform_work_group_size: 1
    .uses_dynamic_stack: false
    .vgpr_count:     51
    .vgpr_spill_count: 0
    .wavefront_size: 64
  - .agpr_count:     0
    .args:
      - .address_space:  global
        .offset:         0
        .size:           8
        .value_kind:     global_buffer
      - .address_space:  global
        .offset:         8
        .size:           8
        .value_kind:     global_buffer
      - .address_space:  global
        .offset:         16
        .size:           8
        .value_kind:     global_buffer
      - .address_space:  global
        .offset:         24
        .size:           8
        .value_kind:     global_buffer
      - .address_space:  global
        .offset:         32
        .size:           8
        .value_kind:     global_buffer
      - .address_space:  global
        .offset:         40
        .size:           8
        .value_kind:     global_buffer
      - .address_space:  global
        .offset:         48
        .size:           8
        .value_kind:     global_buffer
      - .address_space:  global
        .offset:         56
        .size:           8
        .value_kind:     global_buffer
      - .offset:         64
        .size:           4
        .value_kind:     by_value
      - .offset:         68
        .size:           4
        .value_kind:     by_value
      - .offset:         72
        .size:           4
        .value_kind:     by_value
      - .offset:         76
        .size:           4
        .value_kind:     by_value
      - .offset:         80
        .size:           4
        .value_kind:     by_value
      - .offset:         84
        .size:           4
        .value_kind:     by_value
      - .offset:         88
        .size:           4
        .value_kind:     by_value
      - .offset:         92
        .size:           12
        .value_kind:     by_value
      - .offset:         104
        .size:           4
        .value_kind:     by_value
      - .offset:         108
        .size:           4
        .value_kind:     by_value
      - .offset:         112
        .size:           4
        .value_kind:     by_value
      - .offset:         116
        .size:           4
        .value_kind:     by_value
      - .offset:         120
        .size:           4
        .value_kind:     by_value
      - .offset:         124
        .size:           4
        .value_kind:     by_value
      - .offset:         128
        .size:           4
        .value_kind:     by_value
      - .offset:         132
        .size:           4
        .value_kind:     by_value
      - .offset:         136
        .size:           4
        .value_kind:     by_value
      - .offset:         140
        .size:           4
        .value_kind:     by_value
      - .offset:         144
        .size:           4
        .value_kind:     by_value
      - .offset:         152
        .size:           8
        .value_kind:     by_value
      - .offset:         160
        .size:           4
        .value_kind:     by_value
      - .offset:         164
        .size:           4
        .value_kind:     by_value
      - .offset:         168
        .size:           8
        .value_kind:     by_value
      - .offset:         176
        .size:           4
        .value_kind:     by_value
      - .offset:         180
        .size:           4
        .value_kind:     by_value
      - .offset:         184
        .size:           4
        .value_kind:     by_value
      - .offset:         188
        .size:           4
        .value_kind:     by_value
      - .offset:         192
        .size:           4
        .value_kind:     by_value
      - .offset:         200
        .size:           8
        .value_kind:     by_value
      - .offset:         208
        .size:           4
        .value_kind:     hidden_block_count_x
      - .offset:         212
        .size:           4
        .value_kind:     hidden_block_count_y
      - .offset:         216
        .size:           4
        .value_kind:     hidden_block_count_z
      - .offset:         220
        .size:           2
        .value_kind:     hidden_group_size_x
      - .offset:         222
        .size:           2
        .value_kind:     hidden_group_size_y
      - .offset:         224
        .size:           2
        .value_kind:     hidden_group_size_z
      - .offset:         226
        .size:           2
        .value_kind:     hidden_remainder_x
      - .offset:         228
        .size:           2
        .value_kind:     hidden_remainder_y
      - .offset:         230
        .size:           2
        .value_kind:     hidden_remainder_z
      - .offset:         248
        .size:           8
        .value_kind:     hidden_global_offset_x
      - .offset:         256
        .size:           8
        .value_kind:     hidden_global_offset_y
      - .offset:         264
        .size:           8
        .value_kind:     hidden_global_offset_z
      - .offset:         272
        .size:           2
        .value_kind:     hidden_grid_dims
      - .offset:         328
        .size:           4
        .value_kind:     hidden_dynamic_lds_size
    .group_segment_fixed_size: 0
    .kernarg_segment_align: 8
    .kernarg_segment_size: 464
    .language:       OpenCL C
    .language_version:
      - 2
      - 0
    .max_flat_workgroup_size: 256
    .name:           _ZL18flash_attn_ext_f16ILi128ELi128ELi64ELi1ELb0ELb0EEvPKcS1_S1_S1_S1_PKiPfP15HIP_vector_typeIfLj2EEffffjfiS5_IjLj3EEiiiiiiiiiiiliiliiiiil
    .private_segment_fixed_size: 144
    .sgpr_count:     106
    .sgpr_spill_count: 171
    .symbol:         _ZL18flash_attn_ext_f16ILi128ELi128ELi64ELi1ELb0ELb0EEvPKcS1_S1_S1_S1_PKiPfP15HIP_vector_typeIfLj2EEffffjfiS5_IjLj3EEiiiiiiiiiiiliiliiiiil.kd
    .uniform_work_group_size: 1
    .uses_dynamic_stack: false
    .vgpr_count:     256
    .vgpr_spill_count: 28
    .wavefront_size: 64
  - .agpr_count:     0
    .args:
      - .address_space:  global
        .offset:         0
        .size:           8
        .value_kind:     global_buffer
      - .address_space:  global
        .offset:         8
        .size:           8
        .value_kind:     global_buffer
      - .address_space:  global
        .offset:         16
        .size:           8
        .value_kind:     global_buffer
      - .address_space:  global
        .offset:         24
        .size:           8
        .value_kind:     global_buffer
      - .address_space:  global
        .offset:         32
        .size:           8
        .value_kind:     global_buffer
      - .address_space:  global
        .offset:         40
        .size:           8
        .value_kind:     global_buffer
      - .address_space:  global
        .offset:         48
        .size:           8
        .value_kind:     global_buffer
      - .address_space:  global
        .offset:         56
        .size:           8
        .value_kind:     global_buffer
      - .offset:         64
        .size:           4
        .value_kind:     by_value
      - .offset:         68
        .size:           4
        .value_kind:     by_value
      - .offset:         72
        .size:           4
        .value_kind:     by_value
      - .offset:         76
        .size:           4
        .value_kind:     by_value
      - .offset:         80
        .size:           4
        .value_kind:     by_value
      - .offset:         84
        .size:           4
        .value_kind:     by_value
      - .offset:         88
        .size:           4
        .value_kind:     by_value
      - .offset:         92
        .size:           12
        .value_kind:     by_value
      - .offset:         104
        .size:           4
        .value_kind:     by_value
      - .offset:         108
        .size:           4
        .value_kind:     by_value
      - .offset:         112
        .size:           4
        .value_kind:     by_value
      - .offset:         116
        .size:           4
        .value_kind:     by_value
      - .offset:         120
        .size:           4
        .value_kind:     by_value
      - .offset:         124
        .size:           4
        .value_kind:     by_value
      - .offset:         128
        .size:           4
        .value_kind:     by_value
      - .offset:         132
        .size:           4
        .value_kind:     by_value
      - .offset:         136
        .size:           4
        .value_kind:     by_value
      - .offset:         140
        .size:           4
        .value_kind:     by_value
      - .offset:         144
        .size:           4
        .value_kind:     by_value
      - .offset:         152
        .size:           8
        .value_kind:     by_value
      - .offset:         160
        .size:           4
        .value_kind:     by_value
      - .offset:         164
        .size:           4
        .value_kind:     by_value
      - .offset:         168
        .size:           8
        .value_kind:     by_value
      - .offset:         176
        .size:           4
        .value_kind:     by_value
      - .offset:         180
        .size:           4
        .value_kind:     by_value
      - .offset:         184
        .size:           4
        .value_kind:     by_value
      - .offset:         188
        .size:           4
        .value_kind:     by_value
      - .offset:         192
        .size:           4
        .value_kind:     by_value
      - .offset:         200
        .size:           8
        .value_kind:     by_value
      - .offset:         208
        .size:           4
        .value_kind:     hidden_block_count_x
      - .offset:         212
        .size:           4
        .value_kind:     hidden_block_count_y
      - .offset:         216
        .size:           4
        .value_kind:     hidden_block_count_z
      - .offset:         220
        .size:           2
        .value_kind:     hidden_group_size_x
      - .offset:         222
        .size:           2
        .value_kind:     hidden_group_size_y
      - .offset:         224
        .size:           2
        .value_kind:     hidden_group_size_z
      - .offset:         226
        .size:           2
        .value_kind:     hidden_remainder_x
      - .offset:         228
        .size:           2
        .value_kind:     hidden_remainder_y
      - .offset:         230
        .size:           2
        .value_kind:     hidden_remainder_z
      - .offset:         248
        .size:           8
        .value_kind:     hidden_global_offset_x
      - .offset:         256
        .size:           8
        .value_kind:     hidden_global_offset_y
      - .offset:         264
        .size:           8
        .value_kind:     hidden_global_offset_z
      - .offset:         272
        .size:           2
        .value_kind:     hidden_grid_dims
      - .offset:         328
        .size:           4
        .value_kind:     hidden_dynamic_lds_size
    .group_segment_fixed_size: 0
    .kernarg_segment_align: 8
    .kernarg_segment_size: 464
    .language:       OpenCL C
    .language_version:
      - 2
      - 0
    .max_flat_workgroup_size: 256
    .name:           _ZL18flash_attn_ext_f16ILi128ELi128ELi64ELi1ELb1ELb0EEvPKcS1_S1_S1_S1_PKiPfP15HIP_vector_typeIfLj2EEffffjfiS5_IjLj3EEiiiiiiiiiiiliiliiiiil
    .private_segment_fixed_size: 192
    .sgpr_count:     104
    .sgpr_spill_count: 192
    .symbol:         _ZL18flash_attn_ext_f16ILi128ELi128ELi64ELi1ELb1ELb0EEvPKcS1_S1_S1_S1_PKiPfP15HIP_vector_typeIfLj2EEffffjfiS5_IjLj3EEiiiiiiiiiiiliiliiiiil.kd
    .uniform_work_group_size: 1
    .uses_dynamic_stack: false
    .vgpr_count:     256
    .vgpr_spill_count: 41
    .wavefront_size: 64
  - .agpr_count:     0
    .args:
      - .address_space:  global
        .offset:         0
        .size:           8
        .value_kind:     global_buffer
      - .address_space:  global
        .offset:         8
        .size:           8
        .value_kind:     global_buffer
      - .offset:         16
        .size:           4
        .value_kind:     by_value
      - .offset:         20
        .size:           4
        .value_kind:     by_value
      - .offset:         24
        .size:           4
        .value_kind:     by_value
      - .offset:         28
        .size:           4
        .value_kind:     by_value
      - .offset:         32
        .size:           4
        .value_kind:     by_value
      - .offset:         36
        .size:           4
        .value_kind:     by_value
      - .offset:         40
        .size:           12
        .value_kind:     by_value
      - .offset:         52
        .size:           12
        .value_kind:     by_value
      - .offset:         64
        .size:           12
        .value_kind:     by_value
    .group_segment_fixed_size: 0
    .kernarg_segment_align: 8
    .kernarg_segment_size: 76
    .language:       OpenCL C
    .language_version:
      - 2
      - 0
    .max_flat_workgroup_size: 128
    .name:           _ZL33flash_attn_stream_k_fixup_uniformILi128ELi64ELi1EEvPfPK15HIP_vector_typeIfLj2EEiiiiiiS1_IjLj3EES5_S5_
    .private_segment_fixed_size: 0
    .sgpr_count:     24
    .sgpr_spill_count: 0
    .symbol:         _ZL33flash_attn_stream_k_fixup_uniformILi128ELi64ELi1EEvPfPK15HIP_vector_typeIfLj2EEiiiiiiS1_IjLj3EES5_S5_.kd
    .uniform_work_group_size: 1
    .uses_dynamic_stack: false
    .vgpr_count:     17
    .vgpr_spill_count: 0
    .wavefront_size: 64
  - .agpr_count:     0
    .args:
      - .address_space:  global
        .offset:         0
        .size:           8
        .value_kind:     global_buffer
      - .address_space:  global
        .offset:         8
        .size:           8
        .value_kind:     global_buffer
      - .offset:         16
        .size:           4
        .value_kind:     by_value
      - .offset:         20
        .size:           4
        .value_kind:     by_value
      - .offset:         24
        .size:           4
        .value_kind:     by_value
      - .offset:         28
        .size:           4
        .value_kind:     by_value
      - .offset:         32
        .size:           12
        .value_kind:     by_value
      - .offset:         44
        .size:           12
        .value_kind:     by_value
      - .offset:         56
        .size:           12
        .value_kind:     by_value
      - .offset:         68
        .size:           12
        .value_kind:     by_value
      - .offset:         80
        .size:           4
        .value_kind:     hidden_block_count_x
      - .offset:         84
        .size:           4
        .value_kind:     hidden_block_count_y
      - .offset:         88
        .size:           4
        .value_kind:     hidden_block_count_z
      - .offset:         92
        .size:           2
        .value_kind:     hidden_group_size_x
      - .offset:         94
        .size:           2
        .value_kind:     hidden_group_size_y
      - .offset:         96
        .size:           2
        .value_kind:     hidden_group_size_z
      - .offset:         98
        .size:           2
        .value_kind:     hidden_remainder_x
      - .offset:         100
        .size:           2
        .value_kind:     hidden_remainder_y
      - .offset:         102
        .size:           2
        .value_kind:     hidden_remainder_z
      - .offset:         120
        .size:           8
        .value_kind:     hidden_global_offset_x
      - .offset:         128
        .size:           8
        .value_kind:     hidden_global_offset_y
      - .offset:         136
        .size:           8
        .value_kind:     hidden_global_offset_z
      - .offset:         144
        .size:           2
        .value_kind:     hidden_grid_dims
    .group_segment_fixed_size: 0
    .kernarg_segment_align: 8
    .kernarg_segment_size: 336
    .language:       OpenCL C
    .language_version:
      - 2
      - 0
    .max_flat_workgroup_size: 128
    .name:           _ZL33flash_attn_stream_k_fixup_generalILi128ELi64ELi1EEvPfPK15HIP_vector_typeIfLj2EEiiiiS1_IjLj3EES5_S5_S5_
    .private_segment_fixed_size: 0
    .sgpr_count:     36
    .sgpr_spill_count: 0
    .symbol:         _ZL33flash_attn_stream_k_fixup_generalILi128ELi64ELi1EEvPfPK15HIP_vector_typeIfLj2EEiiiiS1_IjLj3EES5_S5_S5_.kd
    .uniform_work_group_size: 1
    .uses_dynamic_stack: false
    .vgpr_count:     22
    .vgpr_spill_count: 0
    .wavefront_size: 64
  - .agpr_count:     0
    .args:
      - .address_space:  global
        .offset:         0
        .size:           8
        .value_kind:     global_buffer
      - .address_space:  global
        .offset:         8
        .size:           8
        .value_kind:     global_buffer
      - .address_space:  global
        .offset:         16
        .size:           8
        .value_kind:     global_buffer
      - .offset:         24
        .size:           4
        .value_kind:     by_value
      - .offset:         32
        .size:           4
        .value_kind:     hidden_block_count_x
      - .offset:         36
        .size:           4
        .value_kind:     hidden_block_count_y
      - .offset:         40
        .size:           4
        .value_kind:     hidden_block_count_z
      - .offset:         44
        .size:           2
        .value_kind:     hidden_group_size_x
      - .offset:         46
        .size:           2
        .value_kind:     hidden_group_size_y
      - .offset:         48
        .size:           2
        .value_kind:     hidden_group_size_z
      - .offset:         50
        .size:           2
        .value_kind:     hidden_remainder_x
      - .offset:         52
        .size:           2
        .value_kind:     hidden_remainder_y
      - .offset:         54
        .size:           2
        .value_kind:     hidden_remainder_z
      - .offset:         72
        .size:           8
        .value_kind:     hidden_global_offset_x
      - .offset:         80
        .size:           8
        .value_kind:     hidden_global_offset_y
      - .offset:         88
        .size:           8
        .value_kind:     hidden_global_offset_z
      - .offset:         96
        .size:           2
        .value_kind:     hidden_grid_dims
      - .offset:         152
        .size:           4
        .value_kind:     hidden_dynamic_lds_size
    .group_segment_fixed_size: 0
    .kernarg_segment_align: 8
    .kernarg_segment_size: 288
    .language:       OpenCL C
    .language_version:
      - 2
      - 0
    .max_flat_workgroup_size: 128
    .name:           _ZL26flash_attn_combine_resultsILi128EEvPKfPK15HIP_vector_typeIfLj2EEPfi
    .private_segment_fixed_size: 0
    .sgpr_count:     30
    .sgpr_spill_count: 0
    .symbol:         _ZL26flash_attn_combine_resultsILi128EEvPKfPK15HIP_vector_typeIfLj2EEPfi.kd
    .uniform_work_group_size: 1
    .uses_dynamic_stack: false
    .vgpr_count:     51
    .vgpr_spill_count: 0
    .wavefront_size: 64
  - .agpr_count:     0
    .args:
      - .address_space:  global
        .offset:         0
        .size:           8
        .value_kind:     global_buffer
      - .address_space:  global
        .offset:         8
        .size:           8
        .value_kind:     global_buffer
      - .address_space:  global
        .offset:         16
        .size:           8
        .value_kind:     global_buffer
      - .address_space:  global
        .offset:         24
        .size:           8
        .value_kind:     global_buffer
      - .address_space:  global
        .offset:         32
        .size:           8
        .value_kind:     global_buffer
      - .address_space:  global
        .offset:         40
        .size:           8
        .value_kind:     global_buffer
      - .address_space:  global
        .offset:         48
        .size:           8
        .value_kind:     global_buffer
      - .address_space:  global
        .offset:         56
        .size:           8
        .value_kind:     global_buffer
      - .offset:         64
        .size:           4
        .value_kind:     by_value
      - .offset:         68
        .size:           4
        .value_kind:     by_value
      - .offset:         72
        .size:           4
        .value_kind:     by_value
      - .offset:         76
        .size:           4
        .value_kind:     by_value
      - .offset:         80
        .size:           4
        .value_kind:     by_value
      - .offset:         84
        .size:           4
        .value_kind:     by_value
      - .offset:         88
        .size:           4
        .value_kind:     by_value
      - .offset:         92
        .size:           12
        .value_kind:     by_value
      - .offset:         104
        .size:           4
        .value_kind:     by_value
      - .offset:         108
        .size:           4
        .value_kind:     by_value
      - .offset:         112
        .size:           4
        .value_kind:     by_value
      - .offset:         116
        .size:           4
        .value_kind:     by_value
      - .offset:         120
        .size:           4
        .value_kind:     by_value
      - .offset:         124
        .size:           4
        .value_kind:     by_value
      - .offset:         128
        .size:           4
        .value_kind:     by_value
      - .offset:         132
        .size:           4
        .value_kind:     by_value
      - .offset:         136
        .size:           4
        .value_kind:     by_value
      - .offset:         140
        .size:           4
        .value_kind:     by_value
      - .offset:         144
        .size:           4
        .value_kind:     by_value
      - .offset:         152
        .size:           8
        .value_kind:     by_value
      - .offset:         160
        .size:           4
        .value_kind:     by_value
      - .offset:         164
        .size:           4
        .value_kind:     by_value
      - .offset:         168
        .size:           8
        .value_kind:     by_value
      - .offset:         176
        .size:           4
        .value_kind:     by_value
      - .offset:         180
        .size:           4
        .value_kind:     by_value
      - .offset:         184
        .size:           4
        .value_kind:     by_value
      - .offset:         188
        .size:           4
        .value_kind:     by_value
      - .offset:         192
        .size:           4
        .value_kind:     by_value
      - .offset:         200
        .size:           8
        .value_kind:     by_value
      - .offset:         208
        .size:           4
        .value_kind:     hidden_block_count_x
      - .offset:         212
        .size:           4
        .value_kind:     hidden_block_count_y
      - .offset:         216
        .size:           4
        .value_kind:     hidden_block_count_z
      - .offset:         220
        .size:           2
        .value_kind:     hidden_group_size_x
      - .offset:         222
        .size:           2
        .value_kind:     hidden_group_size_y
      - .offset:         224
        .size:           2
        .value_kind:     hidden_group_size_z
      - .offset:         226
        .size:           2
        .value_kind:     hidden_remainder_x
      - .offset:         228
        .size:           2
        .value_kind:     hidden_remainder_y
      - .offset:         230
        .size:           2
        .value_kind:     hidden_remainder_z
      - .offset:         248
        .size:           8
        .value_kind:     hidden_global_offset_x
      - .offset:         256
        .size:           8
        .value_kind:     hidden_global_offset_y
      - .offset:         264
        .size:           8
        .value_kind:     hidden_global_offset_z
      - .offset:         272
        .size:           2
        .value_kind:     hidden_grid_dims
      - .offset:         328
        .size:           4
        .value_kind:     hidden_dynamic_lds_size
    .group_segment_fixed_size: 0
    .kernarg_segment_align: 8
    .kernarg_segment_size: 464
    .language:       OpenCL C
    .language_version:
      - 2
      - 0
    .max_flat_workgroup_size: 512
    .name:           _ZL18flash_attn_ext_f16ILi256ELi256ELi64ELi1ELb0ELb0EEvPKcS1_S1_S1_S1_PKiPfP15HIP_vector_typeIfLj2EEffffjfiS5_IjLj3EEiiiiiiiiiiiliiliiiiil
    .private_segment_fixed_size: 368
    .sgpr_count:     106
    .sgpr_spill_count: 86
    .symbol:         _ZL18flash_attn_ext_f16ILi256ELi256ELi64ELi1ELb0ELb0EEvPKcS1_S1_S1_S1_PKiPfP15HIP_vector_typeIfLj2EEffffjfiS5_IjLj3EEiiiiiiiiiiiliiliiiiil.kd
    .uniform_work_group_size: 1
    .uses_dynamic_stack: false
    .vgpr_count:     256
    .vgpr_spill_count: 87
    .wavefront_size: 64
  - .agpr_count:     0
    .args:
      - .address_space:  global
        .offset:         0
        .size:           8
        .value_kind:     global_buffer
      - .address_space:  global
        .offset:         8
        .size:           8
        .value_kind:     global_buffer
      - .address_space:  global
        .offset:         16
        .size:           8
        .value_kind:     global_buffer
      - .address_space:  global
        .offset:         24
        .size:           8
        .value_kind:     global_buffer
      - .address_space:  global
        .offset:         32
        .size:           8
        .value_kind:     global_buffer
      - .address_space:  global
        .offset:         40
        .size:           8
        .value_kind:     global_buffer
      - .address_space:  global
        .offset:         48
        .size:           8
        .value_kind:     global_buffer
      - .address_space:  global
        .offset:         56
        .size:           8
        .value_kind:     global_buffer
      - .offset:         64
        .size:           4
        .value_kind:     by_value
      - .offset:         68
        .size:           4
        .value_kind:     by_value
      - .offset:         72
        .size:           4
        .value_kind:     by_value
      - .offset:         76
        .size:           4
        .value_kind:     by_value
      - .offset:         80
        .size:           4
        .value_kind:     by_value
      - .offset:         84
        .size:           4
        .value_kind:     by_value
      - .offset:         88
        .size:           4
        .value_kind:     by_value
      - .offset:         92
        .size:           12
        .value_kind:     by_value
      - .offset:         104
        .size:           4
        .value_kind:     by_value
      - .offset:         108
        .size:           4
        .value_kind:     by_value
      - .offset:         112
        .size:           4
        .value_kind:     by_value
      - .offset:         116
        .size:           4
        .value_kind:     by_value
      - .offset:         120
        .size:           4
        .value_kind:     by_value
      - .offset:         124
        .size:           4
        .value_kind:     by_value
      - .offset:         128
        .size:           4
        .value_kind:     by_value
      - .offset:         132
        .size:           4
        .value_kind:     by_value
      - .offset:         136
        .size:           4
        .value_kind:     by_value
      - .offset:         140
        .size:           4
        .value_kind:     by_value
      - .offset:         144
        .size:           4
        .value_kind:     by_value
      - .offset:         152
        .size:           8
        .value_kind:     by_value
      - .offset:         160
        .size:           4
        .value_kind:     by_value
      - .offset:         164
        .size:           4
        .value_kind:     by_value
      - .offset:         168
        .size:           8
        .value_kind:     by_value
      - .offset:         176
        .size:           4
        .value_kind:     by_value
      - .offset:         180
        .size:           4
        .value_kind:     by_value
      - .offset:         184
        .size:           4
        .value_kind:     by_value
      - .offset:         188
        .size:           4
        .value_kind:     by_value
      - .offset:         192
        .size:           4
        .value_kind:     by_value
      - .offset:         200
        .size:           8
        .value_kind:     by_value
      - .offset:         208
        .size:           4
        .value_kind:     hidden_block_count_x
      - .offset:         212
        .size:           4
        .value_kind:     hidden_block_count_y
      - .offset:         216
        .size:           4
        .value_kind:     hidden_block_count_z
      - .offset:         220
        .size:           2
        .value_kind:     hidden_group_size_x
      - .offset:         222
        .size:           2
        .value_kind:     hidden_group_size_y
      - .offset:         224
        .size:           2
        .value_kind:     hidden_group_size_z
      - .offset:         226
        .size:           2
        .value_kind:     hidden_remainder_x
      - .offset:         228
        .size:           2
        .value_kind:     hidden_remainder_y
      - .offset:         230
        .size:           2
        .value_kind:     hidden_remainder_z
      - .offset:         248
        .size:           8
        .value_kind:     hidden_global_offset_x
      - .offset:         256
        .size:           8
        .value_kind:     hidden_global_offset_y
      - .offset:         264
        .size:           8
        .value_kind:     hidden_global_offset_z
      - .offset:         272
        .size:           2
        .value_kind:     hidden_grid_dims
      - .offset:         328
        .size:           4
        .value_kind:     hidden_dynamic_lds_size
    .group_segment_fixed_size: 0
    .kernarg_segment_align: 8
    .kernarg_segment_size: 464
    .language:       OpenCL C
    .language_version:
      - 2
      - 0
    .max_flat_workgroup_size: 512
    .name:           _ZL18flash_attn_ext_f16ILi256ELi256ELi64ELi1ELb1ELb0EEvPKcS1_S1_S1_S1_PKiPfP15HIP_vector_typeIfLj2EEffffjfiS5_IjLj3EEiiiiiiiiiiiliiliiiiil
    .private_segment_fixed_size: 416
    .sgpr_count:     106
    .sgpr_spill_count: 92
    .symbol:         _ZL18flash_attn_ext_f16ILi256ELi256ELi64ELi1ELb1ELb0EEvPKcS1_S1_S1_S1_PKiPfP15HIP_vector_typeIfLj2EEffffjfiS5_IjLj3EEiiiiiiiiiiiliiliiiiil.kd
    .uniform_work_group_size: 1
    .uses_dynamic_stack: false
    .vgpr_count:     256
    .vgpr_spill_count: 99
    .wavefront_size: 64
  - .agpr_count:     0
    .args:
      - .address_space:  global
        .offset:         0
        .size:           8
        .value_kind:     global_buffer
      - .address_space:  global
        .offset:         8
        .size:           8
        .value_kind:     global_buffer
      - .offset:         16
        .size:           4
        .value_kind:     by_value
      - .offset:         20
        .size:           4
        .value_kind:     by_value
      - .offset:         24
        .size:           4
        .value_kind:     by_value
      - .offset:         28
        .size:           4
        .value_kind:     by_value
      - .offset:         32
        .size:           4
        .value_kind:     by_value
      - .offset:         36
        .size:           4
        .value_kind:     by_value
      - .offset:         40
        .size:           12
        .value_kind:     by_value
      - .offset:         52
        .size:           12
        .value_kind:     by_value
      - .offset:         64
        .size:           12
        .value_kind:     by_value
    .group_segment_fixed_size: 0
    .kernarg_segment_align: 8
    .kernarg_segment_size: 76
    .language:       OpenCL C
    .language_version:
      - 2
      - 0
    .max_flat_workgroup_size: 256
    .name:           _ZL33flash_attn_stream_k_fixup_uniformILi256ELi64ELi1EEvPfPK15HIP_vector_typeIfLj2EEiiiiiiS1_IjLj3EES5_S5_
    .private_segment_fixed_size: 0
    .sgpr_count:     24
    .sgpr_spill_count: 0
    .symbol:         _ZL33flash_attn_stream_k_fixup_uniformILi256ELi64ELi1EEvPfPK15HIP_vector_typeIfLj2EEiiiiiiS1_IjLj3EES5_S5_.kd
    .uniform_work_group_size: 1
    .uses_dynamic_stack: false
    .vgpr_count:     17
    .vgpr_spill_count: 0
    .wavefront_size: 64
  - .agpr_count:     0
    .args:
      - .address_space:  global
        .offset:         0
        .size:           8
        .value_kind:     global_buffer
      - .address_space:  global
        .offset:         8
        .size:           8
        .value_kind:     global_buffer
      - .offset:         16
        .size:           4
        .value_kind:     by_value
      - .offset:         20
        .size:           4
        .value_kind:     by_value
      - .offset:         24
        .size:           4
        .value_kind:     by_value
      - .offset:         28
        .size:           4
        .value_kind:     by_value
      - .offset:         32
        .size:           12
        .value_kind:     by_value
      - .offset:         44
        .size:           12
        .value_kind:     by_value
      - .offset:         56
        .size:           12
        .value_kind:     by_value
      - .offset:         68
        .size:           12
        .value_kind:     by_value
      - .offset:         80
        .size:           4
        .value_kind:     hidden_block_count_x
      - .offset:         84
        .size:           4
        .value_kind:     hidden_block_count_y
      - .offset:         88
        .size:           4
        .value_kind:     hidden_block_count_z
      - .offset:         92
        .size:           2
        .value_kind:     hidden_group_size_x
      - .offset:         94
        .size:           2
        .value_kind:     hidden_group_size_y
      - .offset:         96
        .size:           2
        .value_kind:     hidden_group_size_z
      - .offset:         98
        .size:           2
        .value_kind:     hidden_remainder_x
      - .offset:         100
        .size:           2
        .value_kind:     hidden_remainder_y
      - .offset:         102
        .size:           2
        .value_kind:     hidden_remainder_z
      - .offset:         120
        .size:           8
        .value_kind:     hidden_global_offset_x
      - .offset:         128
        .size:           8
        .value_kind:     hidden_global_offset_y
      - .offset:         136
        .size:           8
        .value_kind:     hidden_global_offset_z
      - .offset:         144
        .size:           2
        .value_kind:     hidden_grid_dims
    .group_segment_fixed_size: 0
    .kernarg_segment_align: 8
    .kernarg_segment_size: 336
    .language:       OpenCL C
    .language_version:
      - 2
      - 0
    .max_flat_workgroup_size: 256
    .name:           _ZL33flash_attn_stream_k_fixup_generalILi256ELi64ELi1EEvPfPK15HIP_vector_typeIfLj2EEiiiiS1_IjLj3EES5_S5_S5_
    .private_segment_fixed_size: 0
    .sgpr_count:     36
    .sgpr_spill_count: 0
    .symbol:         _ZL33flash_attn_stream_k_fixup_generalILi256ELi64ELi1EEvPfPK15HIP_vector_typeIfLj2EEiiiiS1_IjLj3EES5_S5_S5_.kd
    .uniform_work_group_size: 1
    .uses_dynamic_stack: false
    .vgpr_count:     22
    .vgpr_spill_count: 0
    .wavefront_size: 64
  - .agpr_count:     0
    .args:
      - .address_space:  global
        .offset:         0
        .size:           8
        .value_kind:     global_buffer
      - .address_space:  global
        .offset:         8
        .size:           8
        .value_kind:     global_buffer
      - .address_space:  global
        .offset:         16
        .size:           8
        .value_kind:     global_buffer
      - .offset:         24
        .size:           4
        .value_kind:     by_value
      - .offset:         32
        .size:           4
        .value_kind:     hidden_block_count_x
      - .offset:         36
        .size:           4
        .value_kind:     hidden_block_count_y
      - .offset:         40
        .size:           4
        .value_kind:     hidden_block_count_z
      - .offset:         44
        .size:           2
        .value_kind:     hidden_group_size_x
      - .offset:         46
        .size:           2
        .value_kind:     hidden_group_size_y
      - .offset:         48
        .size:           2
        .value_kind:     hidden_group_size_z
      - .offset:         50
        .size:           2
        .value_kind:     hidden_remainder_x
      - .offset:         52
        .size:           2
        .value_kind:     hidden_remainder_y
      - .offset:         54
        .size:           2
        .value_kind:     hidden_remainder_z
      - .offset:         72
        .size:           8
        .value_kind:     hidden_global_offset_x
      - .offset:         80
        .size:           8
        .value_kind:     hidden_global_offset_y
      - .offset:         88
        .size:           8
        .value_kind:     hidden_global_offset_z
      - .offset:         96
        .size:           2
        .value_kind:     hidden_grid_dims
      - .offset:         152
        .size:           4
        .value_kind:     hidden_dynamic_lds_size
    .group_segment_fixed_size: 0
    .kernarg_segment_align: 8
    .kernarg_segment_size: 288
    .language:       OpenCL C
    .language_version:
      - 2
      - 0
    .max_flat_workgroup_size: 256
    .name:           _ZL26flash_attn_combine_resultsILi256EEvPKfPK15HIP_vector_typeIfLj2EEPfi
    .private_segment_fixed_size: 0
    .sgpr_count:     30
    .sgpr_spill_count: 0
    .symbol:         _ZL26flash_attn_combine_resultsILi256EEvPKfPK15HIP_vector_typeIfLj2EEPfi.kd
    .uniform_work_group_size: 1
    .uses_dynamic_stack: false
    .vgpr_count:     51
    .vgpr_spill_count: 0
    .wavefront_size: 64
amdhsa.target:   amdgcn-amd-amdhsa--gfx90a
amdhsa.version:
  - 1
  - 2
...

	.end_amdgpu_metadata
